;; amdgpu-corpus repo=ROCm/rocThrust kind=compiled arch=gfx1030 opt=O3
	.amdgcn_target "amdgcn-amd-amdhsa--gfx1030"
	.amdhsa_code_object_version 6
	.section	.text._ZN6thrust23THRUST_200600_302600_NS11hip_rocprim14__parallel_for6kernelILj256ENS1_10for_each_fINS0_7pointerINS0_5tupleIffNS0_9null_typeES7_S7_S7_S7_S7_S7_S7_EENS1_3tagENS0_11use_defaultESA_EENS0_6detail16wrapped_functionINSC_23allocator_traits_detail24construct1_via_allocatorINSC_18no_throw_allocatorINSC_19temporary_allocatorIS8_S9_EEEEEEvEEEEmLj1EEEvT0_T1_SO_,"axG",@progbits,_ZN6thrust23THRUST_200600_302600_NS11hip_rocprim14__parallel_for6kernelILj256ENS1_10for_each_fINS0_7pointerINS0_5tupleIffNS0_9null_typeES7_S7_S7_S7_S7_S7_S7_EENS1_3tagENS0_11use_defaultESA_EENS0_6detail16wrapped_functionINSC_23allocator_traits_detail24construct1_via_allocatorINSC_18no_throw_allocatorINSC_19temporary_allocatorIS8_S9_EEEEEEvEEEEmLj1EEEvT0_T1_SO_,comdat
	.protected	_ZN6thrust23THRUST_200600_302600_NS11hip_rocprim14__parallel_for6kernelILj256ENS1_10for_each_fINS0_7pointerINS0_5tupleIffNS0_9null_typeES7_S7_S7_S7_S7_S7_S7_EENS1_3tagENS0_11use_defaultESA_EENS0_6detail16wrapped_functionINSC_23allocator_traits_detail24construct1_via_allocatorINSC_18no_throw_allocatorINSC_19temporary_allocatorIS8_S9_EEEEEEvEEEEmLj1EEEvT0_T1_SO_ ; -- Begin function _ZN6thrust23THRUST_200600_302600_NS11hip_rocprim14__parallel_for6kernelILj256ENS1_10for_each_fINS0_7pointerINS0_5tupleIffNS0_9null_typeES7_S7_S7_S7_S7_S7_S7_EENS1_3tagENS0_11use_defaultESA_EENS0_6detail16wrapped_functionINSC_23allocator_traits_detail24construct1_via_allocatorINSC_18no_throw_allocatorINSC_19temporary_allocatorIS8_S9_EEEEEEvEEEEmLj1EEEvT0_T1_SO_
	.globl	_ZN6thrust23THRUST_200600_302600_NS11hip_rocprim14__parallel_for6kernelILj256ENS1_10for_each_fINS0_7pointerINS0_5tupleIffNS0_9null_typeES7_S7_S7_S7_S7_S7_S7_EENS1_3tagENS0_11use_defaultESA_EENS0_6detail16wrapped_functionINSC_23allocator_traits_detail24construct1_via_allocatorINSC_18no_throw_allocatorINSC_19temporary_allocatorIS8_S9_EEEEEEvEEEEmLj1EEEvT0_T1_SO_
	.p2align	8
	.type	_ZN6thrust23THRUST_200600_302600_NS11hip_rocprim14__parallel_for6kernelILj256ENS1_10for_each_fINS0_7pointerINS0_5tupleIffNS0_9null_typeES7_S7_S7_S7_S7_S7_S7_EENS1_3tagENS0_11use_defaultESA_EENS0_6detail16wrapped_functionINSC_23allocator_traits_detail24construct1_via_allocatorINSC_18no_throw_allocatorINSC_19temporary_allocatorIS8_S9_EEEEEEvEEEEmLj1EEEvT0_T1_SO_,@function
_ZN6thrust23THRUST_200600_302600_NS11hip_rocprim14__parallel_for6kernelILj256ENS1_10for_each_fINS0_7pointerINS0_5tupleIffNS0_9null_typeES7_S7_S7_S7_S7_S7_S7_EENS1_3tagENS0_11use_defaultESA_EENS0_6detail16wrapped_functionINSC_23allocator_traits_detail24construct1_via_allocatorINSC_18no_throw_allocatorINSC_19temporary_allocatorIS8_S9_EEEEEEvEEEEmLj1EEEvT0_T1_SO_: ; @_ZN6thrust23THRUST_200600_302600_NS11hip_rocprim14__parallel_for6kernelILj256ENS1_10for_each_fINS0_7pointerINS0_5tupleIffNS0_9null_typeES7_S7_S7_S7_S7_S7_S7_EENS1_3tagENS0_11use_defaultESA_EENS0_6detail16wrapped_functionINSC_23allocator_traits_detail24construct1_via_allocatorINSC_18no_throw_allocatorINSC_19temporary_allocatorIS8_S9_EEEEEEvEEEEmLj1EEEvT0_T1_SO_
; %bb.0:
	s_clause 0x1
	s_load_dwordx4 s[8:11], s[4:5], 0x10
	s_load_dwordx2 s[0:1], s[4:5], 0x0
	s_lshl_b32 s2, s6, 8
	s_waitcnt lgkmcnt(0)
	s_add_u32 s2, s10, s2
	s_addc_u32 s3, s11, 0
	s_sub_u32 s4, s8, s2
	s_subb_u32 s5, s9, s3
	v_cmp_lt_u64_e64 s5, 0xff, s[4:5]
	s_and_b32 vcc_lo, exec_lo, s5
	s_mov_b32 s5, -1
	s_cbranch_vccz .LBB0_3
; %bb.1:
	s_andn2_b32 vcc_lo, exec_lo, s5
	s_cbranch_vccz .LBB0_6
.LBB0_2:
	s_endpgm
.LBB0_3:
	v_cmp_gt_u32_e32 vcc_lo, s4, v0
	s_and_saveexec_b32 s4, vcc_lo
	s_cbranch_execz .LBB0_5
; %bb.4:
	v_lshlrev_b32_e32 v2, 3, v0
	s_lshl_b64 s[6:7], s[2:3], 3
	v_mov_b32_e32 v1, 0
	s_add_u32 s5, s0, s6
	s_addc_u32 s6, s1, s7
	v_add_co_u32 v3, s5, s5, v2
	v_add_co_ci_u32_e64 v4, null, s6, 0, s5
	v_mov_b32_e32 v2, v1
	flat_store_dwordx2 v[3:4], v[1:2]
.LBB0_5:
	s_or_b32 exec_lo, exec_lo, s4
	s_cbranch_execnz .LBB0_2
.LBB0_6:
	v_lshlrev_b32_e32 v1, 3, v0
	s_lshl_b64 s[2:3], s[2:3], 3
	v_mov_b32_e32 v0, 0
	s_add_u32 s0, s0, s2
	s_addc_u32 s1, s1, s3
	v_add_co_u32 v2, s0, s0, v1
	v_add_co_ci_u32_e64 v3, null, s1, 0, s0
	v_mov_b32_e32 v1, v0
	flat_store_dwordx2 v[2:3], v[0:1]
	s_endpgm
	.section	.rodata,"a",@progbits
	.p2align	6, 0x0
	.amdhsa_kernel _ZN6thrust23THRUST_200600_302600_NS11hip_rocprim14__parallel_for6kernelILj256ENS1_10for_each_fINS0_7pointerINS0_5tupleIffNS0_9null_typeES7_S7_S7_S7_S7_S7_S7_EENS1_3tagENS0_11use_defaultESA_EENS0_6detail16wrapped_functionINSC_23allocator_traits_detail24construct1_via_allocatorINSC_18no_throw_allocatorINSC_19temporary_allocatorIS8_S9_EEEEEEvEEEEmLj1EEEvT0_T1_SO_
		.amdhsa_group_segment_fixed_size 0
		.amdhsa_private_segment_fixed_size 0
		.amdhsa_kernarg_size 32
		.amdhsa_user_sgpr_count 6
		.amdhsa_user_sgpr_private_segment_buffer 1
		.amdhsa_user_sgpr_dispatch_ptr 0
		.amdhsa_user_sgpr_queue_ptr 0
		.amdhsa_user_sgpr_kernarg_segment_ptr 1
		.amdhsa_user_sgpr_dispatch_id 0
		.amdhsa_user_sgpr_flat_scratch_init 0
		.amdhsa_user_sgpr_private_segment_size 0
		.amdhsa_wavefront_size32 1
		.amdhsa_uses_dynamic_stack 0
		.amdhsa_system_sgpr_private_segment_wavefront_offset 0
		.amdhsa_system_sgpr_workgroup_id_x 1
		.amdhsa_system_sgpr_workgroup_id_y 0
		.amdhsa_system_sgpr_workgroup_id_z 0
		.amdhsa_system_sgpr_workgroup_info 0
		.amdhsa_system_vgpr_workitem_id 0
		.amdhsa_next_free_vgpr 5
		.amdhsa_next_free_sgpr 12
		.amdhsa_reserve_vcc 1
		.amdhsa_reserve_flat_scratch 0
		.amdhsa_float_round_mode_32 0
		.amdhsa_float_round_mode_16_64 0
		.amdhsa_float_denorm_mode_32 3
		.amdhsa_float_denorm_mode_16_64 3
		.amdhsa_dx10_clamp 1
		.amdhsa_ieee_mode 1
		.amdhsa_fp16_overflow 0
		.amdhsa_workgroup_processor_mode 1
		.amdhsa_memory_ordered 1
		.amdhsa_forward_progress 1
		.amdhsa_shared_vgpr_count 0
		.amdhsa_exception_fp_ieee_invalid_op 0
		.amdhsa_exception_fp_denorm_src 0
		.amdhsa_exception_fp_ieee_div_zero 0
		.amdhsa_exception_fp_ieee_overflow 0
		.amdhsa_exception_fp_ieee_underflow 0
		.amdhsa_exception_fp_ieee_inexact 0
		.amdhsa_exception_int_div_zero 0
	.end_amdhsa_kernel
	.section	.text._ZN6thrust23THRUST_200600_302600_NS11hip_rocprim14__parallel_for6kernelILj256ENS1_10for_each_fINS0_7pointerINS0_5tupleIffNS0_9null_typeES7_S7_S7_S7_S7_S7_S7_EENS1_3tagENS0_11use_defaultESA_EENS0_6detail16wrapped_functionINSC_23allocator_traits_detail24construct1_via_allocatorINSC_18no_throw_allocatorINSC_19temporary_allocatorIS8_S9_EEEEEEvEEEEmLj1EEEvT0_T1_SO_,"axG",@progbits,_ZN6thrust23THRUST_200600_302600_NS11hip_rocprim14__parallel_for6kernelILj256ENS1_10for_each_fINS0_7pointerINS0_5tupleIffNS0_9null_typeES7_S7_S7_S7_S7_S7_S7_EENS1_3tagENS0_11use_defaultESA_EENS0_6detail16wrapped_functionINSC_23allocator_traits_detail24construct1_via_allocatorINSC_18no_throw_allocatorINSC_19temporary_allocatorIS8_S9_EEEEEEvEEEEmLj1EEEvT0_T1_SO_,comdat
.Lfunc_end0:
	.size	_ZN6thrust23THRUST_200600_302600_NS11hip_rocprim14__parallel_for6kernelILj256ENS1_10for_each_fINS0_7pointerINS0_5tupleIffNS0_9null_typeES7_S7_S7_S7_S7_S7_S7_EENS1_3tagENS0_11use_defaultESA_EENS0_6detail16wrapped_functionINSC_23allocator_traits_detail24construct1_via_allocatorINSC_18no_throw_allocatorINSC_19temporary_allocatorIS8_S9_EEEEEEvEEEEmLj1EEEvT0_T1_SO_, .Lfunc_end0-_ZN6thrust23THRUST_200600_302600_NS11hip_rocprim14__parallel_for6kernelILj256ENS1_10for_each_fINS0_7pointerINS0_5tupleIffNS0_9null_typeES7_S7_S7_S7_S7_S7_S7_EENS1_3tagENS0_11use_defaultESA_EENS0_6detail16wrapped_functionINSC_23allocator_traits_detail24construct1_via_allocatorINSC_18no_throw_allocatorINSC_19temporary_allocatorIS8_S9_EEEEEEvEEEEmLj1EEEvT0_T1_SO_
                                        ; -- End function
	.set _ZN6thrust23THRUST_200600_302600_NS11hip_rocprim14__parallel_for6kernelILj256ENS1_10for_each_fINS0_7pointerINS0_5tupleIffNS0_9null_typeES7_S7_S7_S7_S7_S7_S7_EENS1_3tagENS0_11use_defaultESA_EENS0_6detail16wrapped_functionINSC_23allocator_traits_detail24construct1_via_allocatorINSC_18no_throw_allocatorINSC_19temporary_allocatorIS8_S9_EEEEEEvEEEEmLj1EEEvT0_T1_SO_.num_vgpr, 5
	.set _ZN6thrust23THRUST_200600_302600_NS11hip_rocprim14__parallel_for6kernelILj256ENS1_10for_each_fINS0_7pointerINS0_5tupleIffNS0_9null_typeES7_S7_S7_S7_S7_S7_S7_EENS1_3tagENS0_11use_defaultESA_EENS0_6detail16wrapped_functionINSC_23allocator_traits_detail24construct1_via_allocatorINSC_18no_throw_allocatorINSC_19temporary_allocatorIS8_S9_EEEEEEvEEEEmLj1EEEvT0_T1_SO_.num_agpr, 0
	.set _ZN6thrust23THRUST_200600_302600_NS11hip_rocprim14__parallel_for6kernelILj256ENS1_10for_each_fINS0_7pointerINS0_5tupleIffNS0_9null_typeES7_S7_S7_S7_S7_S7_S7_EENS1_3tagENS0_11use_defaultESA_EENS0_6detail16wrapped_functionINSC_23allocator_traits_detail24construct1_via_allocatorINSC_18no_throw_allocatorINSC_19temporary_allocatorIS8_S9_EEEEEEvEEEEmLj1EEEvT0_T1_SO_.numbered_sgpr, 12
	.set _ZN6thrust23THRUST_200600_302600_NS11hip_rocprim14__parallel_for6kernelILj256ENS1_10for_each_fINS0_7pointerINS0_5tupleIffNS0_9null_typeES7_S7_S7_S7_S7_S7_S7_EENS1_3tagENS0_11use_defaultESA_EENS0_6detail16wrapped_functionINSC_23allocator_traits_detail24construct1_via_allocatorINSC_18no_throw_allocatorINSC_19temporary_allocatorIS8_S9_EEEEEEvEEEEmLj1EEEvT0_T1_SO_.num_named_barrier, 0
	.set _ZN6thrust23THRUST_200600_302600_NS11hip_rocprim14__parallel_for6kernelILj256ENS1_10for_each_fINS0_7pointerINS0_5tupleIffNS0_9null_typeES7_S7_S7_S7_S7_S7_S7_EENS1_3tagENS0_11use_defaultESA_EENS0_6detail16wrapped_functionINSC_23allocator_traits_detail24construct1_via_allocatorINSC_18no_throw_allocatorINSC_19temporary_allocatorIS8_S9_EEEEEEvEEEEmLj1EEEvT0_T1_SO_.private_seg_size, 0
	.set _ZN6thrust23THRUST_200600_302600_NS11hip_rocprim14__parallel_for6kernelILj256ENS1_10for_each_fINS0_7pointerINS0_5tupleIffNS0_9null_typeES7_S7_S7_S7_S7_S7_S7_EENS1_3tagENS0_11use_defaultESA_EENS0_6detail16wrapped_functionINSC_23allocator_traits_detail24construct1_via_allocatorINSC_18no_throw_allocatorINSC_19temporary_allocatorIS8_S9_EEEEEEvEEEEmLj1EEEvT0_T1_SO_.uses_vcc, 1
	.set _ZN6thrust23THRUST_200600_302600_NS11hip_rocprim14__parallel_for6kernelILj256ENS1_10for_each_fINS0_7pointerINS0_5tupleIffNS0_9null_typeES7_S7_S7_S7_S7_S7_S7_EENS1_3tagENS0_11use_defaultESA_EENS0_6detail16wrapped_functionINSC_23allocator_traits_detail24construct1_via_allocatorINSC_18no_throw_allocatorINSC_19temporary_allocatorIS8_S9_EEEEEEvEEEEmLj1EEEvT0_T1_SO_.uses_flat_scratch, 0
	.set _ZN6thrust23THRUST_200600_302600_NS11hip_rocprim14__parallel_for6kernelILj256ENS1_10for_each_fINS0_7pointerINS0_5tupleIffNS0_9null_typeES7_S7_S7_S7_S7_S7_S7_EENS1_3tagENS0_11use_defaultESA_EENS0_6detail16wrapped_functionINSC_23allocator_traits_detail24construct1_via_allocatorINSC_18no_throw_allocatorINSC_19temporary_allocatorIS8_S9_EEEEEEvEEEEmLj1EEEvT0_T1_SO_.has_dyn_sized_stack, 0
	.set _ZN6thrust23THRUST_200600_302600_NS11hip_rocprim14__parallel_for6kernelILj256ENS1_10for_each_fINS0_7pointerINS0_5tupleIffNS0_9null_typeES7_S7_S7_S7_S7_S7_S7_EENS1_3tagENS0_11use_defaultESA_EENS0_6detail16wrapped_functionINSC_23allocator_traits_detail24construct1_via_allocatorINSC_18no_throw_allocatorINSC_19temporary_allocatorIS8_S9_EEEEEEvEEEEmLj1EEEvT0_T1_SO_.has_recursion, 0
	.set _ZN6thrust23THRUST_200600_302600_NS11hip_rocprim14__parallel_for6kernelILj256ENS1_10for_each_fINS0_7pointerINS0_5tupleIffNS0_9null_typeES7_S7_S7_S7_S7_S7_S7_EENS1_3tagENS0_11use_defaultESA_EENS0_6detail16wrapped_functionINSC_23allocator_traits_detail24construct1_via_allocatorINSC_18no_throw_allocatorINSC_19temporary_allocatorIS8_S9_EEEEEEvEEEEmLj1EEEvT0_T1_SO_.has_indirect_call, 0
	.section	.AMDGPU.csdata,"",@progbits
; Kernel info:
; codeLenInByte = 200
; TotalNumSgprs: 14
; NumVgprs: 5
; ScratchSize: 0
; MemoryBound: 0
; FloatMode: 240
; IeeeMode: 1
; LDSByteSize: 0 bytes/workgroup (compile time only)
; SGPRBlocks: 0
; VGPRBlocks: 0
; NumSGPRsForWavesPerEU: 14
; NumVGPRsForWavesPerEU: 5
; Occupancy: 16
; WaveLimiterHint : 0
; COMPUTE_PGM_RSRC2:SCRATCH_EN: 0
; COMPUTE_PGM_RSRC2:USER_SGPR: 6
; COMPUTE_PGM_RSRC2:TRAP_HANDLER: 0
; COMPUTE_PGM_RSRC2:TGID_X_EN: 1
; COMPUTE_PGM_RSRC2:TGID_Y_EN: 0
; COMPUTE_PGM_RSRC2:TGID_Z_EN: 0
; COMPUTE_PGM_RSRC2:TIDIG_COMP_CNT: 0
	.section	.text._ZN6thrust23THRUST_200600_302600_NS11hip_rocprim14__parallel_for6kernelILj256ENS1_10for_each_fINS0_7pointerINS0_5tupleIffNS0_9null_typeES7_S7_S7_S7_S7_S7_S7_EENS1_3tagENS0_11use_defaultESA_EENS0_6detail16wrapped_functionINSC_23allocator_traits_detail5gozerEvEEEElLj1EEEvT0_T1_SJ_,"axG",@progbits,_ZN6thrust23THRUST_200600_302600_NS11hip_rocprim14__parallel_for6kernelILj256ENS1_10for_each_fINS0_7pointerINS0_5tupleIffNS0_9null_typeES7_S7_S7_S7_S7_S7_S7_EENS1_3tagENS0_11use_defaultESA_EENS0_6detail16wrapped_functionINSC_23allocator_traits_detail5gozerEvEEEElLj1EEEvT0_T1_SJ_,comdat
	.protected	_ZN6thrust23THRUST_200600_302600_NS11hip_rocprim14__parallel_for6kernelILj256ENS1_10for_each_fINS0_7pointerINS0_5tupleIffNS0_9null_typeES7_S7_S7_S7_S7_S7_S7_EENS1_3tagENS0_11use_defaultESA_EENS0_6detail16wrapped_functionINSC_23allocator_traits_detail5gozerEvEEEElLj1EEEvT0_T1_SJ_ ; -- Begin function _ZN6thrust23THRUST_200600_302600_NS11hip_rocprim14__parallel_for6kernelILj256ENS1_10for_each_fINS0_7pointerINS0_5tupleIffNS0_9null_typeES7_S7_S7_S7_S7_S7_S7_EENS1_3tagENS0_11use_defaultESA_EENS0_6detail16wrapped_functionINSC_23allocator_traits_detail5gozerEvEEEElLj1EEEvT0_T1_SJ_
	.globl	_ZN6thrust23THRUST_200600_302600_NS11hip_rocprim14__parallel_for6kernelILj256ENS1_10for_each_fINS0_7pointerINS0_5tupleIffNS0_9null_typeES7_S7_S7_S7_S7_S7_S7_EENS1_3tagENS0_11use_defaultESA_EENS0_6detail16wrapped_functionINSC_23allocator_traits_detail5gozerEvEEEElLj1EEEvT0_T1_SJ_
	.p2align	8
	.type	_ZN6thrust23THRUST_200600_302600_NS11hip_rocprim14__parallel_for6kernelILj256ENS1_10for_each_fINS0_7pointerINS0_5tupleIffNS0_9null_typeES7_S7_S7_S7_S7_S7_S7_EENS1_3tagENS0_11use_defaultESA_EENS0_6detail16wrapped_functionINSC_23allocator_traits_detail5gozerEvEEEElLj1EEEvT0_T1_SJ_,@function
_ZN6thrust23THRUST_200600_302600_NS11hip_rocprim14__parallel_for6kernelILj256ENS1_10for_each_fINS0_7pointerINS0_5tupleIffNS0_9null_typeES7_S7_S7_S7_S7_S7_S7_EENS1_3tagENS0_11use_defaultESA_EENS0_6detail16wrapped_functionINSC_23allocator_traits_detail5gozerEvEEEElLj1EEEvT0_T1_SJ_: ; @_ZN6thrust23THRUST_200600_302600_NS11hip_rocprim14__parallel_for6kernelILj256ENS1_10for_each_fINS0_7pointerINS0_5tupleIffNS0_9null_typeES7_S7_S7_S7_S7_S7_S7_EENS1_3tagENS0_11use_defaultESA_EENS0_6detail16wrapped_functionINSC_23allocator_traits_detail5gozerEvEEEElLj1EEEvT0_T1_SJ_
; %bb.0:
	s_endpgm
	.section	.rodata,"a",@progbits
	.p2align	6, 0x0
	.amdhsa_kernel _ZN6thrust23THRUST_200600_302600_NS11hip_rocprim14__parallel_for6kernelILj256ENS1_10for_each_fINS0_7pointerINS0_5tupleIffNS0_9null_typeES7_S7_S7_S7_S7_S7_S7_EENS1_3tagENS0_11use_defaultESA_EENS0_6detail16wrapped_functionINSC_23allocator_traits_detail5gozerEvEEEElLj1EEEvT0_T1_SJ_
		.amdhsa_group_segment_fixed_size 0
		.amdhsa_private_segment_fixed_size 0
		.amdhsa_kernarg_size 32
		.amdhsa_user_sgpr_count 6
		.amdhsa_user_sgpr_private_segment_buffer 1
		.amdhsa_user_sgpr_dispatch_ptr 0
		.amdhsa_user_sgpr_queue_ptr 0
		.amdhsa_user_sgpr_kernarg_segment_ptr 1
		.amdhsa_user_sgpr_dispatch_id 0
		.amdhsa_user_sgpr_flat_scratch_init 0
		.amdhsa_user_sgpr_private_segment_size 0
		.amdhsa_wavefront_size32 1
		.amdhsa_uses_dynamic_stack 0
		.amdhsa_system_sgpr_private_segment_wavefront_offset 0
		.amdhsa_system_sgpr_workgroup_id_x 1
		.amdhsa_system_sgpr_workgroup_id_y 0
		.amdhsa_system_sgpr_workgroup_id_z 0
		.amdhsa_system_sgpr_workgroup_info 0
		.amdhsa_system_vgpr_workitem_id 0
		.amdhsa_next_free_vgpr 1
		.amdhsa_next_free_sgpr 1
		.amdhsa_reserve_vcc 0
		.amdhsa_reserve_flat_scratch 0
		.amdhsa_float_round_mode_32 0
		.amdhsa_float_round_mode_16_64 0
		.amdhsa_float_denorm_mode_32 3
		.amdhsa_float_denorm_mode_16_64 3
		.amdhsa_dx10_clamp 1
		.amdhsa_ieee_mode 1
		.amdhsa_fp16_overflow 0
		.amdhsa_workgroup_processor_mode 1
		.amdhsa_memory_ordered 1
		.amdhsa_forward_progress 1
		.amdhsa_shared_vgpr_count 0
		.amdhsa_exception_fp_ieee_invalid_op 0
		.amdhsa_exception_fp_denorm_src 0
		.amdhsa_exception_fp_ieee_div_zero 0
		.amdhsa_exception_fp_ieee_overflow 0
		.amdhsa_exception_fp_ieee_underflow 0
		.amdhsa_exception_fp_ieee_inexact 0
		.amdhsa_exception_int_div_zero 0
	.end_amdhsa_kernel
	.section	.text._ZN6thrust23THRUST_200600_302600_NS11hip_rocprim14__parallel_for6kernelILj256ENS1_10for_each_fINS0_7pointerINS0_5tupleIffNS0_9null_typeES7_S7_S7_S7_S7_S7_S7_EENS1_3tagENS0_11use_defaultESA_EENS0_6detail16wrapped_functionINSC_23allocator_traits_detail5gozerEvEEEElLj1EEEvT0_T1_SJ_,"axG",@progbits,_ZN6thrust23THRUST_200600_302600_NS11hip_rocprim14__parallel_for6kernelILj256ENS1_10for_each_fINS0_7pointerINS0_5tupleIffNS0_9null_typeES7_S7_S7_S7_S7_S7_S7_EENS1_3tagENS0_11use_defaultESA_EENS0_6detail16wrapped_functionINSC_23allocator_traits_detail5gozerEvEEEElLj1EEEvT0_T1_SJ_,comdat
.Lfunc_end1:
	.size	_ZN6thrust23THRUST_200600_302600_NS11hip_rocprim14__parallel_for6kernelILj256ENS1_10for_each_fINS0_7pointerINS0_5tupleIffNS0_9null_typeES7_S7_S7_S7_S7_S7_S7_EENS1_3tagENS0_11use_defaultESA_EENS0_6detail16wrapped_functionINSC_23allocator_traits_detail5gozerEvEEEElLj1EEEvT0_T1_SJ_, .Lfunc_end1-_ZN6thrust23THRUST_200600_302600_NS11hip_rocprim14__parallel_for6kernelILj256ENS1_10for_each_fINS0_7pointerINS0_5tupleIffNS0_9null_typeES7_S7_S7_S7_S7_S7_S7_EENS1_3tagENS0_11use_defaultESA_EENS0_6detail16wrapped_functionINSC_23allocator_traits_detail5gozerEvEEEElLj1EEEvT0_T1_SJ_
                                        ; -- End function
	.set _ZN6thrust23THRUST_200600_302600_NS11hip_rocprim14__parallel_for6kernelILj256ENS1_10for_each_fINS0_7pointerINS0_5tupleIffNS0_9null_typeES7_S7_S7_S7_S7_S7_S7_EENS1_3tagENS0_11use_defaultESA_EENS0_6detail16wrapped_functionINSC_23allocator_traits_detail5gozerEvEEEElLj1EEEvT0_T1_SJ_.num_vgpr, 0
	.set _ZN6thrust23THRUST_200600_302600_NS11hip_rocprim14__parallel_for6kernelILj256ENS1_10for_each_fINS0_7pointerINS0_5tupleIffNS0_9null_typeES7_S7_S7_S7_S7_S7_S7_EENS1_3tagENS0_11use_defaultESA_EENS0_6detail16wrapped_functionINSC_23allocator_traits_detail5gozerEvEEEElLj1EEEvT0_T1_SJ_.num_agpr, 0
	.set _ZN6thrust23THRUST_200600_302600_NS11hip_rocprim14__parallel_for6kernelILj256ENS1_10for_each_fINS0_7pointerINS0_5tupleIffNS0_9null_typeES7_S7_S7_S7_S7_S7_S7_EENS1_3tagENS0_11use_defaultESA_EENS0_6detail16wrapped_functionINSC_23allocator_traits_detail5gozerEvEEEElLj1EEEvT0_T1_SJ_.numbered_sgpr, 0
	.set _ZN6thrust23THRUST_200600_302600_NS11hip_rocprim14__parallel_for6kernelILj256ENS1_10for_each_fINS0_7pointerINS0_5tupleIffNS0_9null_typeES7_S7_S7_S7_S7_S7_S7_EENS1_3tagENS0_11use_defaultESA_EENS0_6detail16wrapped_functionINSC_23allocator_traits_detail5gozerEvEEEElLj1EEEvT0_T1_SJ_.num_named_barrier, 0
	.set _ZN6thrust23THRUST_200600_302600_NS11hip_rocprim14__parallel_for6kernelILj256ENS1_10for_each_fINS0_7pointerINS0_5tupleIffNS0_9null_typeES7_S7_S7_S7_S7_S7_S7_EENS1_3tagENS0_11use_defaultESA_EENS0_6detail16wrapped_functionINSC_23allocator_traits_detail5gozerEvEEEElLj1EEEvT0_T1_SJ_.private_seg_size, 0
	.set _ZN6thrust23THRUST_200600_302600_NS11hip_rocprim14__parallel_for6kernelILj256ENS1_10for_each_fINS0_7pointerINS0_5tupleIffNS0_9null_typeES7_S7_S7_S7_S7_S7_S7_EENS1_3tagENS0_11use_defaultESA_EENS0_6detail16wrapped_functionINSC_23allocator_traits_detail5gozerEvEEEElLj1EEEvT0_T1_SJ_.uses_vcc, 0
	.set _ZN6thrust23THRUST_200600_302600_NS11hip_rocprim14__parallel_for6kernelILj256ENS1_10for_each_fINS0_7pointerINS0_5tupleIffNS0_9null_typeES7_S7_S7_S7_S7_S7_S7_EENS1_3tagENS0_11use_defaultESA_EENS0_6detail16wrapped_functionINSC_23allocator_traits_detail5gozerEvEEEElLj1EEEvT0_T1_SJ_.uses_flat_scratch, 0
	.set _ZN6thrust23THRUST_200600_302600_NS11hip_rocprim14__parallel_for6kernelILj256ENS1_10for_each_fINS0_7pointerINS0_5tupleIffNS0_9null_typeES7_S7_S7_S7_S7_S7_S7_EENS1_3tagENS0_11use_defaultESA_EENS0_6detail16wrapped_functionINSC_23allocator_traits_detail5gozerEvEEEElLj1EEEvT0_T1_SJ_.has_dyn_sized_stack, 0
	.set _ZN6thrust23THRUST_200600_302600_NS11hip_rocprim14__parallel_for6kernelILj256ENS1_10for_each_fINS0_7pointerINS0_5tupleIffNS0_9null_typeES7_S7_S7_S7_S7_S7_S7_EENS1_3tagENS0_11use_defaultESA_EENS0_6detail16wrapped_functionINSC_23allocator_traits_detail5gozerEvEEEElLj1EEEvT0_T1_SJ_.has_recursion, 0
	.set _ZN6thrust23THRUST_200600_302600_NS11hip_rocprim14__parallel_for6kernelILj256ENS1_10for_each_fINS0_7pointerINS0_5tupleIffNS0_9null_typeES7_S7_S7_S7_S7_S7_S7_EENS1_3tagENS0_11use_defaultESA_EENS0_6detail16wrapped_functionINSC_23allocator_traits_detail5gozerEvEEEElLj1EEEvT0_T1_SJ_.has_indirect_call, 0
	.section	.AMDGPU.csdata,"",@progbits
; Kernel info:
; codeLenInByte = 4
; TotalNumSgprs: 0
; NumVgprs: 0
; ScratchSize: 0
; MemoryBound: 0
; FloatMode: 240
; IeeeMode: 1
; LDSByteSize: 0 bytes/workgroup (compile time only)
; SGPRBlocks: 0
; VGPRBlocks: 0
; NumSGPRsForWavesPerEU: 1
; NumVGPRsForWavesPerEU: 1
; Occupancy: 16
; WaveLimiterHint : 0
; COMPUTE_PGM_RSRC2:SCRATCH_EN: 0
; COMPUTE_PGM_RSRC2:USER_SGPR: 6
; COMPUTE_PGM_RSRC2:TRAP_HANDLER: 0
; COMPUTE_PGM_RSRC2:TGID_X_EN: 1
; COMPUTE_PGM_RSRC2:TGID_Y_EN: 0
; COMPUTE_PGM_RSRC2:TGID_Z_EN: 0
; COMPUTE_PGM_RSRC2:TIDIG_COMP_CNT: 0
	.section	.text._ZN6thrust23THRUST_200600_302600_NS11hip_rocprim14__parallel_for6kernelILj256ENS1_11__transform17unary_transform_fINS0_7pointerINS0_5tupleIffNS0_9null_typeES8_S8_S8_S8_S8_S8_S8_EENS1_3tagENS0_11use_defaultESB_EENS0_10device_ptrIS9_EENS4_14no_stencil_tagENS0_8identityIS9_EENS4_21always_true_predicateEEElLj1EEEvT0_T1_SL_,"axG",@progbits,_ZN6thrust23THRUST_200600_302600_NS11hip_rocprim14__parallel_for6kernelILj256ENS1_11__transform17unary_transform_fINS0_7pointerINS0_5tupleIffNS0_9null_typeES8_S8_S8_S8_S8_S8_S8_EENS1_3tagENS0_11use_defaultESB_EENS0_10device_ptrIS9_EENS4_14no_stencil_tagENS0_8identityIS9_EENS4_21always_true_predicateEEElLj1EEEvT0_T1_SL_,comdat
	.protected	_ZN6thrust23THRUST_200600_302600_NS11hip_rocprim14__parallel_for6kernelILj256ENS1_11__transform17unary_transform_fINS0_7pointerINS0_5tupleIffNS0_9null_typeES8_S8_S8_S8_S8_S8_S8_EENS1_3tagENS0_11use_defaultESB_EENS0_10device_ptrIS9_EENS4_14no_stencil_tagENS0_8identityIS9_EENS4_21always_true_predicateEEElLj1EEEvT0_T1_SL_ ; -- Begin function _ZN6thrust23THRUST_200600_302600_NS11hip_rocprim14__parallel_for6kernelILj256ENS1_11__transform17unary_transform_fINS0_7pointerINS0_5tupleIffNS0_9null_typeES8_S8_S8_S8_S8_S8_S8_EENS1_3tagENS0_11use_defaultESB_EENS0_10device_ptrIS9_EENS4_14no_stencil_tagENS0_8identityIS9_EENS4_21always_true_predicateEEElLj1EEEvT0_T1_SL_
	.globl	_ZN6thrust23THRUST_200600_302600_NS11hip_rocprim14__parallel_for6kernelILj256ENS1_11__transform17unary_transform_fINS0_7pointerINS0_5tupleIffNS0_9null_typeES8_S8_S8_S8_S8_S8_S8_EENS1_3tagENS0_11use_defaultESB_EENS0_10device_ptrIS9_EENS4_14no_stencil_tagENS0_8identityIS9_EENS4_21always_true_predicateEEElLj1EEEvT0_T1_SL_
	.p2align	8
	.type	_ZN6thrust23THRUST_200600_302600_NS11hip_rocprim14__parallel_for6kernelILj256ENS1_11__transform17unary_transform_fINS0_7pointerINS0_5tupleIffNS0_9null_typeES8_S8_S8_S8_S8_S8_S8_EENS1_3tagENS0_11use_defaultESB_EENS0_10device_ptrIS9_EENS4_14no_stencil_tagENS0_8identityIS9_EENS4_21always_true_predicateEEElLj1EEEvT0_T1_SL_,@function
_ZN6thrust23THRUST_200600_302600_NS11hip_rocprim14__parallel_for6kernelILj256ENS1_11__transform17unary_transform_fINS0_7pointerINS0_5tupleIffNS0_9null_typeES8_S8_S8_S8_S8_S8_S8_EENS1_3tagENS0_11use_defaultESB_EENS0_10device_ptrIS9_EENS4_14no_stencil_tagENS0_8identityIS9_EENS4_21always_true_predicateEEElLj1EEEvT0_T1_SL_: ; @_ZN6thrust23THRUST_200600_302600_NS11hip_rocprim14__parallel_for6kernelILj256ENS1_11__transform17unary_transform_fINS0_7pointerINS0_5tupleIffNS0_9null_typeES8_S8_S8_S8_S8_S8_S8_EENS1_3tagENS0_11use_defaultESB_EENS0_10device_ptrIS9_EENS4_14no_stencil_tagENS0_8identityIS9_EENS4_21always_true_predicateEEElLj1EEEvT0_T1_SL_
; %bb.0:
	s_clause 0x1
	s_load_dwordx4 s[8:11], s[4:5], 0x18
	s_load_dwordx4 s[0:3], s[4:5], 0x0
	s_lshl_b32 s4, s6, 8
	s_waitcnt lgkmcnt(0)
	s_add_u32 s4, s10, s4
	s_addc_u32 s5, s11, 0
	s_sub_u32 s6, s8, s4
	s_subb_u32 s7, s9, s5
	v_cmp_gt_i64_e64 s7, 0x100, s[6:7]
	s_and_b32 s7, s7, exec_lo
	s_cselect_b32 s7, s6, 0x100
	s_mov_b32 s6, -1
	s_cmpk_eq_i32 s7, 0x100
	s_cbranch_scc0 .LBB2_3
; %bb.1:
	s_andn2_b32 vcc_lo, exec_lo, s6
	s_cbranch_vccz .LBB2_6
.LBB2_2:
	s_endpgm
.LBB2_3:
	s_mov_b32 s6, exec_lo
	v_cmpx_gt_u32_e64 s7, v0
	s_cbranch_execz .LBB2_5
; %bb.4:
	v_add_co_u32 v1, s7, s4, v0
	v_add_co_ci_u32_e64 v2, null, s5, 0, s7
	v_lshlrev_b64 v[1:2], 3, v[1:2]
	v_add_co_u32 v3, vcc_lo, s0, v1
	v_add_co_ci_u32_e64 v4, null, s1, v2, vcc_lo
	v_add_co_u32 v1, vcc_lo, s2, v1
	v_add_co_ci_u32_e64 v2, null, s3, v2, vcc_lo
	flat_load_dwordx2 v[3:4], v[3:4]
	s_waitcnt vmcnt(0) lgkmcnt(0)
	flat_store_dwordx2 v[1:2], v[3:4]
.LBB2_5:
	s_or_b32 exec_lo, exec_lo, s6
	s_cbranch_execnz .LBB2_2
.LBB2_6:
	v_add_co_u32 v0, s4, s4, v0
	v_add_co_ci_u32_e64 v1, null, s5, 0, s4
	v_lshlrev_b64 v[0:1], 3, v[0:1]
	v_add_co_u32 v2, vcc_lo, s0, v0
	v_add_co_ci_u32_e64 v3, null, s1, v1, vcc_lo
	v_add_co_u32 v0, vcc_lo, s2, v0
	v_add_co_ci_u32_e64 v1, null, s3, v1, vcc_lo
	flat_load_dwordx2 v[2:3], v[2:3]
	s_waitcnt vmcnt(0) lgkmcnt(0)
	flat_store_dwordx2 v[0:1], v[2:3]
	s_endpgm
	.section	.rodata,"a",@progbits
	.p2align	6, 0x0
	.amdhsa_kernel _ZN6thrust23THRUST_200600_302600_NS11hip_rocprim14__parallel_for6kernelILj256ENS1_11__transform17unary_transform_fINS0_7pointerINS0_5tupleIffNS0_9null_typeES8_S8_S8_S8_S8_S8_S8_EENS1_3tagENS0_11use_defaultESB_EENS0_10device_ptrIS9_EENS4_14no_stencil_tagENS0_8identityIS9_EENS4_21always_true_predicateEEElLj1EEEvT0_T1_SL_
		.amdhsa_group_segment_fixed_size 0
		.amdhsa_private_segment_fixed_size 0
		.amdhsa_kernarg_size 40
		.amdhsa_user_sgpr_count 6
		.amdhsa_user_sgpr_private_segment_buffer 1
		.amdhsa_user_sgpr_dispatch_ptr 0
		.amdhsa_user_sgpr_queue_ptr 0
		.amdhsa_user_sgpr_kernarg_segment_ptr 1
		.amdhsa_user_sgpr_dispatch_id 0
		.amdhsa_user_sgpr_flat_scratch_init 0
		.amdhsa_user_sgpr_private_segment_size 0
		.amdhsa_wavefront_size32 1
		.amdhsa_uses_dynamic_stack 0
		.amdhsa_system_sgpr_private_segment_wavefront_offset 0
		.amdhsa_system_sgpr_workgroup_id_x 1
		.amdhsa_system_sgpr_workgroup_id_y 0
		.amdhsa_system_sgpr_workgroup_id_z 0
		.amdhsa_system_sgpr_workgroup_info 0
		.amdhsa_system_vgpr_workitem_id 0
		.amdhsa_next_free_vgpr 5
		.amdhsa_next_free_sgpr 12
		.amdhsa_reserve_vcc 1
		.amdhsa_reserve_flat_scratch 0
		.amdhsa_float_round_mode_32 0
		.amdhsa_float_round_mode_16_64 0
		.amdhsa_float_denorm_mode_32 3
		.amdhsa_float_denorm_mode_16_64 3
		.amdhsa_dx10_clamp 1
		.amdhsa_ieee_mode 1
		.amdhsa_fp16_overflow 0
		.amdhsa_workgroup_processor_mode 1
		.amdhsa_memory_ordered 1
		.amdhsa_forward_progress 1
		.amdhsa_shared_vgpr_count 0
		.amdhsa_exception_fp_ieee_invalid_op 0
		.amdhsa_exception_fp_denorm_src 0
		.amdhsa_exception_fp_ieee_div_zero 0
		.amdhsa_exception_fp_ieee_overflow 0
		.amdhsa_exception_fp_ieee_underflow 0
		.amdhsa_exception_fp_ieee_inexact 0
		.amdhsa_exception_int_div_zero 0
	.end_amdhsa_kernel
	.section	.text._ZN6thrust23THRUST_200600_302600_NS11hip_rocprim14__parallel_for6kernelILj256ENS1_11__transform17unary_transform_fINS0_7pointerINS0_5tupleIffNS0_9null_typeES8_S8_S8_S8_S8_S8_S8_EENS1_3tagENS0_11use_defaultESB_EENS0_10device_ptrIS9_EENS4_14no_stencil_tagENS0_8identityIS9_EENS4_21always_true_predicateEEElLj1EEEvT0_T1_SL_,"axG",@progbits,_ZN6thrust23THRUST_200600_302600_NS11hip_rocprim14__parallel_for6kernelILj256ENS1_11__transform17unary_transform_fINS0_7pointerINS0_5tupleIffNS0_9null_typeES8_S8_S8_S8_S8_S8_S8_EENS1_3tagENS0_11use_defaultESB_EENS0_10device_ptrIS9_EENS4_14no_stencil_tagENS0_8identityIS9_EENS4_21always_true_predicateEEElLj1EEEvT0_T1_SL_,comdat
.Lfunc_end2:
	.size	_ZN6thrust23THRUST_200600_302600_NS11hip_rocprim14__parallel_for6kernelILj256ENS1_11__transform17unary_transform_fINS0_7pointerINS0_5tupleIffNS0_9null_typeES8_S8_S8_S8_S8_S8_S8_EENS1_3tagENS0_11use_defaultESB_EENS0_10device_ptrIS9_EENS4_14no_stencil_tagENS0_8identityIS9_EENS4_21always_true_predicateEEElLj1EEEvT0_T1_SL_, .Lfunc_end2-_ZN6thrust23THRUST_200600_302600_NS11hip_rocprim14__parallel_for6kernelILj256ENS1_11__transform17unary_transform_fINS0_7pointerINS0_5tupleIffNS0_9null_typeES8_S8_S8_S8_S8_S8_S8_EENS1_3tagENS0_11use_defaultESB_EENS0_10device_ptrIS9_EENS4_14no_stencil_tagENS0_8identityIS9_EENS4_21always_true_predicateEEElLj1EEEvT0_T1_SL_
                                        ; -- End function
	.set _ZN6thrust23THRUST_200600_302600_NS11hip_rocprim14__parallel_for6kernelILj256ENS1_11__transform17unary_transform_fINS0_7pointerINS0_5tupleIffNS0_9null_typeES8_S8_S8_S8_S8_S8_S8_EENS1_3tagENS0_11use_defaultESB_EENS0_10device_ptrIS9_EENS4_14no_stencil_tagENS0_8identityIS9_EENS4_21always_true_predicateEEElLj1EEEvT0_T1_SL_.num_vgpr, 5
	.set _ZN6thrust23THRUST_200600_302600_NS11hip_rocprim14__parallel_for6kernelILj256ENS1_11__transform17unary_transform_fINS0_7pointerINS0_5tupleIffNS0_9null_typeES8_S8_S8_S8_S8_S8_S8_EENS1_3tagENS0_11use_defaultESB_EENS0_10device_ptrIS9_EENS4_14no_stencil_tagENS0_8identityIS9_EENS4_21always_true_predicateEEElLj1EEEvT0_T1_SL_.num_agpr, 0
	.set _ZN6thrust23THRUST_200600_302600_NS11hip_rocprim14__parallel_for6kernelILj256ENS1_11__transform17unary_transform_fINS0_7pointerINS0_5tupleIffNS0_9null_typeES8_S8_S8_S8_S8_S8_S8_EENS1_3tagENS0_11use_defaultESB_EENS0_10device_ptrIS9_EENS4_14no_stencil_tagENS0_8identityIS9_EENS4_21always_true_predicateEEElLj1EEEvT0_T1_SL_.numbered_sgpr, 12
	.set _ZN6thrust23THRUST_200600_302600_NS11hip_rocprim14__parallel_for6kernelILj256ENS1_11__transform17unary_transform_fINS0_7pointerINS0_5tupleIffNS0_9null_typeES8_S8_S8_S8_S8_S8_S8_EENS1_3tagENS0_11use_defaultESB_EENS0_10device_ptrIS9_EENS4_14no_stencil_tagENS0_8identityIS9_EENS4_21always_true_predicateEEElLj1EEEvT0_T1_SL_.num_named_barrier, 0
	.set _ZN6thrust23THRUST_200600_302600_NS11hip_rocprim14__parallel_for6kernelILj256ENS1_11__transform17unary_transform_fINS0_7pointerINS0_5tupleIffNS0_9null_typeES8_S8_S8_S8_S8_S8_S8_EENS1_3tagENS0_11use_defaultESB_EENS0_10device_ptrIS9_EENS4_14no_stencil_tagENS0_8identityIS9_EENS4_21always_true_predicateEEElLj1EEEvT0_T1_SL_.private_seg_size, 0
	.set _ZN6thrust23THRUST_200600_302600_NS11hip_rocprim14__parallel_for6kernelILj256ENS1_11__transform17unary_transform_fINS0_7pointerINS0_5tupleIffNS0_9null_typeES8_S8_S8_S8_S8_S8_S8_EENS1_3tagENS0_11use_defaultESB_EENS0_10device_ptrIS9_EENS4_14no_stencil_tagENS0_8identityIS9_EENS4_21always_true_predicateEEElLj1EEEvT0_T1_SL_.uses_vcc, 1
	.set _ZN6thrust23THRUST_200600_302600_NS11hip_rocprim14__parallel_for6kernelILj256ENS1_11__transform17unary_transform_fINS0_7pointerINS0_5tupleIffNS0_9null_typeES8_S8_S8_S8_S8_S8_S8_EENS1_3tagENS0_11use_defaultESB_EENS0_10device_ptrIS9_EENS4_14no_stencil_tagENS0_8identityIS9_EENS4_21always_true_predicateEEElLj1EEEvT0_T1_SL_.uses_flat_scratch, 0
	.set _ZN6thrust23THRUST_200600_302600_NS11hip_rocprim14__parallel_for6kernelILj256ENS1_11__transform17unary_transform_fINS0_7pointerINS0_5tupleIffNS0_9null_typeES8_S8_S8_S8_S8_S8_S8_EENS1_3tagENS0_11use_defaultESB_EENS0_10device_ptrIS9_EENS4_14no_stencil_tagENS0_8identityIS9_EENS4_21always_true_predicateEEElLj1EEEvT0_T1_SL_.has_dyn_sized_stack, 0
	.set _ZN6thrust23THRUST_200600_302600_NS11hip_rocprim14__parallel_for6kernelILj256ENS1_11__transform17unary_transform_fINS0_7pointerINS0_5tupleIffNS0_9null_typeES8_S8_S8_S8_S8_S8_S8_EENS1_3tagENS0_11use_defaultESB_EENS0_10device_ptrIS9_EENS4_14no_stencil_tagENS0_8identityIS9_EENS4_21always_true_predicateEEElLj1EEEvT0_T1_SL_.has_recursion, 0
	.set _ZN6thrust23THRUST_200600_302600_NS11hip_rocprim14__parallel_for6kernelILj256ENS1_11__transform17unary_transform_fINS0_7pointerINS0_5tupleIffNS0_9null_typeES8_S8_S8_S8_S8_S8_S8_EENS1_3tagENS0_11use_defaultESB_EENS0_10device_ptrIS9_EENS4_14no_stencil_tagENS0_8identityIS9_EENS4_21always_true_predicateEEElLj1EEEvT0_T1_SL_.has_indirect_call, 0
	.section	.AMDGPU.csdata,"",@progbits
; Kernel info:
; codeLenInByte = 272
; TotalNumSgprs: 14
; NumVgprs: 5
; ScratchSize: 0
; MemoryBound: 0
; FloatMode: 240
; IeeeMode: 1
; LDSByteSize: 0 bytes/workgroup (compile time only)
; SGPRBlocks: 0
; VGPRBlocks: 0
; NumSGPRsForWavesPerEU: 14
; NumVGPRsForWavesPerEU: 5
; Occupancy: 16
; WaveLimiterHint : 0
; COMPUTE_PGM_RSRC2:SCRATCH_EN: 0
; COMPUTE_PGM_RSRC2:USER_SGPR: 6
; COMPUTE_PGM_RSRC2:TRAP_HANDLER: 0
; COMPUTE_PGM_RSRC2:TGID_X_EN: 1
; COMPUTE_PGM_RSRC2:TGID_Y_EN: 0
; COMPUTE_PGM_RSRC2:TGID_Z_EN: 0
; COMPUTE_PGM_RSRC2:TIDIG_COMP_CNT: 0
	.section	.text._ZN6thrust23THRUST_200600_302600_NS11hip_rocprim14__parallel_for6kernelILj256ENS1_20__uninitialized_copy7functorINS0_7pointerINS0_5tupleIffNS0_9null_typeES8_S8_S8_S8_S8_S8_S8_EENS1_3tagENS0_11use_defaultESB_EESC_EEmLj1EEEvT0_T1_SF_,"axG",@progbits,_ZN6thrust23THRUST_200600_302600_NS11hip_rocprim14__parallel_for6kernelILj256ENS1_20__uninitialized_copy7functorINS0_7pointerINS0_5tupleIffNS0_9null_typeES8_S8_S8_S8_S8_S8_S8_EENS1_3tagENS0_11use_defaultESB_EESC_EEmLj1EEEvT0_T1_SF_,comdat
	.protected	_ZN6thrust23THRUST_200600_302600_NS11hip_rocprim14__parallel_for6kernelILj256ENS1_20__uninitialized_copy7functorINS0_7pointerINS0_5tupleIffNS0_9null_typeES8_S8_S8_S8_S8_S8_S8_EENS1_3tagENS0_11use_defaultESB_EESC_EEmLj1EEEvT0_T1_SF_ ; -- Begin function _ZN6thrust23THRUST_200600_302600_NS11hip_rocprim14__parallel_for6kernelILj256ENS1_20__uninitialized_copy7functorINS0_7pointerINS0_5tupleIffNS0_9null_typeES8_S8_S8_S8_S8_S8_S8_EENS1_3tagENS0_11use_defaultESB_EESC_EEmLj1EEEvT0_T1_SF_
	.globl	_ZN6thrust23THRUST_200600_302600_NS11hip_rocprim14__parallel_for6kernelILj256ENS1_20__uninitialized_copy7functorINS0_7pointerINS0_5tupleIffNS0_9null_typeES8_S8_S8_S8_S8_S8_S8_EENS1_3tagENS0_11use_defaultESB_EESC_EEmLj1EEEvT0_T1_SF_
	.p2align	8
	.type	_ZN6thrust23THRUST_200600_302600_NS11hip_rocprim14__parallel_for6kernelILj256ENS1_20__uninitialized_copy7functorINS0_7pointerINS0_5tupleIffNS0_9null_typeES8_S8_S8_S8_S8_S8_S8_EENS1_3tagENS0_11use_defaultESB_EESC_EEmLj1EEEvT0_T1_SF_,@function
_ZN6thrust23THRUST_200600_302600_NS11hip_rocprim14__parallel_for6kernelILj256ENS1_20__uninitialized_copy7functorINS0_7pointerINS0_5tupleIffNS0_9null_typeES8_S8_S8_S8_S8_S8_S8_EENS1_3tagENS0_11use_defaultESB_EESC_EEmLj1EEEvT0_T1_SF_: ; @_ZN6thrust23THRUST_200600_302600_NS11hip_rocprim14__parallel_for6kernelILj256ENS1_20__uninitialized_copy7functorINS0_7pointerINS0_5tupleIffNS0_9null_typeES8_S8_S8_S8_S8_S8_S8_EENS1_3tagENS0_11use_defaultESB_EESC_EEmLj1EEEvT0_T1_SF_
; %bb.0:
	s_load_dwordx8 s[8:15], s[4:5], 0x0
	s_lshl_b32 s0, s6, 8
	s_waitcnt lgkmcnt(0)
	s_add_u32 s2, s14, s0
	s_addc_u32 s3, s15, 0
	s_sub_u32 s0, s12, s2
	s_subb_u32 s1, s13, s3
	v_cmp_lt_u64_e64 s1, 0xff, s[0:1]
	s_and_b32 vcc_lo, exec_lo, s1
	s_mov_b32 s1, -1
	s_cbranch_vccz .LBB3_3
; %bb.1:
	s_andn2_b32 vcc_lo, exec_lo, s1
	s_cbranch_vccz .LBB3_6
.LBB3_2:
	s_endpgm
.LBB3_3:
	v_cmp_gt_u32_e32 vcc_lo, s0, v0
	s_and_saveexec_b32 s0, vcc_lo
	s_cbranch_execz .LBB3_5
; %bb.4:
	v_add_co_u32 v1, s1, s2, v0
	v_add_co_ci_u32_e64 v2, null, s3, 0, s1
	v_lshlrev_b64 v[1:2], 3, v[1:2]
	v_add_co_u32 v3, vcc_lo, s8, v1
	v_add_co_ci_u32_e64 v4, null, s9, v2, vcc_lo
	v_add_co_u32 v1, vcc_lo, s10, v1
	v_add_co_ci_u32_e64 v2, null, s11, v2, vcc_lo
	flat_load_dwordx2 v[3:4], v[3:4]
	s_waitcnt vmcnt(0) lgkmcnt(0)
	flat_store_dwordx2 v[1:2], v[3:4]
.LBB3_5:
	s_or_b32 exec_lo, exec_lo, s0
	s_cbranch_execnz .LBB3_2
.LBB3_6:
	v_add_co_u32 v0, s0, s2, v0
	v_add_co_ci_u32_e64 v1, null, s3, 0, s0
	v_lshlrev_b64 v[0:1], 3, v[0:1]
	v_add_co_u32 v2, vcc_lo, s8, v0
	v_add_co_ci_u32_e64 v3, null, s9, v1, vcc_lo
	v_add_co_u32 v0, vcc_lo, s10, v0
	v_add_co_ci_u32_e64 v1, null, s11, v1, vcc_lo
	flat_load_dwordx2 v[2:3], v[2:3]
	s_waitcnt vmcnt(0) lgkmcnt(0)
	flat_store_dwordx2 v[0:1], v[2:3]
	s_endpgm
	.section	.rodata,"a",@progbits
	.p2align	6, 0x0
	.amdhsa_kernel _ZN6thrust23THRUST_200600_302600_NS11hip_rocprim14__parallel_for6kernelILj256ENS1_20__uninitialized_copy7functorINS0_7pointerINS0_5tupleIffNS0_9null_typeES8_S8_S8_S8_S8_S8_S8_EENS1_3tagENS0_11use_defaultESB_EESC_EEmLj1EEEvT0_T1_SF_
		.amdhsa_group_segment_fixed_size 0
		.amdhsa_private_segment_fixed_size 0
		.amdhsa_kernarg_size 32
		.amdhsa_user_sgpr_count 6
		.amdhsa_user_sgpr_private_segment_buffer 1
		.amdhsa_user_sgpr_dispatch_ptr 0
		.amdhsa_user_sgpr_queue_ptr 0
		.amdhsa_user_sgpr_kernarg_segment_ptr 1
		.amdhsa_user_sgpr_dispatch_id 0
		.amdhsa_user_sgpr_flat_scratch_init 0
		.amdhsa_user_sgpr_private_segment_size 0
		.amdhsa_wavefront_size32 1
		.amdhsa_uses_dynamic_stack 0
		.amdhsa_system_sgpr_private_segment_wavefront_offset 0
		.amdhsa_system_sgpr_workgroup_id_x 1
		.amdhsa_system_sgpr_workgroup_id_y 0
		.amdhsa_system_sgpr_workgroup_id_z 0
		.amdhsa_system_sgpr_workgroup_info 0
		.amdhsa_system_vgpr_workitem_id 0
		.amdhsa_next_free_vgpr 5
		.amdhsa_next_free_sgpr 16
		.amdhsa_reserve_vcc 1
		.amdhsa_reserve_flat_scratch 0
		.amdhsa_float_round_mode_32 0
		.amdhsa_float_round_mode_16_64 0
		.amdhsa_float_denorm_mode_32 3
		.amdhsa_float_denorm_mode_16_64 3
		.amdhsa_dx10_clamp 1
		.amdhsa_ieee_mode 1
		.amdhsa_fp16_overflow 0
		.amdhsa_workgroup_processor_mode 1
		.amdhsa_memory_ordered 1
		.amdhsa_forward_progress 1
		.amdhsa_shared_vgpr_count 0
		.amdhsa_exception_fp_ieee_invalid_op 0
		.amdhsa_exception_fp_denorm_src 0
		.amdhsa_exception_fp_ieee_div_zero 0
		.amdhsa_exception_fp_ieee_overflow 0
		.amdhsa_exception_fp_ieee_underflow 0
		.amdhsa_exception_fp_ieee_inexact 0
		.amdhsa_exception_int_div_zero 0
	.end_amdhsa_kernel
	.section	.text._ZN6thrust23THRUST_200600_302600_NS11hip_rocprim14__parallel_for6kernelILj256ENS1_20__uninitialized_copy7functorINS0_7pointerINS0_5tupleIffNS0_9null_typeES8_S8_S8_S8_S8_S8_S8_EENS1_3tagENS0_11use_defaultESB_EESC_EEmLj1EEEvT0_T1_SF_,"axG",@progbits,_ZN6thrust23THRUST_200600_302600_NS11hip_rocprim14__parallel_for6kernelILj256ENS1_20__uninitialized_copy7functorINS0_7pointerINS0_5tupleIffNS0_9null_typeES8_S8_S8_S8_S8_S8_S8_EENS1_3tagENS0_11use_defaultESB_EESC_EEmLj1EEEvT0_T1_SF_,comdat
.Lfunc_end3:
	.size	_ZN6thrust23THRUST_200600_302600_NS11hip_rocprim14__parallel_for6kernelILj256ENS1_20__uninitialized_copy7functorINS0_7pointerINS0_5tupleIffNS0_9null_typeES8_S8_S8_S8_S8_S8_S8_EENS1_3tagENS0_11use_defaultESB_EESC_EEmLj1EEEvT0_T1_SF_, .Lfunc_end3-_ZN6thrust23THRUST_200600_302600_NS11hip_rocprim14__parallel_for6kernelILj256ENS1_20__uninitialized_copy7functorINS0_7pointerINS0_5tupleIffNS0_9null_typeES8_S8_S8_S8_S8_S8_S8_EENS1_3tagENS0_11use_defaultESB_EESC_EEmLj1EEEvT0_T1_SF_
                                        ; -- End function
	.set _ZN6thrust23THRUST_200600_302600_NS11hip_rocprim14__parallel_for6kernelILj256ENS1_20__uninitialized_copy7functorINS0_7pointerINS0_5tupleIffNS0_9null_typeES8_S8_S8_S8_S8_S8_S8_EENS1_3tagENS0_11use_defaultESB_EESC_EEmLj1EEEvT0_T1_SF_.num_vgpr, 5
	.set _ZN6thrust23THRUST_200600_302600_NS11hip_rocprim14__parallel_for6kernelILj256ENS1_20__uninitialized_copy7functorINS0_7pointerINS0_5tupleIffNS0_9null_typeES8_S8_S8_S8_S8_S8_S8_EENS1_3tagENS0_11use_defaultESB_EESC_EEmLj1EEEvT0_T1_SF_.num_agpr, 0
	.set _ZN6thrust23THRUST_200600_302600_NS11hip_rocprim14__parallel_for6kernelILj256ENS1_20__uninitialized_copy7functorINS0_7pointerINS0_5tupleIffNS0_9null_typeES8_S8_S8_S8_S8_S8_S8_EENS1_3tagENS0_11use_defaultESB_EESC_EEmLj1EEEvT0_T1_SF_.numbered_sgpr, 16
	.set _ZN6thrust23THRUST_200600_302600_NS11hip_rocprim14__parallel_for6kernelILj256ENS1_20__uninitialized_copy7functorINS0_7pointerINS0_5tupleIffNS0_9null_typeES8_S8_S8_S8_S8_S8_S8_EENS1_3tagENS0_11use_defaultESB_EESC_EEmLj1EEEvT0_T1_SF_.num_named_barrier, 0
	.set _ZN6thrust23THRUST_200600_302600_NS11hip_rocprim14__parallel_for6kernelILj256ENS1_20__uninitialized_copy7functorINS0_7pointerINS0_5tupleIffNS0_9null_typeES8_S8_S8_S8_S8_S8_S8_EENS1_3tagENS0_11use_defaultESB_EESC_EEmLj1EEEvT0_T1_SF_.private_seg_size, 0
	.set _ZN6thrust23THRUST_200600_302600_NS11hip_rocprim14__parallel_for6kernelILj256ENS1_20__uninitialized_copy7functorINS0_7pointerINS0_5tupleIffNS0_9null_typeES8_S8_S8_S8_S8_S8_S8_EENS1_3tagENS0_11use_defaultESB_EESC_EEmLj1EEEvT0_T1_SF_.uses_vcc, 1
	.set _ZN6thrust23THRUST_200600_302600_NS11hip_rocprim14__parallel_for6kernelILj256ENS1_20__uninitialized_copy7functorINS0_7pointerINS0_5tupleIffNS0_9null_typeES8_S8_S8_S8_S8_S8_S8_EENS1_3tagENS0_11use_defaultESB_EESC_EEmLj1EEEvT0_T1_SF_.uses_flat_scratch, 0
	.set _ZN6thrust23THRUST_200600_302600_NS11hip_rocprim14__parallel_for6kernelILj256ENS1_20__uninitialized_copy7functorINS0_7pointerINS0_5tupleIffNS0_9null_typeES8_S8_S8_S8_S8_S8_S8_EENS1_3tagENS0_11use_defaultESB_EESC_EEmLj1EEEvT0_T1_SF_.has_dyn_sized_stack, 0
	.set _ZN6thrust23THRUST_200600_302600_NS11hip_rocprim14__parallel_for6kernelILj256ENS1_20__uninitialized_copy7functorINS0_7pointerINS0_5tupleIffNS0_9null_typeES8_S8_S8_S8_S8_S8_S8_EENS1_3tagENS0_11use_defaultESB_EESC_EEmLj1EEEvT0_T1_SF_.has_recursion, 0
	.set _ZN6thrust23THRUST_200600_302600_NS11hip_rocprim14__parallel_for6kernelILj256ENS1_20__uninitialized_copy7functorINS0_7pointerINS0_5tupleIffNS0_9null_typeES8_S8_S8_S8_S8_S8_S8_EENS1_3tagENS0_11use_defaultESB_EESC_EEmLj1EEEvT0_T1_SF_.has_indirect_call, 0
	.section	.AMDGPU.csdata,"",@progbits
; Kernel info:
; codeLenInByte = 244
; TotalNumSgprs: 18
; NumVgprs: 5
; ScratchSize: 0
; MemoryBound: 0
; FloatMode: 240
; IeeeMode: 1
; LDSByteSize: 0 bytes/workgroup (compile time only)
; SGPRBlocks: 0
; VGPRBlocks: 0
; NumSGPRsForWavesPerEU: 18
; NumVGPRsForWavesPerEU: 5
; Occupancy: 16
; WaveLimiterHint : 0
; COMPUTE_PGM_RSRC2:SCRATCH_EN: 0
; COMPUTE_PGM_RSRC2:USER_SGPR: 6
; COMPUTE_PGM_RSRC2:TRAP_HANDLER: 0
; COMPUTE_PGM_RSRC2:TGID_X_EN: 1
; COMPUTE_PGM_RSRC2:TGID_Y_EN: 0
; COMPUTE_PGM_RSRC2:TGID_Z_EN: 0
; COMPUTE_PGM_RSRC2:TIDIG_COMP_CNT: 0
	.section	.text._ZN6thrust23THRUST_200600_302600_NS11hip_rocprim14__parallel_for6kernelILj256ENS1_10for_each_fINS0_10device_ptrINS0_5tupleIffNS0_9null_typeES7_S7_S7_S7_S7_S7_S7_EEEENS0_6detail16wrapped_functionINSA_23allocator_traits_detail5gozerEvEEEElLj1EEEvT0_T1_SH_,"axG",@progbits,_ZN6thrust23THRUST_200600_302600_NS11hip_rocprim14__parallel_for6kernelILj256ENS1_10for_each_fINS0_10device_ptrINS0_5tupleIffNS0_9null_typeES7_S7_S7_S7_S7_S7_S7_EEEENS0_6detail16wrapped_functionINSA_23allocator_traits_detail5gozerEvEEEElLj1EEEvT0_T1_SH_,comdat
	.protected	_ZN6thrust23THRUST_200600_302600_NS11hip_rocprim14__parallel_for6kernelILj256ENS1_10for_each_fINS0_10device_ptrINS0_5tupleIffNS0_9null_typeES7_S7_S7_S7_S7_S7_S7_EEEENS0_6detail16wrapped_functionINSA_23allocator_traits_detail5gozerEvEEEElLj1EEEvT0_T1_SH_ ; -- Begin function _ZN6thrust23THRUST_200600_302600_NS11hip_rocprim14__parallel_for6kernelILj256ENS1_10for_each_fINS0_10device_ptrINS0_5tupleIffNS0_9null_typeES7_S7_S7_S7_S7_S7_S7_EEEENS0_6detail16wrapped_functionINSA_23allocator_traits_detail5gozerEvEEEElLj1EEEvT0_T1_SH_
	.globl	_ZN6thrust23THRUST_200600_302600_NS11hip_rocprim14__parallel_for6kernelILj256ENS1_10for_each_fINS0_10device_ptrINS0_5tupleIffNS0_9null_typeES7_S7_S7_S7_S7_S7_S7_EEEENS0_6detail16wrapped_functionINSA_23allocator_traits_detail5gozerEvEEEElLj1EEEvT0_T1_SH_
	.p2align	8
	.type	_ZN6thrust23THRUST_200600_302600_NS11hip_rocprim14__parallel_for6kernelILj256ENS1_10for_each_fINS0_10device_ptrINS0_5tupleIffNS0_9null_typeES7_S7_S7_S7_S7_S7_S7_EEEENS0_6detail16wrapped_functionINSA_23allocator_traits_detail5gozerEvEEEElLj1EEEvT0_T1_SH_,@function
_ZN6thrust23THRUST_200600_302600_NS11hip_rocprim14__parallel_for6kernelILj256ENS1_10for_each_fINS0_10device_ptrINS0_5tupleIffNS0_9null_typeES7_S7_S7_S7_S7_S7_S7_EEEENS0_6detail16wrapped_functionINSA_23allocator_traits_detail5gozerEvEEEElLj1EEEvT0_T1_SH_: ; @_ZN6thrust23THRUST_200600_302600_NS11hip_rocprim14__parallel_for6kernelILj256ENS1_10for_each_fINS0_10device_ptrINS0_5tupleIffNS0_9null_typeES7_S7_S7_S7_S7_S7_S7_EEEENS0_6detail16wrapped_functionINSA_23allocator_traits_detail5gozerEvEEEElLj1EEEvT0_T1_SH_
; %bb.0:
	s_endpgm
	.section	.rodata,"a",@progbits
	.p2align	6, 0x0
	.amdhsa_kernel _ZN6thrust23THRUST_200600_302600_NS11hip_rocprim14__parallel_for6kernelILj256ENS1_10for_each_fINS0_10device_ptrINS0_5tupleIffNS0_9null_typeES7_S7_S7_S7_S7_S7_S7_EEEENS0_6detail16wrapped_functionINSA_23allocator_traits_detail5gozerEvEEEElLj1EEEvT0_T1_SH_
		.amdhsa_group_segment_fixed_size 0
		.amdhsa_private_segment_fixed_size 0
		.amdhsa_kernarg_size 32
		.amdhsa_user_sgpr_count 6
		.amdhsa_user_sgpr_private_segment_buffer 1
		.amdhsa_user_sgpr_dispatch_ptr 0
		.amdhsa_user_sgpr_queue_ptr 0
		.amdhsa_user_sgpr_kernarg_segment_ptr 1
		.amdhsa_user_sgpr_dispatch_id 0
		.amdhsa_user_sgpr_flat_scratch_init 0
		.amdhsa_user_sgpr_private_segment_size 0
		.amdhsa_wavefront_size32 1
		.amdhsa_uses_dynamic_stack 0
		.amdhsa_system_sgpr_private_segment_wavefront_offset 0
		.amdhsa_system_sgpr_workgroup_id_x 1
		.amdhsa_system_sgpr_workgroup_id_y 0
		.amdhsa_system_sgpr_workgroup_id_z 0
		.amdhsa_system_sgpr_workgroup_info 0
		.amdhsa_system_vgpr_workitem_id 0
		.amdhsa_next_free_vgpr 1
		.amdhsa_next_free_sgpr 1
		.amdhsa_reserve_vcc 0
		.amdhsa_reserve_flat_scratch 0
		.amdhsa_float_round_mode_32 0
		.amdhsa_float_round_mode_16_64 0
		.amdhsa_float_denorm_mode_32 3
		.amdhsa_float_denorm_mode_16_64 3
		.amdhsa_dx10_clamp 1
		.amdhsa_ieee_mode 1
		.amdhsa_fp16_overflow 0
		.amdhsa_workgroup_processor_mode 1
		.amdhsa_memory_ordered 1
		.amdhsa_forward_progress 1
		.amdhsa_shared_vgpr_count 0
		.amdhsa_exception_fp_ieee_invalid_op 0
		.amdhsa_exception_fp_denorm_src 0
		.amdhsa_exception_fp_ieee_div_zero 0
		.amdhsa_exception_fp_ieee_overflow 0
		.amdhsa_exception_fp_ieee_underflow 0
		.amdhsa_exception_fp_ieee_inexact 0
		.amdhsa_exception_int_div_zero 0
	.end_amdhsa_kernel
	.section	.text._ZN6thrust23THRUST_200600_302600_NS11hip_rocprim14__parallel_for6kernelILj256ENS1_10for_each_fINS0_10device_ptrINS0_5tupleIffNS0_9null_typeES7_S7_S7_S7_S7_S7_S7_EEEENS0_6detail16wrapped_functionINSA_23allocator_traits_detail5gozerEvEEEElLj1EEEvT0_T1_SH_,"axG",@progbits,_ZN6thrust23THRUST_200600_302600_NS11hip_rocprim14__parallel_for6kernelILj256ENS1_10for_each_fINS0_10device_ptrINS0_5tupleIffNS0_9null_typeES7_S7_S7_S7_S7_S7_S7_EEEENS0_6detail16wrapped_functionINSA_23allocator_traits_detail5gozerEvEEEElLj1EEEvT0_T1_SH_,comdat
.Lfunc_end4:
	.size	_ZN6thrust23THRUST_200600_302600_NS11hip_rocprim14__parallel_for6kernelILj256ENS1_10for_each_fINS0_10device_ptrINS0_5tupleIffNS0_9null_typeES7_S7_S7_S7_S7_S7_S7_EEEENS0_6detail16wrapped_functionINSA_23allocator_traits_detail5gozerEvEEEElLj1EEEvT0_T1_SH_, .Lfunc_end4-_ZN6thrust23THRUST_200600_302600_NS11hip_rocprim14__parallel_for6kernelILj256ENS1_10for_each_fINS0_10device_ptrINS0_5tupleIffNS0_9null_typeES7_S7_S7_S7_S7_S7_S7_EEEENS0_6detail16wrapped_functionINSA_23allocator_traits_detail5gozerEvEEEElLj1EEEvT0_T1_SH_
                                        ; -- End function
	.set _ZN6thrust23THRUST_200600_302600_NS11hip_rocprim14__parallel_for6kernelILj256ENS1_10for_each_fINS0_10device_ptrINS0_5tupleIffNS0_9null_typeES7_S7_S7_S7_S7_S7_S7_EEEENS0_6detail16wrapped_functionINSA_23allocator_traits_detail5gozerEvEEEElLj1EEEvT0_T1_SH_.num_vgpr, 0
	.set _ZN6thrust23THRUST_200600_302600_NS11hip_rocprim14__parallel_for6kernelILj256ENS1_10for_each_fINS0_10device_ptrINS0_5tupleIffNS0_9null_typeES7_S7_S7_S7_S7_S7_S7_EEEENS0_6detail16wrapped_functionINSA_23allocator_traits_detail5gozerEvEEEElLj1EEEvT0_T1_SH_.num_agpr, 0
	.set _ZN6thrust23THRUST_200600_302600_NS11hip_rocprim14__parallel_for6kernelILj256ENS1_10for_each_fINS0_10device_ptrINS0_5tupleIffNS0_9null_typeES7_S7_S7_S7_S7_S7_S7_EEEENS0_6detail16wrapped_functionINSA_23allocator_traits_detail5gozerEvEEEElLj1EEEvT0_T1_SH_.numbered_sgpr, 0
	.set _ZN6thrust23THRUST_200600_302600_NS11hip_rocprim14__parallel_for6kernelILj256ENS1_10for_each_fINS0_10device_ptrINS0_5tupleIffNS0_9null_typeES7_S7_S7_S7_S7_S7_S7_EEEENS0_6detail16wrapped_functionINSA_23allocator_traits_detail5gozerEvEEEElLj1EEEvT0_T1_SH_.num_named_barrier, 0
	.set _ZN6thrust23THRUST_200600_302600_NS11hip_rocprim14__parallel_for6kernelILj256ENS1_10for_each_fINS0_10device_ptrINS0_5tupleIffNS0_9null_typeES7_S7_S7_S7_S7_S7_S7_EEEENS0_6detail16wrapped_functionINSA_23allocator_traits_detail5gozerEvEEEElLj1EEEvT0_T1_SH_.private_seg_size, 0
	.set _ZN6thrust23THRUST_200600_302600_NS11hip_rocprim14__parallel_for6kernelILj256ENS1_10for_each_fINS0_10device_ptrINS0_5tupleIffNS0_9null_typeES7_S7_S7_S7_S7_S7_S7_EEEENS0_6detail16wrapped_functionINSA_23allocator_traits_detail5gozerEvEEEElLj1EEEvT0_T1_SH_.uses_vcc, 0
	.set _ZN6thrust23THRUST_200600_302600_NS11hip_rocprim14__parallel_for6kernelILj256ENS1_10for_each_fINS0_10device_ptrINS0_5tupleIffNS0_9null_typeES7_S7_S7_S7_S7_S7_S7_EEEENS0_6detail16wrapped_functionINSA_23allocator_traits_detail5gozerEvEEEElLj1EEEvT0_T1_SH_.uses_flat_scratch, 0
	.set _ZN6thrust23THRUST_200600_302600_NS11hip_rocprim14__parallel_for6kernelILj256ENS1_10for_each_fINS0_10device_ptrINS0_5tupleIffNS0_9null_typeES7_S7_S7_S7_S7_S7_S7_EEEENS0_6detail16wrapped_functionINSA_23allocator_traits_detail5gozerEvEEEElLj1EEEvT0_T1_SH_.has_dyn_sized_stack, 0
	.set _ZN6thrust23THRUST_200600_302600_NS11hip_rocprim14__parallel_for6kernelILj256ENS1_10for_each_fINS0_10device_ptrINS0_5tupleIffNS0_9null_typeES7_S7_S7_S7_S7_S7_S7_EEEENS0_6detail16wrapped_functionINSA_23allocator_traits_detail5gozerEvEEEElLj1EEEvT0_T1_SH_.has_recursion, 0
	.set _ZN6thrust23THRUST_200600_302600_NS11hip_rocprim14__parallel_for6kernelILj256ENS1_10for_each_fINS0_10device_ptrINS0_5tupleIffNS0_9null_typeES7_S7_S7_S7_S7_S7_S7_EEEENS0_6detail16wrapped_functionINSA_23allocator_traits_detail5gozerEvEEEElLj1EEEvT0_T1_SH_.has_indirect_call, 0
	.section	.AMDGPU.csdata,"",@progbits
; Kernel info:
; codeLenInByte = 4
; TotalNumSgprs: 0
; NumVgprs: 0
; ScratchSize: 0
; MemoryBound: 0
; FloatMode: 240
; IeeeMode: 1
; LDSByteSize: 0 bytes/workgroup (compile time only)
; SGPRBlocks: 0
; VGPRBlocks: 0
; NumSGPRsForWavesPerEU: 1
; NumVGPRsForWavesPerEU: 1
; Occupancy: 16
; WaveLimiterHint : 0
; COMPUTE_PGM_RSRC2:SCRATCH_EN: 0
; COMPUTE_PGM_RSRC2:USER_SGPR: 6
; COMPUTE_PGM_RSRC2:TRAP_HANDLER: 0
; COMPUTE_PGM_RSRC2:TGID_X_EN: 1
; COMPUTE_PGM_RSRC2:TGID_Y_EN: 0
; COMPUTE_PGM_RSRC2:TGID_Z_EN: 0
; COMPUTE_PGM_RSRC2:TIDIG_COMP_CNT: 0
	.section	.text._ZN6thrust23THRUST_200600_302600_NS11hip_rocprim14__parallel_for6kernelILj256ENS1_20__uninitialized_fill7functorINS0_10device_ptrIjEEjEEmLj1EEEvT0_T1_SA_,"axG",@progbits,_ZN6thrust23THRUST_200600_302600_NS11hip_rocprim14__parallel_for6kernelILj256ENS1_20__uninitialized_fill7functorINS0_10device_ptrIjEEjEEmLj1EEEvT0_T1_SA_,comdat
	.protected	_ZN6thrust23THRUST_200600_302600_NS11hip_rocprim14__parallel_for6kernelILj256ENS1_20__uninitialized_fill7functorINS0_10device_ptrIjEEjEEmLj1EEEvT0_T1_SA_ ; -- Begin function _ZN6thrust23THRUST_200600_302600_NS11hip_rocprim14__parallel_for6kernelILj256ENS1_20__uninitialized_fill7functorINS0_10device_ptrIjEEjEEmLj1EEEvT0_T1_SA_
	.globl	_ZN6thrust23THRUST_200600_302600_NS11hip_rocprim14__parallel_for6kernelILj256ENS1_20__uninitialized_fill7functorINS0_10device_ptrIjEEjEEmLj1EEEvT0_T1_SA_
	.p2align	8
	.type	_ZN6thrust23THRUST_200600_302600_NS11hip_rocprim14__parallel_for6kernelILj256ENS1_20__uninitialized_fill7functorINS0_10device_ptrIjEEjEEmLj1EEEvT0_T1_SA_,@function
_ZN6thrust23THRUST_200600_302600_NS11hip_rocprim14__parallel_for6kernelILj256ENS1_20__uninitialized_fill7functorINS0_10device_ptrIjEEjEEmLj1EEEvT0_T1_SA_: ; @_ZN6thrust23THRUST_200600_302600_NS11hip_rocprim14__parallel_for6kernelILj256ENS1_20__uninitialized_fill7functorINS0_10device_ptrIjEEjEEmLj1EEEvT0_T1_SA_
; %bb.0:
	s_clause 0x2
	s_load_dwordx4 s[8:11], s[4:5], 0x10
	s_load_dwordx2 s[0:1], s[4:5], 0x0
	s_load_dword s7, s[4:5], 0x8
	s_lshl_b32 s2, s6, 8
	s_waitcnt lgkmcnt(0)
	s_add_u32 s2, s10, s2
	s_addc_u32 s3, s11, 0
	s_sub_u32 s4, s8, s2
	s_subb_u32 s5, s9, s3
	v_cmp_lt_u64_e64 s5, 0xff, s[4:5]
	s_and_b32 vcc_lo, exec_lo, s5
	s_mov_b32 s5, -1
	s_cbranch_vccz .LBB5_3
; %bb.1:
	s_andn2_b32 vcc_lo, exec_lo, s5
	s_cbranch_vccz .LBB5_6
.LBB5_2:
	s_endpgm
.LBB5_3:
	v_cmp_gt_u32_e32 vcc_lo, s4, v0
	s_and_saveexec_b32 s4, vcc_lo
	s_cbranch_execz .LBB5_5
; %bb.4:
	v_lshlrev_b32_e32 v1, 2, v0
	s_lshl_b64 s[8:9], s[2:3], 2
	v_mov_b32_e32 v3, s7
	s_add_u32 s5, s0, s8
	s_addc_u32 s6, s1, s9
	v_add_co_u32 v1, s5, s5, v1
	v_add_co_ci_u32_e64 v2, null, s6, 0, s5
	flat_store_dword v[1:2], v3
.LBB5_5:
	s_or_b32 exec_lo, exec_lo, s4
	s_cbranch_execnz .LBB5_2
.LBB5_6:
	v_lshlrev_b32_e32 v0, 2, v0
	s_lshl_b64 s[2:3], s[2:3], 2
	v_mov_b32_e32 v2, s7
	s_add_u32 s0, s0, s2
	s_addc_u32 s1, s1, s3
	v_add_co_u32 v0, s0, s0, v0
	v_add_co_ci_u32_e64 v1, null, s1, 0, s0
	flat_store_dword v[0:1], v2
	s_endpgm
	.section	.rodata,"a",@progbits
	.p2align	6, 0x0
	.amdhsa_kernel _ZN6thrust23THRUST_200600_302600_NS11hip_rocprim14__parallel_for6kernelILj256ENS1_20__uninitialized_fill7functorINS0_10device_ptrIjEEjEEmLj1EEEvT0_T1_SA_
		.amdhsa_group_segment_fixed_size 0
		.amdhsa_private_segment_fixed_size 0
		.amdhsa_kernarg_size 32
		.amdhsa_user_sgpr_count 6
		.amdhsa_user_sgpr_private_segment_buffer 1
		.amdhsa_user_sgpr_dispatch_ptr 0
		.amdhsa_user_sgpr_queue_ptr 0
		.amdhsa_user_sgpr_kernarg_segment_ptr 1
		.amdhsa_user_sgpr_dispatch_id 0
		.amdhsa_user_sgpr_flat_scratch_init 0
		.amdhsa_user_sgpr_private_segment_size 0
		.amdhsa_wavefront_size32 1
		.amdhsa_uses_dynamic_stack 0
		.amdhsa_system_sgpr_private_segment_wavefront_offset 0
		.amdhsa_system_sgpr_workgroup_id_x 1
		.amdhsa_system_sgpr_workgroup_id_y 0
		.amdhsa_system_sgpr_workgroup_id_z 0
		.amdhsa_system_sgpr_workgroup_info 0
		.amdhsa_system_vgpr_workitem_id 0
		.amdhsa_next_free_vgpr 4
		.amdhsa_next_free_sgpr 12
		.amdhsa_reserve_vcc 1
		.amdhsa_reserve_flat_scratch 0
		.amdhsa_float_round_mode_32 0
		.amdhsa_float_round_mode_16_64 0
		.amdhsa_float_denorm_mode_32 3
		.amdhsa_float_denorm_mode_16_64 3
		.amdhsa_dx10_clamp 1
		.amdhsa_ieee_mode 1
		.amdhsa_fp16_overflow 0
		.amdhsa_workgroup_processor_mode 1
		.amdhsa_memory_ordered 1
		.amdhsa_forward_progress 1
		.amdhsa_shared_vgpr_count 0
		.amdhsa_exception_fp_ieee_invalid_op 0
		.amdhsa_exception_fp_denorm_src 0
		.amdhsa_exception_fp_ieee_div_zero 0
		.amdhsa_exception_fp_ieee_overflow 0
		.amdhsa_exception_fp_ieee_underflow 0
		.amdhsa_exception_fp_ieee_inexact 0
		.amdhsa_exception_int_div_zero 0
	.end_amdhsa_kernel
	.section	.text._ZN6thrust23THRUST_200600_302600_NS11hip_rocprim14__parallel_for6kernelILj256ENS1_20__uninitialized_fill7functorINS0_10device_ptrIjEEjEEmLj1EEEvT0_T1_SA_,"axG",@progbits,_ZN6thrust23THRUST_200600_302600_NS11hip_rocprim14__parallel_for6kernelILj256ENS1_20__uninitialized_fill7functorINS0_10device_ptrIjEEjEEmLj1EEEvT0_T1_SA_,comdat
.Lfunc_end5:
	.size	_ZN6thrust23THRUST_200600_302600_NS11hip_rocprim14__parallel_for6kernelILj256ENS1_20__uninitialized_fill7functorINS0_10device_ptrIjEEjEEmLj1EEEvT0_T1_SA_, .Lfunc_end5-_ZN6thrust23THRUST_200600_302600_NS11hip_rocprim14__parallel_for6kernelILj256ENS1_20__uninitialized_fill7functorINS0_10device_ptrIjEEjEEmLj1EEEvT0_T1_SA_
                                        ; -- End function
	.set _ZN6thrust23THRUST_200600_302600_NS11hip_rocprim14__parallel_for6kernelILj256ENS1_20__uninitialized_fill7functorINS0_10device_ptrIjEEjEEmLj1EEEvT0_T1_SA_.num_vgpr, 4
	.set _ZN6thrust23THRUST_200600_302600_NS11hip_rocprim14__parallel_for6kernelILj256ENS1_20__uninitialized_fill7functorINS0_10device_ptrIjEEjEEmLj1EEEvT0_T1_SA_.num_agpr, 0
	.set _ZN6thrust23THRUST_200600_302600_NS11hip_rocprim14__parallel_for6kernelILj256ENS1_20__uninitialized_fill7functorINS0_10device_ptrIjEEjEEmLj1EEEvT0_T1_SA_.numbered_sgpr, 12
	.set _ZN6thrust23THRUST_200600_302600_NS11hip_rocprim14__parallel_for6kernelILj256ENS1_20__uninitialized_fill7functorINS0_10device_ptrIjEEjEEmLj1EEEvT0_T1_SA_.num_named_barrier, 0
	.set _ZN6thrust23THRUST_200600_302600_NS11hip_rocprim14__parallel_for6kernelILj256ENS1_20__uninitialized_fill7functorINS0_10device_ptrIjEEjEEmLj1EEEvT0_T1_SA_.private_seg_size, 0
	.set _ZN6thrust23THRUST_200600_302600_NS11hip_rocprim14__parallel_for6kernelILj256ENS1_20__uninitialized_fill7functorINS0_10device_ptrIjEEjEEmLj1EEEvT0_T1_SA_.uses_vcc, 1
	.set _ZN6thrust23THRUST_200600_302600_NS11hip_rocprim14__parallel_for6kernelILj256ENS1_20__uninitialized_fill7functorINS0_10device_ptrIjEEjEEmLj1EEEvT0_T1_SA_.uses_flat_scratch, 0
	.set _ZN6thrust23THRUST_200600_302600_NS11hip_rocprim14__parallel_for6kernelILj256ENS1_20__uninitialized_fill7functorINS0_10device_ptrIjEEjEEmLj1EEEvT0_T1_SA_.has_dyn_sized_stack, 0
	.set _ZN6thrust23THRUST_200600_302600_NS11hip_rocprim14__parallel_for6kernelILj256ENS1_20__uninitialized_fill7functorINS0_10device_ptrIjEEjEEmLj1EEEvT0_T1_SA_.has_recursion, 0
	.set _ZN6thrust23THRUST_200600_302600_NS11hip_rocprim14__parallel_for6kernelILj256ENS1_20__uninitialized_fill7functorINS0_10device_ptrIjEEjEEmLj1EEEvT0_T1_SA_.has_indirect_call, 0
	.section	.AMDGPU.csdata,"",@progbits
; Kernel info:
; codeLenInByte = 200
; TotalNumSgprs: 14
; NumVgprs: 4
; ScratchSize: 0
; MemoryBound: 0
; FloatMode: 240
; IeeeMode: 1
; LDSByteSize: 0 bytes/workgroup (compile time only)
; SGPRBlocks: 0
; VGPRBlocks: 0
; NumSGPRsForWavesPerEU: 14
; NumVGPRsForWavesPerEU: 4
; Occupancy: 16
; WaveLimiterHint : 0
; COMPUTE_PGM_RSRC2:SCRATCH_EN: 0
; COMPUTE_PGM_RSRC2:USER_SGPR: 6
; COMPUTE_PGM_RSRC2:TRAP_HANDLER: 0
; COMPUTE_PGM_RSRC2:TGID_X_EN: 1
; COMPUTE_PGM_RSRC2:TGID_Y_EN: 0
; COMPUTE_PGM_RSRC2:TGID_Z_EN: 0
; COMPUTE_PGM_RSRC2:TIDIG_COMP_CNT: 0
	.section	.text._ZN6thrust23THRUST_200600_302600_NS11hip_rocprim14__parallel_for6kernelILj256ENS1_11__transform17unary_transform_fINS0_6detail15normal_iteratorINS0_10device_ptrINS0_5tupleIffNS0_9null_typeESA_SA_SA_SA_SA_SA_SA_EEEEEENS7_INS8_IjEEEENS4_14no_stencil_tagE21point_to_bucket_indexNS4_21always_true_predicateEEElLj1EEEvT0_T1_SL_,"axG",@progbits,_ZN6thrust23THRUST_200600_302600_NS11hip_rocprim14__parallel_for6kernelILj256ENS1_11__transform17unary_transform_fINS0_6detail15normal_iteratorINS0_10device_ptrINS0_5tupleIffNS0_9null_typeESA_SA_SA_SA_SA_SA_SA_EEEEEENS7_INS8_IjEEEENS4_14no_stencil_tagE21point_to_bucket_indexNS4_21always_true_predicateEEElLj1EEEvT0_T1_SL_,comdat
	.protected	_ZN6thrust23THRUST_200600_302600_NS11hip_rocprim14__parallel_for6kernelILj256ENS1_11__transform17unary_transform_fINS0_6detail15normal_iteratorINS0_10device_ptrINS0_5tupleIffNS0_9null_typeESA_SA_SA_SA_SA_SA_SA_EEEEEENS7_INS8_IjEEEENS4_14no_stencil_tagE21point_to_bucket_indexNS4_21always_true_predicateEEElLj1EEEvT0_T1_SL_ ; -- Begin function _ZN6thrust23THRUST_200600_302600_NS11hip_rocprim14__parallel_for6kernelILj256ENS1_11__transform17unary_transform_fINS0_6detail15normal_iteratorINS0_10device_ptrINS0_5tupleIffNS0_9null_typeESA_SA_SA_SA_SA_SA_SA_EEEEEENS7_INS8_IjEEEENS4_14no_stencil_tagE21point_to_bucket_indexNS4_21always_true_predicateEEElLj1EEEvT0_T1_SL_
	.globl	_ZN6thrust23THRUST_200600_302600_NS11hip_rocprim14__parallel_for6kernelILj256ENS1_11__transform17unary_transform_fINS0_6detail15normal_iteratorINS0_10device_ptrINS0_5tupleIffNS0_9null_typeESA_SA_SA_SA_SA_SA_SA_EEEEEENS7_INS8_IjEEEENS4_14no_stencil_tagE21point_to_bucket_indexNS4_21always_true_predicateEEElLj1EEEvT0_T1_SL_
	.p2align	8
	.type	_ZN6thrust23THRUST_200600_302600_NS11hip_rocprim14__parallel_for6kernelILj256ENS1_11__transform17unary_transform_fINS0_6detail15normal_iteratorINS0_10device_ptrINS0_5tupleIffNS0_9null_typeESA_SA_SA_SA_SA_SA_SA_EEEEEENS7_INS8_IjEEEENS4_14no_stencil_tagE21point_to_bucket_indexNS4_21always_true_predicateEEElLj1EEEvT0_T1_SL_,@function
_ZN6thrust23THRUST_200600_302600_NS11hip_rocprim14__parallel_for6kernelILj256ENS1_11__transform17unary_transform_fINS0_6detail15normal_iteratorINS0_10device_ptrINS0_5tupleIffNS0_9null_typeESA_SA_SA_SA_SA_SA_SA_EEEEEENS7_INS8_IjEEEENS4_14no_stencil_tagE21point_to_bucket_indexNS4_21always_true_predicateEEElLj1EEEvT0_T1_SL_: ; @_ZN6thrust23THRUST_200600_302600_NS11hip_rocprim14__parallel_for6kernelILj256ENS1_11__transform17unary_transform_fINS0_6detail15normal_iteratorINS0_10device_ptrINS0_5tupleIffNS0_9null_typeESA_SA_SA_SA_SA_SA_SA_EEEEEENS7_INS8_IjEEEENS4_14no_stencil_tagE21point_to_bucket_indexNS4_21always_true_predicateEEElLj1EEEvT0_T1_SL_
; %bb.0:
	s_clause 0x2
	s_load_dwordx4 s[8:11], s[4:5], 0x20
	s_load_dwordx4 s[0:3], s[4:5], 0x0
	s_load_dwordx2 s[4:5], s[4:5], 0x10
	s_lshl_b32 s6, s6, 8
	s_waitcnt lgkmcnt(0)
	s_add_u32 s6, s10, s6
	s_addc_u32 s7, s11, 0
	s_sub_u32 s8, s8, s6
	s_subb_u32 s9, s9, s7
	v_cmp_gt_i64_e64 s9, 0x100, s[8:9]
	s_and_b32 s9, s9, exec_lo
	s_cselect_b32 s9, s8, 0x100
	s_mov_b32 s8, -1
	s_cmpk_eq_i32 s9, 0x100
	s_cbranch_scc0 .LBB6_3
; %bb.1:
	s_andn2_b32 vcc_lo, exec_lo, s8
	s_cbranch_vccz .LBB6_6
.LBB6_2:
	s_endpgm
.LBB6_3:
	s_mov_b32 s8, exec_lo
	v_cmpx_gt_u32_e64 s9, v0
	s_cbranch_execz .LBB6_5
; %bb.4:
	v_add_co_u32 v1, s9, s6, v0
	v_add_co_ci_u32_e64 v2, null, s7, 0, s9
	v_cvt_f32_u32_e32 v5, s4
	v_cvt_f32_u32_e32 v6, s5
	v_lshlrev_b64 v[3:4], 3, v[1:2]
	v_lshlrev_b64 v[1:2], 2, v[1:2]
	v_add_co_u32 v3, vcc_lo, s0, v3
	v_add_co_ci_u32_e64 v4, null, s1, v4, vcc_lo
	v_add_co_u32 v1, vcc_lo, s2, v1
	v_add_co_ci_u32_e64 v2, null, s3, v2, vcc_lo
	flat_load_dwordx2 v[3:4], v[3:4]
	s_waitcnt vmcnt(0) lgkmcnt(0)
	v_mul_f32_e32 v3, v3, v5
	v_mul_f32_e32 v4, v4, v6
	v_cvt_u32_f32_e32 v3, v3
	v_cvt_u32_f32_e32 v4, v4
	v_mad_u64_u32 v[3:4], null, s4, v4, v[3:4]
	flat_store_dword v[1:2], v3
.LBB6_5:
	s_or_b32 exec_lo, exec_lo, s8
	s_cbranch_execnz .LBB6_2
.LBB6_6:
	v_add_co_u32 v0, s6, s6, v0
	v_add_co_ci_u32_e64 v1, null, s7, 0, s6
	v_cvt_f32_u32_e32 v4, s4
	v_cvt_f32_u32_e32 v5, s5
	v_lshlrev_b64 v[2:3], 3, v[0:1]
	v_lshlrev_b64 v[0:1], 2, v[0:1]
	v_add_co_u32 v2, vcc_lo, s0, v2
	v_add_co_ci_u32_e64 v3, null, s1, v3, vcc_lo
	v_add_co_u32 v0, vcc_lo, s2, v0
	v_add_co_ci_u32_e64 v1, null, s3, v1, vcc_lo
	flat_load_dwordx2 v[2:3], v[2:3]
	s_waitcnt vmcnt(0) lgkmcnt(0)
	v_mul_f32_e32 v2, v2, v4
	v_mul_f32_e32 v3, v3, v5
	v_cvt_u32_f32_e32 v2, v2
	v_cvt_u32_f32_e32 v3, v3
	v_mad_u64_u32 v[2:3], null, s4, v3, v[2:3]
	flat_store_dword v[0:1], v2
	s_endpgm
	.section	.rodata,"a",@progbits
	.p2align	6, 0x0
	.amdhsa_kernel _ZN6thrust23THRUST_200600_302600_NS11hip_rocprim14__parallel_for6kernelILj256ENS1_11__transform17unary_transform_fINS0_6detail15normal_iteratorINS0_10device_ptrINS0_5tupleIffNS0_9null_typeESA_SA_SA_SA_SA_SA_SA_EEEEEENS7_INS8_IjEEEENS4_14no_stencil_tagE21point_to_bucket_indexNS4_21always_true_predicateEEElLj1EEEvT0_T1_SL_
		.amdhsa_group_segment_fixed_size 0
		.amdhsa_private_segment_fixed_size 0
		.amdhsa_kernarg_size 48
		.amdhsa_user_sgpr_count 6
		.amdhsa_user_sgpr_private_segment_buffer 1
		.amdhsa_user_sgpr_dispatch_ptr 0
		.amdhsa_user_sgpr_queue_ptr 0
		.amdhsa_user_sgpr_kernarg_segment_ptr 1
		.amdhsa_user_sgpr_dispatch_id 0
		.amdhsa_user_sgpr_flat_scratch_init 0
		.amdhsa_user_sgpr_private_segment_size 0
		.amdhsa_wavefront_size32 1
		.amdhsa_uses_dynamic_stack 0
		.amdhsa_system_sgpr_private_segment_wavefront_offset 0
		.amdhsa_system_sgpr_workgroup_id_x 1
		.amdhsa_system_sgpr_workgroup_id_y 0
		.amdhsa_system_sgpr_workgroup_id_z 0
		.amdhsa_system_sgpr_workgroup_info 0
		.amdhsa_system_vgpr_workitem_id 0
		.amdhsa_next_free_vgpr 7
		.amdhsa_next_free_sgpr 12
		.amdhsa_reserve_vcc 1
		.amdhsa_reserve_flat_scratch 0
		.amdhsa_float_round_mode_32 0
		.amdhsa_float_round_mode_16_64 0
		.amdhsa_float_denorm_mode_32 3
		.amdhsa_float_denorm_mode_16_64 3
		.amdhsa_dx10_clamp 1
		.amdhsa_ieee_mode 1
		.amdhsa_fp16_overflow 0
		.amdhsa_workgroup_processor_mode 1
		.amdhsa_memory_ordered 1
		.amdhsa_forward_progress 1
		.amdhsa_shared_vgpr_count 0
		.amdhsa_exception_fp_ieee_invalid_op 0
		.amdhsa_exception_fp_denorm_src 0
		.amdhsa_exception_fp_ieee_div_zero 0
		.amdhsa_exception_fp_ieee_overflow 0
		.amdhsa_exception_fp_ieee_underflow 0
		.amdhsa_exception_fp_ieee_inexact 0
		.amdhsa_exception_int_div_zero 0
	.end_amdhsa_kernel
	.section	.text._ZN6thrust23THRUST_200600_302600_NS11hip_rocprim14__parallel_for6kernelILj256ENS1_11__transform17unary_transform_fINS0_6detail15normal_iteratorINS0_10device_ptrINS0_5tupleIffNS0_9null_typeESA_SA_SA_SA_SA_SA_SA_EEEEEENS7_INS8_IjEEEENS4_14no_stencil_tagE21point_to_bucket_indexNS4_21always_true_predicateEEElLj1EEEvT0_T1_SL_,"axG",@progbits,_ZN6thrust23THRUST_200600_302600_NS11hip_rocprim14__parallel_for6kernelILj256ENS1_11__transform17unary_transform_fINS0_6detail15normal_iteratorINS0_10device_ptrINS0_5tupleIffNS0_9null_typeESA_SA_SA_SA_SA_SA_SA_EEEEEENS7_INS8_IjEEEENS4_14no_stencil_tagE21point_to_bucket_indexNS4_21always_true_predicateEEElLj1EEEvT0_T1_SL_,comdat
.Lfunc_end6:
	.size	_ZN6thrust23THRUST_200600_302600_NS11hip_rocprim14__parallel_for6kernelILj256ENS1_11__transform17unary_transform_fINS0_6detail15normal_iteratorINS0_10device_ptrINS0_5tupleIffNS0_9null_typeESA_SA_SA_SA_SA_SA_SA_EEEEEENS7_INS8_IjEEEENS4_14no_stencil_tagE21point_to_bucket_indexNS4_21always_true_predicateEEElLj1EEEvT0_T1_SL_, .Lfunc_end6-_ZN6thrust23THRUST_200600_302600_NS11hip_rocprim14__parallel_for6kernelILj256ENS1_11__transform17unary_transform_fINS0_6detail15normal_iteratorINS0_10device_ptrINS0_5tupleIffNS0_9null_typeESA_SA_SA_SA_SA_SA_SA_EEEEEENS7_INS8_IjEEEENS4_14no_stencil_tagE21point_to_bucket_indexNS4_21always_true_predicateEEElLj1EEEvT0_T1_SL_
                                        ; -- End function
	.set _ZN6thrust23THRUST_200600_302600_NS11hip_rocprim14__parallel_for6kernelILj256ENS1_11__transform17unary_transform_fINS0_6detail15normal_iteratorINS0_10device_ptrINS0_5tupleIffNS0_9null_typeESA_SA_SA_SA_SA_SA_SA_EEEEEENS7_INS8_IjEEEENS4_14no_stencil_tagE21point_to_bucket_indexNS4_21always_true_predicateEEElLj1EEEvT0_T1_SL_.num_vgpr, 7
	.set _ZN6thrust23THRUST_200600_302600_NS11hip_rocprim14__parallel_for6kernelILj256ENS1_11__transform17unary_transform_fINS0_6detail15normal_iteratorINS0_10device_ptrINS0_5tupleIffNS0_9null_typeESA_SA_SA_SA_SA_SA_SA_EEEEEENS7_INS8_IjEEEENS4_14no_stencil_tagE21point_to_bucket_indexNS4_21always_true_predicateEEElLj1EEEvT0_T1_SL_.num_agpr, 0
	.set _ZN6thrust23THRUST_200600_302600_NS11hip_rocprim14__parallel_for6kernelILj256ENS1_11__transform17unary_transform_fINS0_6detail15normal_iteratorINS0_10device_ptrINS0_5tupleIffNS0_9null_typeESA_SA_SA_SA_SA_SA_SA_EEEEEENS7_INS8_IjEEEENS4_14no_stencil_tagE21point_to_bucket_indexNS4_21always_true_predicateEEElLj1EEEvT0_T1_SL_.numbered_sgpr, 12
	.set _ZN6thrust23THRUST_200600_302600_NS11hip_rocprim14__parallel_for6kernelILj256ENS1_11__transform17unary_transform_fINS0_6detail15normal_iteratorINS0_10device_ptrINS0_5tupleIffNS0_9null_typeESA_SA_SA_SA_SA_SA_SA_EEEEEENS7_INS8_IjEEEENS4_14no_stencil_tagE21point_to_bucket_indexNS4_21always_true_predicateEEElLj1EEEvT0_T1_SL_.num_named_barrier, 0
	.set _ZN6thrust23THRUST_200600_302600_NS11hip_rocprim14__parallel_for6kernelILj256ENS1_11__transform17unary_transform_fINS0_6detail15normal_iteratorINS0_10device_ptrINS0_5tupleIffNS0_9null_typeESA_SA_SA_SA_SA_SA_SA_EEEEEENS7_INS8_IjEEEENS4_14no_stencil_tagE21point_to_bucket_indexNS4_21always_true_predicateEEElLj1EEEvT0_T1_SL_.private_seg_size, 0
	.set _ZN6thrust23THRUST_200600_302600_NS11hip_rocprim14__parallel_for6kernelILj256ENS1_11__transform17unary_transform_fINS0_6detail15normal_iteratorINS0_10device_ptrINS0_5tupleIffNS0_9null_typeESA_SA_SA_SA_SA_SA_SA_EEEEEENS7_INS8_IjEEEENS4_14no_stencil_tagE21point_to_bucket_indexNS4_21always_true_predicateEEElLj1EEEvT0_T1_SL_.uses_vcc, 1
	.set _ZN6thrust23THRUST_200600_302600_NS11hip_rocprim14__parallel_for6kernelILj256ENS1_11__transform17unary_transform_fINS0_6detail15normal_iteratorINS0_10device_ptrINS0_5tupleIffNS0_9null_typeESA_SA_SA_SA_SA_SA_SA_EEEEEENS7_INS8_IjEEEENS4_14no_stencil_tagE21point_to_bucket_indexNS4_21always_true_predicateEEElLj1EEEvT0_T1_SL_.uses_flat_scratch, 0
	.set _ZN6thrust23THRUST_200600_302600_NS11hip_rocprim14__parallel_for6kernelILj256ENS1_11__transform17unary_transform_fINS0_6detail15normal_iteratorINS0_10device_ptrINS0_5tupleIffNS0_9null_typeESA_SA_SA_SA_SA_SA_SA_EEEEEENS7_INS8_IjEEEENS4_14no_stencil_tagE21point_to_bucket_indexNS4_21always_true_predicateEEElLj1EEEvT0_T1_SL_.has_dyn_sized_stack, 0
	.set _ZN6thrust23THRUST_200600_302600_NS11hip_rocprim14__parallel_for6kernelILj256ENS1_11__transform17unary_transform_fINS0_6detail15normal_iteratorINS0_10device_ptrINS0_5tupleIffNS0_9null_typeESA_SA_SA_SA_SA_SA_SA_EEEEEENS7_INS8_IjEEEENS4_14no_stencil_tagE21point_to_bucket_indexNS4_21always_true_predicateEEElLj1EEEvT0_T1_SL_.has_recursion, 0
	.set _ZN6thrust23THRUST_200600_302600_NS11hip_rocprim14__parallel_for6kernelILj256ENS1_11__transform17unary_transform_fINS0_6detail15normal_iteratorINS0_10device_ptrINS0_5tupleIffNS0_9null_typeESA_SA_SA_SA_SA_SA_SA_EEEEEENS7_INS8_IjEEEENS4_14no_stencil_tagE21point_to_bucket_indexNS4_21always_true_predicateEEElLj1EEEvT0_T1_SL_.has_indirect_call, 0
	.section	.AMDGPU.csdata,"",@progbits
; Kernel info:
; codeLenInByte = 360
; TotalNumSgprs: 14
; NumVgprs: 7
; ScratchSize: 0
; MemoryBound: 0
; FloatMode: 240
; IeeeMode: 1
; LDSByteSize: 0 bytes/workgroup (compile time only)
; SGPRBlocks: 0
; VGPRBlocks: 0
; NumSGPRsForWavesPerEU: 14
; NumVGPRsForWavesPerEU: 7
; Occupancy: 16
; WaveLimiterHint : 0
; COMPUTE_PGM_RSRC2:SCRATCH_EN: 0
; COMPUTE_PGM_RSRC2:USER_SGPR: 6
; COMPUTE_PGM_RSRC2:TRAP_HANDLER: 0
; COMPUTE_PGM_RSRC2:TGID_X_EN: 1
; COMPUTE_PGM_RSRC2:TGID_Y_EN: 0
; COMPUTE_PGM_RSRC2:TGID_Z_EN: 0
; COMPUTE_PGM_RSRC2:TIDIG_COMP_CNT: 0
	.section	.text._ZN7rocprim17ROCPRIM_400000_NS6detail17trampoline_kernelINS0_13kernel_configILj256ELj4ELj4294967295EEENS1_37radix_sort_block_sort_config_selectorIjN6thrust23THRUST_200600_302600_NS5tupleIffNS7_9null_typeES9_S9_S9_S9_S9_S9_S9_EEEEZNS1_21radix_sort_block_sortIS4_Lb0ENS7_6detail15normal_iteratorINS7_10device_ptrIjEEEESH_NSE_INSF_ISA_EEEESJ_NS0_19identity_decomposerEEE10hipError_tT1_T2_T3_T4_jRjT5_jjP12ihipStream_tbEUlT_E_NS1_11comp_targetILNS1_3genE0ELNS1_11target_archE4294967295ELNS1_3gpuE0ELNS1_3repE0EEENS1_44radix_sort_block_sort_config_static_selectorELNS0_4arch9wavefront6targetE0EEEvSM_,"axG",@progbits,_ZN7rocprim17ROCPRIM_400000_NS6detail17trampoline_kernelINS0_13kernel_configILj256ELj4ELj4294967295EEENS1_37radix_sort_block_sort_config_selectorIjN6thrust23THRUST_200600_302600_NS5tupleIffNS7_9null_typeES9_S9_S9_S9_S9_S9_S9_EEEEZNS1_21radix_sort_block_sortIS4_Lb0ENS7_6detail15normal_iteratorINS7_10device_ptrIjEEEESH_NSE_INSF_ISA_EEEESJ_NS0_19identity_decomposerEEE10hipError_tT1_T2_T3_T4_jRjT5_jjP12ihipStream_tbEUlT_E_NS1_11comp_targetILNS1_3genE0ELNS1_11target_archE4294967295ELNS1_3gpuE0ELNS1_3repE0EEENS1_44radix_sort_block_sort_config_static_selectorELNS0_4arch9wavefront6targetE0EEEvSM_,comdat
	.protected	_ZN7rocprim17ROCPRIM_400000_NS6detail17trampoline_kernelINS0_13kernel_configILj256ELj4ELj4294967295EEENS1_37radix_sort_block_sort_config_selectorIjN6thrust23THRUST_200600_302600_NS5tupleIffNS7_9null_typeES9_S9_S9_S9_S9_S9_S9_EEEEZNS1_21radix_sort_block_sortIS4_Lb0ENS7_6detail15normal_iteratorINS7_10device_ptrIjEEEESH_NSE_INSF_ISA_EEEESJ_NS0_19identity_decomposerEEE10hipError_tT1_T2_T3_T4_jRjT5_jjP12ihipStream_tbEUlT_E_NS1_11comp_targetILNS1_3genE0ELNS1_11target_archE4294967295ELNS1_3gpuE0ELNS1_3repE0EEENS1_44radix_sort_block_sort_config_static_selectorELNS0_4arch9wavefront6targetE0EEEvSM_ ; -- Begin function _ZN7rocprim17ROCPRIM_400000_NS6detail17trampoline_kernelINS0_13kernel_configILj256ELj4ELj4294967295EEENS1_37radix_sort_block_sort_config_selectorIjN6thrust23THRUST_200600_302600_NS5tupleIffNS7_9null_typeES9_S9_S9_S9_S9_S9_S9_EEEEZNS1_21radix_sort_block_sortIS4_Lb0ENS7_6detail15normal_iteratorINS7_10device_ptrIjEEEESH_NSE_INSF_ISA_EEEESJ_NS0_19identity_decomposerEEE10hipError_tT1_T2_T3_T4_jRjT5_jjP12ihipStream_tbEUlT_E_NS1_11comp_targetILNS1_3genE0ELNS1_11target_archE4294967295ELNS1_3gpuE0ELNS1_3repE0EEENS1_44radix_sort_block_sort_config_static_selectorELNS0_4arch9wavefront6targetE0EEEvSM_
	.globl	_ZN7rocprim17ROCPRIM_400000_NS6detail17trampoline_kernelINS0_13kernel_configILj256ELj4ELj4294967295EEENS1_37radix_sort_block_sort_config_selectorIjN6thrust23THRUST_200600_302600_NS5tupleIffNS7_9null_typeES9_S9_S9_S9_S9_S9_S9_EEEEZNS1_21radix_sort_block_sortIS4_Lb0ENS7_6detail15normal_iteratorINS7_10device_ptrIjEEEESH_NSE_INSF_ISA_EEEESJ_NS0_19identity_decomposerEEE10hipError_tT1_T2_T3_T4_jRjT5_jjP12ihipStream_tbEUlT_E_NS1_11comp_targetILNS1_3genE0ELNS1_11target_archE4294967295ELNS1_3gpuE0ELNS1_3repE0EEENS1_44radix_sort_block_sort_config_static_selectorELNS0_4arch9wavefront6targetE0EEEvSM_
	.p2align	8
	.type	_ZN7rocprim17ROCPRIM_400000_NS6detail17trampoline_kernelINS0_13kernel_configILj256ELj4ELj4294967295EEENS1_37radix_sort_block_sort_config_selectorIjN6thrust23THRUST_200600_302600_NS5tupleIffNS7_9null_typeES9_S9_S9_S9_S9_S9_S9_EEEEZNS1_21radix_sort_block_sortIS4_Lb0ENS7_6detail15normal_iteratorINS7_10device_ptrIjEEEESH_NSE_INSF_ISA_EEEESJ_NS0_19identity_decomposerEEE10hipError_tT1_T2_T3_T4_jRjT5_jjP12ihipStream_tbEUlT_E_NS1_11comp_targetILNS1_3genE0ELNS1_11target_archE4294967295ELNS1_3gpuE0ELNS1_3repE0EEENS1_44radix_sort_block_sort_config_static_selectorELNS0_4arch9wavefront6targetE0EEEvSM_,@function
_ZN7rocprim17ROCPRIM_400000_NS6detail17trampoline_kernelINS0_13kernel_configILj256ELj4ELj4294967295EEENS1_37radix_sort_block_sort_config_selectorIjN6thrust23THRUST_200600_302600_NS5tupleIffNS7_9null_typeES9_S9_S9_S9_S9_S9_S9_EEEEZNS1_21radix_sort_block_sortIS4_Lb0ENS7_6detail15normal_iteratorINS7_10device_ptrIjEEEESH_NSE_INSF_ISA_EEEESJ_NS0_19identity_decomposerEEE10hipError_tT1_T2_T3_T4_jRjT5_jjP12ihipStream_tbEUlT_E_NS1_11comp_targetILNS1_3genE0ELNS1_11target_archE4294967295ELNS1_3gpuE0ELNS1_3repE0EEENS1_44radix_sort_block_sort_config_static_selectorELNS0_4arch9wavefront6targetE0EEEvSM_: ; @_ZN7rocprim17ROCPRIM_400000_NS6detail17trampoline_kernelINS0_13kernel_configILj256ELj4ELj4294967295EEENS1_37radix_sort_block_sort_config_selectorIjN6thrust23THRUST_200600_302600_NS5tupleIffNS7_9null_typeES9_S9_S9_S9_S9_S9_S9_EEEEZNS1_21radix_sort_block_sortIS4_Lb0ENS7_6detail15normal_iteratorINS7_10device_ptrIjEEEESH_NSE_INSF_ISA_EEEESJ_NS0_19identity_decomposerEEE10hipError_tT1_T2_T3_T4_jRjT5_jjP12ihipStream_tbEUlT_E_NS1_11comp_targetILNS1_3genE0ELNS1_11target_archE4294967295ELNS1_3gpuE0ELNS1_3repE0EEENS1_44radix_sort_block_sort_config_static_selectorELNS0_4arch9wavefront6targetE0EEEvSM_
; %bb.0:
	.section	.rodata,"a",@progbits
	.p2align	6, 0x0
	.amdhsa_kernel _ZN7rocprim17ROCPRIM_400000_NS6detail17trampoline_kernelINS0_13kernel_configILj256ELj4ELj4294967295EEENS1_37radix_sort_block_sort_config_selectorIjN6thrust23THRUST_200600_302600_NS5tupleIffNS7_9null_typeES9_S9_S9_S9_S9_S9_S9_EEEEZNS1_21radix_sort_block_sortIS4_Lb0ENS7_6detail15normal_iteratorINS7_10device_ptrIjEEEESH_NSE_INSF_ISA_EEEESJ_NS0_19identity_decomposerEEE10hipError_tT1_T2_T3_T4_jRjT5_jjP12ihipStream_tbEUlT_E_NS1_11comp_targetILNS1_3genE0ELNS1_11target_archE4294967295ELNS1_3gpuE0ELNS1_3repE0EEENS1_44radix_sort_block_sort_config_static_selectorELNS0_4arch9wavefront6targetE0EEEvSM_
		.amdhsa_group_segment_fixed_size 0
		.amdhsa_private_segment_fixed_size 0
		.amdhsa_kernarg_size 48
		.amdhsa_user_sgpr_count 6
		.amdhsa_user_sgpr_private_segment_buffer 1
		.amdhsa_user_sgpr_dispatch_ptr 0
		.amdhsa_user_sgpr_queue_ptr 0
		.amdhsa_user_sgpr_kernarg_segment_ptr 1
		.amdhsa_user_sgpr_dispatch_id 0
		.amdhsa_user_sgpr_flat_scratch_init 0
		.amdhsa_user_sgpr_private_segment_size 0
		.amdhsa_wavefront_size32 1
		.amdhsa_uses_dynamic_stack 0
		.amdhsa_system_sgpr_private_segment_wavefront_offset 0
		.amdhsa_system_sgpr_workgroup_id_x 1
		.amdhsa_system_sgpr_workgroup_id_y 0
		.amdhsa_system_sgpr_workgroup_id_z 0
		.amdhsa_system_sgpr_workgroup_info 0
		.amdhsa_system_vgpr_workitem_id 0
		.amdhsa_next_free_vgpr 1
		.amdhsa_next_free_sgpr 1
		.amdhsa_reserve_vcc 0
		.amdhsa_reserve_flat_scratch 0
		.amdhsa_float_round_mode_32 0
		.amdhsa_float_round_mode_16_64 0
		.amdhsa_float_denorm_mode_32 3
		.amdhsa_float_denorm_mode_16_64 3
		.amdhsa_dx10_clamp 1
		.amdhsa_ieee_mode 1
		.amdhsa_fp16_overflow 0
		.amdhsa_workgroup_processor_mode 1
		.amdhsa_memory_ordered 1
		.amdhsa_forward_progress 1
		.amdhsa_shared_vgpr_count 0
		.amdhsa_exception_fp_ieee_invalid_op 0
		.amdhsa_exception_fp_denorm_src 0
		.amdhsa_exception_fp_ieee_div_zero 0
		.amdhsa_exception_fp_ieee_overflow 0
		.amdhsa_exception_fp_ieee_underflow 0
		.amdhsa_exception_fp_ieee_inexact 0
		.amdhsa_exception_int_div_zero 0
	.end_amdhsa_kernel
	.section	.text._ZN7rocprim17ROCPRIM_400000_NS6detail17trampoline_kernelINS0_13kernel_configILj256ELj4ELj4294967295EEENS1_37radix_sort_block_sort_config_selectorIjN6thrust23THRUST_200600_302600_NS5tupleIffNS7_9null_typeES9_S9_S9_S9_S9_S9_S9_EEEEZNS1_21radix_sort_block_sortIS4_Lb0ENS7_6detail15normal_iteratorINS7_10device_ptrIjEEEESH_NSE_INSF_ISA_EEEESJ_NS0_19identity_decomposerEEE10hipError_tT1_T2_T3_T4_jRjT5_jjP12ihipStream_tbEUlT_E_NS1_11comp_targetILNS1_3genE0ELNS1_11target_archE4294967295ELNS1_3gpuE0ELNS1_3repE0EEENS1_44radix_sort_block_sort_config_static_selectorELNS0_4arch9wavefront6targetE0EEEvSM_,"axG",@progbits,_ZN7rocprim17ROCPRIM_400000_NS6detail17trampoline_kernelINS0_13kernel_configILj256ELj4ELj4294967295EEENS1_37radix_sort_block_sort_config_selectorIjN6thrust23THRUST_200600_302600_NS5tupleIffNS7_9null_typeES9_S9_S9_S9_S9_S9_S9_EEEEZNS1_21radix_sort_block_sortIS4_Lb0ENS7_6detail15normal_iteratorINS7_10device_ptrIjEEEESH_NSE_INSF_ISA_EEEESJ_NS0_19identity_decomposerEEE10hipError_tT1_T2_T3_T4_jRjT5_jjP12ihipStream_tbEUlT_E_NS1_11comp_targetILNS1_3genE0ELNS1_11target_archE4294967295ELNS1_3gpuE0ELNS1_3repE0EEENS1_44radix_sort_block_sort_config_static_selectorELNS0_4arch9wavefront6targetE0EEEvSM_,comdat
.Lfunc_end7:
	.size	_ZN7rocprim17ROCPRIM_400000_NS6detail17trampoline_kernelINS0_13kernel_configILj256ELj4ELj4294967295EEENS1_37radix_sort_block_sort_config_selectorIjN6thrust23THRUST_200600_302600_NS5tupleIffNS7_9null_typeES9_S9_S9_S9_S9_S9_S9_EEEEZNS1_21radix_sort_block_sortIS4_Lb0ENS7_6detail15normal_iteratorINS7_10device_ptrIjEEEESH_NSE_INSF_ISA_EEEESJ_NS0_19identity_decomposerEEE10hipError_tT1_T2_T3_T4_jRjT5_jjP12ihipStream_tbEUlT_E_NS1_11comp_targetILNS1_3genE0ELNS1_11target_archE4294967295ELNS1_3gpuE0ELNS1_3repE0EEENS1_44radix_sort_block_sort_config_static_selectorELNS0_4arch9wavefront6targetE0EEEvSM_, .Lfunc_end7-_ZN7rocprim17ROCPRIM_400000_NS6detail17trampoline_kernelINS0_13kernel_configILj256ELj4ELj4294967295EEENS1_37radix_sort_block_sort_config_selectorIjN6thrust23THRUST_200600_302600_NS5tupleIffNS7_9null_typeES9_S9_S9_S9_S9_S9_S9_EEEEZNS1_21radix_sort_block_sortIS4_Lb0ENS7_6detail15normal_iteratorINS7_10device_ptrIjEEEESH_NSE_INSF_ISA_EEEESJ_NS0_19identity_decomposerEEE10hipError_tT1_T2_T3_T4_jRjT5_jjP12ihipStream_tbEUlT_E_NS1_11comp_targetILNS1_3genE0ELNS1_11target_archE4294967295ELNS1_3gpuE0ELNS1_3repE0EEENS1_44radix_sort_block_sort_config_static_selectorELNS0_4arch9wavefront6targetE0EEEvSM_
                                        ; -- End function
	.set _ZN7rocprim17ROCPRIM_400000_NS6detail17trampoline_kernelINS0_13kernel_configILj256ELj4ELj4294967295EEENS1_37radix_sort_block_sort_config_selectorIjN6thrust23THRUST_200600_302600_NS5tupleIffNS7_9null_typeES9_S9_S9_S9_S9_S9_S9_EEEEZNS1_21radix_sort_block_sortIS4_Lb0ENS7_6detail15normal_iteratorINS7_10device_ptrIjEEEESH_NSE_INSF_ISA_EEEESJ_NS0_19identity_decomposerEEE10hipError_tT1_T2_T3_T4_jRjT5_jjP12ihipStream_tbEUlT_E_NS1_11comp_targetILNS1_3genE0ELNS1_11target_archE4294967295ELNS1_3gpuE0ELNS1_3repE0EEENS1_44radix_sort_block_sort_config_static_selectorELNS0_4arch9wavefront6targetE0EEEvSM_.num_vgpr, 0
	.set _ZN7rocprim17ROCPRIM_400000_NS6detail17trampoline_kernelINS0_13kernel_configILj256ELj4ELj4294967295EEENS1_37radix_sort_block_sort_config_selectorIjN6thrust23THRUST_200600_302600_NS5tupleIffNS7_9null_typeES9_S9_S9_S9_S9_S9_S9_EEEEZNS1_21radix_sort_block_sortIS4_Lb0ENS7_6detail15normal_iteratorINS7_10device_ptrIjEEEESH_NSE_INSF_ISA_EEEESJ_NS0_19identity_decomposerEEE10hipError_tT1_T2_T3_T4_jRjT5_jjP12ihipStream_tbEUlT_E_NS1_11comp_targetILNS1_3genE0ELNS1_11target_archE4294967295ELNS1_3gpuE0ELNS1_3repE0EEENS1_44radix_sort_block_sort_config_static_selectorELNS0_4arch9wavefront6targetE0EEEvSM_.num_agpr, 0
	.set _ZN7rocprim17ROCPRIM_400000_NS6detail17trampoline_kernelINS0_13kernel_configILj256ELj4ELj4294967295EEENS1_37radix_sort_block_sort_config_selectorIjN6thrust23THRUST_200600_302600_NS5tupleIffNS7_9null_typeES9_S9_S9_S9_S9_S9_S9_EEEEZNS1_21radix_sort_block_sortIS4_Lb0ENS7_6detail15normal_iteratorINS7_10device_ptrIjEEEESH_NSE_INSF_ISA_EEEESJ_NS0_19identity_decomposerEEE10hipError_tT1_T2_T3_T4_jRjT5_jjP12ihipStream_tbEUlT_E_NS1_11comp_targetILNS1_3genE0ELNS1_11target_archE4294967295ELNS1_3gpuE0ELNS1_3repE0EEENS1_44radix_sort_block_sort_config_static_selectorELNS0_4arch9wavefront6targetE0EEEvSM_.numbered_sgpr, 0
	.set _ZN7rocprim17ROCPRIM_400000_NS6detail17trampoline_kernelINS0_13kernel_configILj256ELj4ELj4294967295EEENS1_37radix_sort_block_sort_config_selectorIjN6thrust23THRUST_200600_302600_NS5tupleIffNS7_9null_typeES9_S9_S9_S9_S9_S9_S9_EEEEZNS1_21radix_sort_block_sortIS4_Lb0ENS7_6detail15normal_iteratorINS7_10device_ptrIjEEEESH_NSE_INSF_ISA_EEEESJ_NS0_19identity_decomposerEEE10hipError_tT1_T2_T3_T4_jRjT5_jjP12ihipStream_tbEUlT_E_NS1_11comp_targetILNS1_3genE0ELNS1_11target_archE4294967295ELNS1_3gpuE0ELNS1_3repE0EEENS1_44radix_sort_block_sort_config_static_selectorELNS0_4arch9wavefront6targetE0EEEvSM_.num_named_barrier, 0
	.set _ZN7rocprim17ROCPRIM_400000_NS6detail17trampoline_kernelINS0_13kernel_configILj256ELj4ELj4294967295EEENS1_37radix_sort_block_sort_config_selectorIjN6thrust23THRUST_200600_302600_NS5tupleIffNS7_9null_typeES9_S9_S9_S9_S9_S9_S9_EEEEZNS1_21radix_sort_block_sortIS4_Lb0ENS7_6detail15normal_iteratorINS7_10device_ptrIjEEEESH_NSE_INSF_ISA_EEEESJ_NS0_19identity_decomposerEEE10hipError_tT1_T2_T3_T4_jRjT5_jjP12ihipStream_tbEUlT_E_NS1_11comp_targetILNS1_3genE0ELNS1_11target_archE4294967295ELNS1_3gpuE0ELNS1_3repE0EEENS1_44radix_sort_block_sort_config_static_selectorELNS0_4arch9wavefront6targetE0EEEvSM_.private_seg_size, 0
	.set _ZN7rocprim17ROCPRIM_400000_NS6detail17trampoline_kernelINS0_13kernel_configILj256ELj4ELj4294967295EEENS1_37radix_sort_block_sort_config_selectorIjN6thrust23THRUST_200600_302600_NS5tupleIffNS7_9null_typeES9_S9_S9_S9_S9_S9_S9_EEEEZNS1_21radix_sort_block_sortIS4_Lb0ENS7_6detail15normal_iteratorINS7_10device_ptrIjEEEESH_NSE_INSF_ISA_EEEESJ_NS0_19identity_decomposerEEE10hipError_tT1_T2_T3_T4_jRjT5_jjP12ihipStream_tbEUlT_E_NS1_11comp_targetILNS1_3genE0ELNS1_11target_archE4294967295ELNS1_3gpuE0ELNS1_3repE0EEENS1_44radix_sort_block_sort_config_static_selectorELNS0_4arch9wavefront6targetE0EEEvSM_.uses_vcc, 0
	.set _ZN7rocprim17ROCPRIM_400000_NS6detail17trampoline_kernelINS0_13kernel_configILj256ELj4ELj4294967295EEENS1_37radix_sort_block_sort_config_selectorIjN6thrust23THRUST_200600_302600_NS5tupleIffNS7_9null_typeES9_S9_S9_S9_S9_S9_S9_EEEEZNS1_21radix_sort_block_sortIS4_Lb0ENS7_6detail15normal_iteratorINS7_10device_ptrIjEEEESH_NSE_INSF_ISA_EEEESJ_NS0_19identity_decomposerEEE10hipError_tT1_T2_T3_T4_jRjT5_jjP12ihipStream_tbEUlT_E_NS1_11comp_targetILNS1_3genE0ELNS1_11target_archE4294967295ELNS1_3gpuE0ELNS1_3repE0EEENS1_44radix_sort_block_sort_config_static_selectorELNS0_4arch9wavefront6targetE0EEEvSM_.uses_flat_scratch, 0
	.set _ZN7rocprim17ROCPRIM_400000_NS6detail17trampoline_kernelINS0_13kernel_configILj256ELj4ELj4294967295EEENS1_37radix_sort_block_sort_config_selectorIjN6thrust23THRUST_200600_302600_NS5tupleIffNS7_9null_typeES9_S9_S9_S9_S9_S9_S9_EEEEZNS1_21radix_sort_block_sortIS4_Lb0ENS7_6detail15normal_iteratorINS7_10device_ptrIjEEEESH_NSE_INSF_ISA_EEEESJ_NS0_19identity_decomposerEEE10hipError_tT1_T2_T3_T4_jRjT5_jjP12ihipStream_tbEUlT_E_NS1_11comp_targetILNS1_3genE0ELNS1_11target_archE4294967295ELNS1_3gpuE0ELNS1_3repE0EEENS1_44radix_sort_block_sort_config_static_selectorELNS0_4arch9wavefront6targetE0EEEvSM_.has_dyn_sized_stack, 0
	.set _ZN7rocprim17ROCPRIM_400000_NS6detail17trampoline_kernelINS0_13kernel_configILj256ELj4ELj4294967295EEENS1_37radix_sort_block_sort_config_selectorIjN6thrust23THRUST_200600_302600_NS5tupleIffNS7_9null_typeES9_S9_S9_S9_S9_S9_S9_EEEEZNS1_21radix_sort_block_sortIS4_Lb0ENS7_6detail15normal_iteratorINS7_10device_ptrIjEEEESH_NSE_INSF_ISA_EEEESJ_NS0_19identity_decomposerEEE10hipError_tT1_T2_T3_T4_jRjT5_jjP12ihipStream_tbEUlT_E_NS1_11comp_targetILNS1_3genE0ELNS1_11target_archE4294967295ELNS1_3gpuE0ELNS1_3repE0EEENS1_44radix_sort_block_sort_config_static_selectorELNS0_4arch9wavefront6targetE0EEEvSM_.has_recursion, 0
	.set _ZN7rocprim17ROCPRIM_400000_NS6detail17trampoline_kernelINS0_13kernel_configILj256ELj4ELj4294967295EEENS1_37radix_sort_block_sort_config_selectorIjN6thrust23THRUST_200600_302600_NS5tupleIffNS7_9null_typeES9_S9_S9_S9_S9_S9_S9_EEEEZNS1_21radix_sort_block_sortIS4_Lb0ENS7_6detail15normal_iteratorINS7_10device_ptrIjEEEESH_NSE_INSF_ISA_EEEESJ_NS0_19identity_decomposerEEE10hipError_tT1_T2_T3_T4_jRjT5_jjP12ihipStream_tbEUlT_E_NS1_11comp_targetILNS1_3genE0ELNS1_11target_archE4294967295ELNS1_3gpuE0ELNS1_3repE0EEENS1_44radix_sort_block_sort_config_static_selectorELNS0_4arch9wavefront6targetE0EEEvSM_.has_indirect_call, 0
	.section	.AMDGPU.csdata,"",@progbits
; Kernel info:
; codeLenInByte = 0
; TotalNumSgprs: 0
; NumVgprs: 0
; ScratchSize: 0
; MemoryBound: 0
; FloatMode: 240
; IeeeMode: 1
; LDSByteSize: 0 bytes/workgroup (compile time only)
; SGPRBlocks: 0
; VGPRBlocks: 0
; NumSGPRsForWavesPerEU: 1
; NumVGPRsForWavesPerEU: 1
; Occupancy: 16
; WaveLimiterHint : 0
; COMPUTE_PGM_RSRC2:SCRATCH_EN: 0
; COMPUTE_PGM_RSRC2:USER_SGPR: 6
; COMPUTE_PGM_RSRC2:TRAP_HANDLER: 0
; COMPUTE_PGM_RSRC2:TGID_X_EN: 1
; COMPUTE_PGM_RSRC2:TGID_Y_EN: 0
; COMPUTE_PGM_RSRC2:TGID_Z_EN: 0
; COMPUTE_PGM_RSRC2:TIDIG_COMP_CNT: 0
	.section	.text._ZN7rocprim17ROCPRIM_400000_NS6detail17trampoline_kernelINS0_13kernel_configILj256ELj4ELj4294967295EEENS1_37radix_sort_block_sort_config_selectorIjN6thrust23THRUST_200600_302600_NS5tupleIffNS7_9null_typeES9_S9_S9_S9_S9_S9_S9_EEEEZNS1_21radix_sort_block_sortIS4_Lb0ENS7_6detail15normal_iteratorINS7_10device_ptrIjEEEESH_NSE_INSF_ISA_EEEESJ_NS0_19identity_decomposerEEE10hipError_tT1_T2_T3_T4_jRjT5_jjP12ihipStream_tbEUlT_E_NS1_11comp_targetILNS1_3genE5ELNS1_11target_archE942ELNS1_3gpuE9ELNS1_3repE0EEENS1_44radix_sort_block_sort_config_static_selectorELNS0_4arch9wavefront6targetE0EEEvSM_,"axG",@progbits,_ZN7rocprim17ROCPRIM_400000_NS6detail17trampoline_kernelINS0_13kernel_configILj256ELj4ELj4294967295EEENS1_37radix_sort_block_sort_config_selectorIjN6thrust23THRUST_200600_302600_NS5tupleIffNS7_9null_typeES9_S9_S9_S9_S9_S9_S9_EEEEZNS1_21radix_sort_block_sortIS4_Lb0ENS7_6detail15normal_iteratorINS7_10device_ptrIjEEEESH_NSE_INSF_ISA_EEEESJ_NS0_19identity_decomposerEEE10hipError_tT1_T2_T3_T4_jRjT5_jjP12ihipStream_tbEUlT_E_NS1_11comp_targetILNS1_3genE5ELNS1_11target_archE942ELNS1_3gpuE9ELNS1_3repE0EEENS1_44radix_sort_block_sort_config_static_selectorELNS0_4arch9wavefront6targetE0EEEvSM_,comdat
	.protected	_ZN7rocprim17ROCPRIM_400000_NS6detail17trampoline_kernelINS0_13kernel_configILj256ELj4ELj4294967295EEENS1_37radix_sort_block_sort_config_selectorIjN6thrust23THRUST_200600_302600_NS5tupleIffNS7_9null_typeES9_S9_S9_S9_S9_S9_S9_EEEEZNS1_21radix_sort_block_sortIS4_Lb0ENS7_6detail15normal_iteratorINS7_10device_ptrIjEEEESH_NSE_INSF_ISA_EEEESJ_NS0_19identity_decomposerEEE10hipError_tT1_T2_T3_T4_jRjT5_jjP12ihipStream_tbEUlT_E_NS1_11comp_targetILNS1_3genE5ELNS1_11target_archE942ELNS1_3gpuE9ELNS1_3repE0EEENS1_44radix_sort_block_sort_config_static_selectorELNS0_4arch9wavefront6targetE0EEEvSM_ ; -- Begin function _ZN7rocprim17ROCPRIM_400000_NS6detail17trampoline_kernelINS0_13kernel_configILj256ELj4ELj4294967295EEENS1_37radix_sort_block_sort_config_selectorIjN6thrust23THRUST_200600_302600_NS5tupleIffNS7_9null_typeES9_S9_S9_S9_S9_S9_S9_EEEEZNS1_21radix_sort_block_sortIS4_Lb0ENS7_6detail15normal_iteratorINS7_10device_ptrIjEEEESH_NSE_INSF_ISA_EEEESJ_NS0_19identity_decomposerEEE10hipError_tT1_T2_T3_T4_jRjT5_jjP12ihipStream_tbEUlT_E_NS1_11comp_targetILNS1_3genE5ELNS1_11target_archE942ELNS1_3gpuE9ELNS1_3repE0EEENS1_44radix_sort_block_sort_config_static_selectorELNS0_4arch9wavefront6targetE0EEEvSM_
	.globl	_ZN7rocprim17ROCPRIM_400000_NS6detail17trampoline_kernelINS0_13kernel_configILj256ELj4ELj4294967295EEENS1_37radix_sort_block_sort_config_selectorIjN6thrust23THRUST_200600_302600_NS5tupleIffNS7_9null_typeES9_S9_S9_S9_S9_S9_S9_EEEEZNS1_21radix_sort_block_sortIS4_Lb0ENS7_6detail15normal_iteratorINS7_10device_ptrIjEEEESH_NSE_INSF_ISA_EEEESJ_NS0_19identity_decomposerEEE10hipError_tT1_T2_T3_T4_jRjT5_jjP12ihipStream_tbEUlT_E_NS1_11comp_targetILNS1_3genE5ELNS1_11target_archE942ELNS1_3gpuE9ELNS1_3repE0EEENS1_44radix_sort_block_sort_config_static_selectorELNS0_4arch9wavefront6targetE0EEEvSM_
	.p2align	8
	.type	_ZN7rocprim17ROCPRIM_400000_NS6detail17trampoline_kernelINS0_13kernel_configILj256ELj4ELj4294967295EEENS1_37radix_sort_block_sort_config_selectorIjN6thrust23THRUST_200600_302600_NS5tupleIffNS7_9null_typeES9_S9_S9_S9_S9_S9_S9_EEEEZNS1_21radix_sort_block_sortIS4_Lb0ENS7_6detail15normal_iteratorINS7_10device_ptrIjEEEESH_NSE_INSF_ISA_EEEESJ_NS0_19identity_decomposerEEE10hipError_tT1_T2_T3_T4_jRjT5_jjP12ihipStream_tbEUlT_E_NS1_11comp_targetILNS1_3genE5ELNS1_11target_archE942ELNS1_3gpuE9ELNS1_3repE0EEENS1_44radix_sort_block_sort_config_static_selectorELNS0_4arch9wavefront6targetE0EEEvSM_,@function
_ZN7rocprim17ROCPRIM_400000_NS6detail17trampoline_kernelINS0_13kernel_configILj256ELj4ELj4294967295EEENS1_37radix_sort_block_sort_config_selectorIjN6thrust23THRUST_200600_302600_NS5tupleIffNS7_9null_typeES9_S9_S9_S9_S9_S9_S9_EEEEZNS1_21radix_sort_block_sortIS4_Lb0ENS7_6detail15normal_iteratorINS7_10device_ptrIjEEEESH_NSE_INSF_ISA_EEEESJ_NS0_19identity_decomposerEEE10hipError_tT1_T2_T3_T4_jRjT5_jjP12ihipStream_tbEUlT_E_NS1_11comp_targetILNS1_3genE5ELNS1_11target_archE942ELNS1_3gpuE9ELNS1_3repE0EEENS1_44radix_sort_block_sort_config_static_selectorELNS0_4arch9wavefront6targetE0EEEvSM_: ; @_ZN7rocprim17ROCPRIM_400000_NS6detail17trampoline_kernelINS0_13kernel_configILj256ELj4ELj4294967295EEENS1_37radix_sort_block_sort_config_selectorIjN6thrust23THRUST_200600_302600_NS5tupleIffNS7_9null_typeES9_S9_S9_S9_S9_S9_S9_EEEEZNS1_21radix_sort_block_sortIS4_Lb0ENS7_6detail15normal_iteratorINS7_10device_ptrIjEEEESH_NSE_INSF_ISA_EEEESJ_NS0_19identity_decomposerEEE10hipError_tT1_T2_T3_T4_jRjT5_jjP12ihipStream_tbEUlT_E_NS1_11comp_targetILNS1_3genE5ELNS1_11target_archE942ELNS1_3gpuE9ELNS1_3repE0EEENS1_44radix_sort_block_sort_config_static_selectorELNS0_4arch9wavefront6targetE0EEEvSM_
; %bb.0:
	.section	.rodata,"a",@progbits
	.p2align	6, 0x0
	.amdhsa_kernel _ZN7rocprim17ROCPRIM_400000_NS6detail17trampoline_kernelINS0_13kernel_configILj256ELj4ELj4294967295EEENS1_37radix_sort_block_sort_config_selectorIjN6thrust23THRUST_200600_302600_NS5tupleIffNS7_9null_typeES9_S9_S9_S9_S9_S9_S9_EEEEZNS1_21radix_sort_block_sortIS4_Lb0ENS7_6detail15normal_iteratorINS7_10device_ptrIjEEEESH_NSE_INSF_ISA_EEEESJ_NS0_19identity_decomposerEEE10hipError_tT1_T2_T3_T4_jRjT5_jjP12ihipStream_tbEUlT_E_NS1_11comp_targetILNS1_3genE5ELNS1_11target_archE942ELNS1_3gpuE9ELNS1_3repE0EEENS1_44radix_sort_block_sort_config_static_selectorELNS0_4arch9wavefront6targetE0EEEvSM_
		.amdhsa_group_segment_fixed_size 0
		.amdhsa_private_segment_fixed_size 0
		.amdhsa_kernarg_size 48
		.amdhsa_user_sgpr_count 6
		.amdhsa_user_sgpr_private_segment_buffer 1
		.amdhsa_user_sgpr_dispatch_ptr 0
		.amdhsa_user_sgpr_queue_ptr 0
		.amdhsa_user_sgpr_kernarg_segment_ptr 1
		.amdhsa_user_sgpr_dispatch_id 0
		.amdhsa_user_sgpr_flat_scratch_init 0
		.amdhsa_user_sgpr_private_segment_size 0
		.amdhsa_wavefront_size32 1
		.amdhsa_uses_dynamic_stack 0
		.amdhsa_system_sgpr_private_segment_wavefront_offset 0
		.amdhsa_system_sgpr_workgroup_id_x 1
		.amdhsa_system_sgpr_workgroup_id_y 0
		.amdhsa_system_sgpr_workgroup_id_z 0
		.amdhsa_system_sgpr_workgroup_info 0
		.amdhsa_system_vgpr_workitem_id 0
		.amdhsa_next_free_vgpr 1
		.amdhsa_next_free_sgpr 1
		.amdhsa_reserve_vcc 0
		.amdhsa_reserve_flat_scratch 0
		.amdhsa_float_round_mode_32 0
		.amdhsa_float_round_mode_16_64 0
		.amdhsa_float_denorm_mode_32 3
		.amdhsa_float_denorm_mode_16_64 3
		.amdhsa_dx10_clamp 1
		.amdhsa_ieee_mode 1
		.amdhsa_fp16_overflow 0
		.amdhsa_workgroup_processor_mode 1
		.amdhsa_memory_ordered 1
		.amdhsa_forward_progress 1
		.amdhsa_shared_vgpr_count 0
		.amdhsa_exception_fp_ieee_invalid_op 0
		.amdhsa_exception_fp_denorm_src 0
		.amdhsa_exception_fp_ieee_div_zero 0
		.amdhsa_exception_fp_ieee_overflow 0
		.amdhsa_exception_fp_ieee_underflow 0
		.amdhsa_exception_fp_ieee_inexact 0
		.amdhsa_exception_int_div_zero 0
	.end_amdhsa_kernel
	.section	.text._ZN7rocprim17ROCPRIM_400000_NS6detail17trampoline_kernelINS0_13kernel_configILj256ELj4ELj4294967295EEENS1_37radix_sort_block_sort_config_selectorIjN6thrust23THRUST_200600_302600_NS5tupleIffNS7_9null_typeES9_S9_S9_S9_S9_S9_S9_EEEEZNS1_21radix_sort_block_sortIS4_Lb0ENS7_6detail15normal_iteratorINS7_10device_ptrIjEEEESH_NSE_INSF_ISA_EEEESJ_NS0_19identity_decomposerEEE10hipError_tT1_T2_T3_T4_jRjT5_jjP12ihipStream_tbEUlT_E_NS1_11comp_targetILNS1_3genE5ELNS1_11target_archE942ELNS1_3gpuE9ELNS1_3repE0EEENS1_44radix_sort_block_sort_config_static_selectorELNS0_4arch9wavefront6targetE0EEEvSM_,"axG",@progbits,_ZN7rocprim17ROCPRIM_400000_NS6detail17trampoline_kernelINS0_13kernel_configILj256ELj4ELj4294967295EEENS1_37radix_sort_block_sort_config_selectorIjN6thrust23THRUST_200600_302600_NS5tupleIffNS7_9null_typeES9_S9_S9_S9_S9_S9_S9_EEEEZNS1_21radix_sort_block_sortIS4_Lb0ENS7_6detail15normal_iteratorINS7_10device_ptrIjEEEESH_NSE_INSF_ISA_EEEESJ_NS0_19identity_decomposerEEE10hipError_tT1_T2_T3_T4_jRjT5_jjP12ihipStream_tbEUlT_E_NS1_11comp_targetILNS1_3genE5ELNS1_11target_archE942ELNS1_3gpuE9ELNS1_3repE0EEENS1_44radix_sort_block_sort_config_static_selectorELNS0_4arch9wavefront6targetE0EEEvSM_,comdat
.Lfunc_end8:
	.size	_ZN7rocprim17ROCPRIM_400000_NS6detail17trampoline_kernelINS0_13kernel_configILj256ELj4ELj4294967295EEENS1_37radix_sort_block_sort_config_selectorIjN6thrust23THRUST_200600_302600_NS5tupleIffNS7_9null_typeES9_S9_S9_S9_S9_S9_S9_EEEEZNS1_21radix_sort_block_sortIS4_Lb0ENS7_6detail15normal_iteratorINS7_10device_ptrIjEEEESH_NSE_INSF_ISA_EEEESJ_NS0_19identity_decomposerEEE10hipError_tT1_T2_T3_T4_jRjT5_jjP12ihipStream_tbEUlT_E_NS1_11comp_targetILNS1_3genE5ELNS1_11target_archE942ELNS1_3gpuE9ELNS1_3repE0EEENS1_44radix_sort_block_sort_config_static_selectorELNS0_4arch9wavefront6targetE0EEEvSM_, .Lfunc_end8-_ZN7rocprim17ROCPRIM_400000_NS6detail17trampoline_kernelINS0_13kernel_configILj256ELj4ELj4294967295EEENS1_37radix_sort_block_sort_config_selectorIjN6thrust23THRUST_200600_302600_NS5tupleIffNS7_9null_typeES9_S9_S9_S9_S9_S9_S9_EEEEZNS1_21radix_sort_block_sortIS4_Lb0ENS7_6detail15normal_iteratorINS7_10device_ptrIjEEEESH_NSE_INSF_ISA_EEEESJ_NS0_19identity_decomposerEEE10hipError_tT1_T2_T3_T4_jRjT5_jjP12ihipStream_tbEUlT_E_NS1_11comp_targetILNS1_3genE5ELNS1_11target_archE942ELNS1_3gpuE9ELNS1_3repE0EEENS1_44radix_sort_block_sort_config_static_selectorELNS0_4arch9wavefront6targetE0EEEvSM_
                                        ; -- End function
	.set _ZN7rocprim17ROCPRIM_400000_NS6detail17trampoline_kernelINS0_13kernel_configILj256ELj4ELj4294967295EEENS1_37radix_sort_block_sort_config_selectorIjN6thrust23THRUST_200600_302600_NS5tupleIffNS7_9null_typeES9_S9_S9_S9_S9_S9_S9_EEEEZNS1_21radix_sort_block_sortIS4_Lb0ENS7_6detail15normal_iteratorINS7_10device_ptrIjEEEESH_NSE_INSF_ISA_EEEESJ_NS0_19identity_decomposerEEE10hipError_tT1_T2_T3_T4_jRjT5_jjP12ihipStream_tbEUlT_E_NS1_11comp_targetILNS1_3genE5ELNS1_11target_archE942ELNS1_3gpuE9ELNS1_3repE0EEENS1_44radix_sort_block_sort_config_static_selectorELNS0_4arch9wavefront6targetE0EEEvSM_.num_vgpr, 0
	.set _ZN7rocprim17ROCPRIM_400000_NS6detail17trampoline_kernelINS0_13kernel_configILj256ELj4ELj4294967295EEENS1_37radix_sort_block_sort_config_selectorIjN6thrust23THRUST_200600_302600_NS5tupleIffNS7_9null_typeES9_S9_S9_S9_S9_S9_S9_EEEEZNS1_21radix_sort_block_sortIS4_Lb0ENS7_6detail15normal_iteratorINS7_10device_ptrIjEEEESH_NSE_INSF_ISA_EEEESJ_NS0_19identity_decomposerEEE10hipError_tT1_T2_T3_T4_jRjT5_jjP12ihipStream_tbEUlT_E_NS1_11comp_targetILNS1_3genE5ELNS1_11target_archE942ELNS1_3gpuE9ELNS1_3repE0EEENS1_44radix_sort_block_sort_config_static_selectorELNS0_4arch9wavefront6targetE0EEEvSM_.num_agpr, 0
	.set _ZN7rocprim17ROCPRIM_400000_NS6detail17trampoline_kernelINS0_13kernel_configILj256ELj4ELj4294967295EEENS1_37radix_sort_block_sort_config_selectorIjN6thrust23THRUST_200600_302600_NS5tupleIffNS7_9null_typeES9_S9_S9_S9_S9_S9_S9_EEEEZNS1_21radix_sort_block_sortIS4_Lb0ENS7_6detail15normal_iteratorINS7_10device_ptrIjEEEESH_NSE_INSF_ISA_EEEESJ_NS0_19identity_decomposerEEE10hipError_tT1_T2_T3_T4_jRjT5_jjP12ihipStream_tbEUlT_E_NS1_11comp_targetILNS1_3genE5ELNS1_11target_archE942ELNS1_3gpuE9ELNS1_3repE0EEENS1_44radix_sort_block_sort_config_static_selectorELNS0_4arch9wavefront6targetE0EEEvSM_.numbered_sgpr, 0
	.set _ZN7rocprim17ROCPRIM_400000_NS6detail17trampoline_kernelINS0_13kernel_configILj256ELj4ELj4294967295EEENS1_37radix_sort_block_sort_config_selectorIjN6thrust23THRUST_200600_302600_NS5tupleIffNS7_9null_typeES9_S9_S9_S9_S9_S9_S9_EEEEZNS1_21radix_sort_block_sortIS4_Lb0ENS7_6detail15normal_iteratorINS7_10device_ptrIjEEEESH_NSE_INSF_ISA_EEEESJ_NS0_19identity_decomposerEEE10hipError_tT1_T2_T3_T4_jRjT5_jjP12ihipStream_tbEUlT_E_NS1_11comp_targetILNS1_3genE5ELNS1_11target_archE942ELNS1_3gpuE9ELNS1_3repE0EEENS1_44radix_sort_block_sort_config_static_selectorELNS0_4arch9wavefront6targetE0EEEvSM_.num_named_barrier, 0
	.set _ZN7rocprim17ROCPRIM_400000_NS6detail17trampoline_kernelINS0_13kernel_configILj256ELj4ELj4294967295EEENS1_37radix_sort_block_sort_config_selectorIjN6thrust23THRUST_200600_302600_NS5tupleIffNS7_9null_typeES9_S9_S9_S9_S9_S9_S9_EEEEZNS1_21radix_sort_block_sortIS4_Lb0ENS7_6detail15normal_iteratorINS7_10device_ptrIjEEEESH_NSE_INSF_ISA_EEEESJ_NS0_19identity_decomposerEEE10hipError_tT1_T2_T3_T4_jRjT5_jjP12ihipStream_tbEUlT_E_NS1_11comp_targetILNS1_3genE5ELNS1_11target_archE942ELNS1_3gpuE9ELNS1_3repE0EEENS1_44radix_sort_block_sort_config_static_selectorELNS0_4arch9wavefront6targetE0EEEvSM_.private_seg_size, 0
	.set _ZN7rocprim17ROCPRIM_400000_NS6detail17trampoline_kernelINS0_13kernel_configILj256ELj4ELj4294967295EEENS1_37radix_sort_block_sort_config_selectorIjN6thrust23THRUST_200600_302600_NS5tupleIffNS7_9null_typeES9_S9_S9_S9_S9_S9_S9_EEEEZNS1_21radix_sort_block_sortIS4_Lb0ENS7_6detail15normal_iteratorINS7_10device_ptrIjEEEESH_NSE_INSF_ISA_EEEESJ_NS0_19identity_decomposerEEE10hipError_tT1_T2_T3_T4_jRjT5_jjP12ihipStream_tbEUlT_E_NS1_11comp_targetILNS1_3genE5ELNS1_11target_archE942ELNS1_3gpuE9ELNS1_3repE0EEENS1_44radix_sort_block_sort_config_static_selectorELNS0_4arch9wavefront6targetE0EEEvSM_.uses_vcc, 0
	.set _ZN7rocprim17ROCPRIM_400000_NS6detail17trampoline_kernelINS0_13kernel_configILj256ELj4ELj4294967295EEENS1_37radix_sort_block_sort_config_selectorIjN6thrust23THRUST_200600_302600_NS5tupleIffNS7_9null_typeES9_S9_S9_S9_S9_S9_S9_EEEEZNS1_21radix_sort_block_sortIS4_Lb0ENS7_6detail15normal_iteratorINS7_10device_ptrIjEEEESH_NSE_INSF_ISA_EEEESJ_NS0_19identity_decomposerEEE10hipError_tT1_T2_T3_T4_jRjT5_jjP12ihipStream_tbEUlT_E_NS1_11comp_targetILNS1_3genE5ELNS1_11target_archE942ELNS1_3gpuE9ELNS1_3repE0EEENS1_44radix_sort_block_sort_config_static_selectorELNS0_4arch9wavefront6targetE0EEEvSM_.uses_flat_scratch, 0
	.set _ZN7rocprim17ROCPRIM_400000_NS6detail17trampoline_kernelINS0_13kernel_configILj256ELj4ELj4294967295EEENS1_37radix_sort_block_sort_config_selectorIjN6thrust23THRUST_200600_302600_NS5tupleIffNS7_9null_typeES9_S9_S9_S9_S9_S9_S9_EEEEZNS1_21radix_sort_block_sortIS4_Lb0ENS7_6detail15normal_iteratorINS7_10device_ptrIjEEEESH_NSE_INSF_ISA_EEEESJ_NS0_19identity_decomposerEEE10hipError_tT1_T2_T3_T4_jRjT5_jjP12ihipStream_tbEUlT_E_NS1_11comp_targetILNS1_3genE5ELNS1_11target_archE942ELNS1_3gpuE9ELNS1_3repE0EEENS1_44radix_sort_block_sort_config_static_selectorELNS0_4arch9wavefront6targetE0EEEvSM_.has_dyn_sized_stack, 0
	.set _ZN7rocprim17ROCPRIM_400000_NS6detail17trampoline_kernelINS0_13kernel_configILj256ELj4ELj4294967295EEENS1_37radix_sort_block_sort_config_selectorIjN6thrust23THRUST_200600_302600_NS5tupleIffNS7_9null_typeES9_S9_S9_S9_S9_S9_S9_EEEEZNS1_21radix_sort_block_sortIS4_Lb0ENS7_6detail15normal_iteratorINS7_10device_ptrIjEEEESH_NSE_INSF_ISA_EEEESJ_NS0_19identity_decomposerEEE10hipError_tT1_T2_T3_T4_jRjT5_jjP12ihipStream_tbEUlT_E_NS1_11comp_targetILNS1_3genE5ELNS1_11target_archE942ELNS1_3gpuE9ELNS1_3repE0EEENS1_44radix_sort_block_sort_config_static_selectorELNS0_4arch9wavefront6targetE0EEEvSM_.has_recursion, 0
	.set _ZN7rocprim17ROCPRIM_400000_NS6detail17trampoline_kernelINS0_13kernel_configILj256ELj4ELj4294967295EEENS1_37radix_sort_block_sort_config_selectorIjN6thrust23THRUST_200600_302600_NS5tupleIffNS7_9null_typeES9_S9_S9_S9_S9_S9_S9_EEEEZNS1_21radix_sort_block_sortIS4_Lb0ENS7_6detail15normal_iteratorINS7_10device_ptrIjEEEESH_NSE_INSF_ISA_EEEESJ_NS0_19identity_decomposerEEE10hipError_tT1_T2_T3_T4_jRjT5_jjP12ihipStream_tbEUlT_E_NS1_11comp_targetILNS1_3genE5ELNS1_11target_archE942ELNS1_3gpuE9ELNS1_3repE0EEENS1_44radix_sort_block_sort_config_static_selectorELNS0_4arch9wavefront6targetE0EEEvSM_.has_indirect_call, 0
	.section	.AMDGPU.csdata,"",@progbits
; Kernel info:
; codeLenInByte = 0
; TotalNumSgprs: 0
; NumVgprs: 0
; ScratchSize: 0
; MemoryBound: 0
; FloatMode: 240
; IeeeMode: 1
; LDSByteSize: 0 bytes/workgroup (compile time only)
; SGPRBlocks: 0
; VGPRBlocks: 0
; NumSGPRsForWavesPerEU: 1
; NumVGPRsForWavesPerEU: 1
; Occupancy: 16
; WaveLimiterHint : 0
; COMPUTE_PGM_RSRC2:SCRATCH_EN: 0
; COMPUTE_PGM_RSRC2:USER_SGPR: 6
; COMPUTE_PGM_RSRC2:TRAP_HANDLER: 0
; COMPUTE_PGM_RSRC2:TGID_X_EN: 1
; COMPUTE_PGM_RSRC2:TGID_Y_EN: 0
; COMPUTE_PGM_RSRC2:TGID_Z_EN: 0
; COMPUTE_PGM_RSRC2:TIDIG_COMP_CNT: 0
	.section	.text._ZN7rocprim17ROCPRIM_400000_NS6detail17trampoline_kernelINS0_13kernel_configILj256ELj4ELj4294967295EEENS1_37radix_sort_block_sort_config_selectorIjN6thrust23THRUST_200600_302600_NS5tupleIffNS7_9null_typeES9_S9_S9_S9_S9_S9_S9_EEEEZNS1_21radix_sort_block_sortIS4_Lb0ENS7_6detail15normal_iteratorINS7_10device_ptrIjEEEESH_NSE_INSF_ISA_EEEESJ_NS0_19identity_decomposerEEE10hipError_tT1_T2_T3_T4_jRjT5_jjP12ihipStream_tbEUlT_E_NS1_11comp_targetILNS1_3genE4ELNS1_11target_archE910ELNS1_3gpuE8ELNS1_3repE0EEENS1_44radix_sort_block_sort_config_static_selectorELNS0_4arch9wavefront6targetE0EEEvSM_,"axG",@progbits,_ZN7rocprim17ROCPRIM_400000_NS6detail17trampoline_kernelINS0_13kernel_configILj256ELj4ELj4294967295EEENS1_37radix_sort_block_sort_config_selectorIjN6thrust23THRUST_200600_302600_NS5tupleIffNS7_9null_typeES9_S9_S9_S9_S9_S9_S9_EEEEZNS1_21radix_sort_block_sortIS4_Lb0ENS7_6detail15normal_iteratorINS7_10device_ptrIjEEEESH_NSE_INSF_ISA_EEEESJ_NS0_19identity_decomposerEEE10hipError_tT1_T2_T3_T4_jRjT5_jjP12ihipStream_tbEUlT_E_NS1_11comp_targetILNS1_3genE4ELNS1_11target_archE910ELNS1_3gpuE8ELNS1_3repE0EEENS1_44radix_sort_block_sort_config_static_selectorELNS0_4arch9wavefront6targetE0EEEvSM_,comdat
	.protected	_ZN7rocprim17ROCPRIM_400000_NS6detail17trampoline_kernelINS0_13kernel_configILj256ELj4ELj4294967295EEENS1_37radix_sort_block_sort_config_selectorIjN6thrust23THRUST_200600_302600_NS5tupleIffNS7_9null_typeES9_S9_S9_S9_S9_S9_S9_EEEEZNS1_21radix_sort_block_sortIS4_Lb0ENS7_6detail15normal_iteratorINS7_10device_ptrIjEEEESH_NSE_INSF_ISA_EEEESJ_NS0_19identity_decomposerEEE10hipError_tT1_T2_T3_T4_jRjT5_jjP12ihipStream_tbEUlT_E_NS1_11comp_targetILNS1_3genE4ELNS1_11target_archE910ELNS1_3gpuE8ELNS1_3repE0EEENS1_44radix_sort_block_sort_config_static_selectorELNS0_4arch9wavefront6targetE0EEEvSM_ ; -- Begin function _ZN7rocprim17ROCPRIM_400000_NS6detail17trampoline_kernelINS0_13kernel_configILj256ELj4ELj4294967295EEENS1_37radix_sort_block_sort_config_selectorIjN6thrust23THRUST_200600_302600_NS5tupleIffNS7_9null_typeES9_S9_S9_S9_S9_S9_S9_EEEEZNS1_21radix_sort_block_sortIS4_Lb0ENS7_6detail15normal_iteratorINS7_10device_ptrIjEEEESH_NSE_INSF_ISA_EEEESJ_NS0_19identity_decomposerEEE10hipError_tT1_T2_T3_T4_jRjT5_jjP12ihipStream_tbEUlT_E_NS1_11comp_targetILNS1_3genE4ELNS1_11target_archE910ELNS1_3gpuE8ELNS1_3repE0EEENS1_44radix_sort_block_sort_config_static_selectorELNS0_4arch9wavefront6targetE0EEEvSM_
	.globl	_ZN7rocprim17ROCPRIM_400000_NS6detail17trampoline_kernelINS0_13kernel_configILj256ELj4ELj4294967295EEENS1_37radix_sort_block_sort_config_selectorIjN6thrust23THRUST_200600_302600_NS5tupleIffNS7_9null_typeES9_S9_S9_S9_S9_S9_S9_EEEEZNS1_21radix_sort_block_sortIS4_Lb0ENS7_6detail15normal_iteratorINS7_10device_ptrIjEEEESH_NSE_INSF_ISA_EEEESJ_NS0_19identity_decomposerEEE10hipError_tT1_T2_T3_T4_jRjT5_jjP12ihipStream_tbEUlT_E_NS1_11comp_targetILNS1_3genE4ELNS1_11target_archE910ELNS1_3gpuE8ELNS1_3repE0EEENS1_44radix_sort_block_sort_config_static_selectorELNS0_4arch9wavefront6targetE0EEEvSM_
	.p2align	8
	.type	_ZN7rocprim17ROCPRIM_400000_NS6detail17trampoline_kernelINS0_13kernel_configILj256ELj4ELj4294967295EEENS1_37radix_sort_block_sort_config_selectorIjN6thrust23THRUST_200600_302600_NS5tupleIffNS7_9null_typeES9_S9_S9_S9_S9_S9_S9_EEEEZNS1_21radix_sort_block_sortIS4_Lb0ENS7_6detail15normal_iteratorINS7_10device_ptrIjEEEESH_NSE_INSF_ISA_EEEESJ_NS0_19identity_decomposerEEE10hipError_tT1_T2_T3_T4_jRjT5_jjP12ihipStream_tbEUlT_E_NS1_11comp_targetILNS1_3genE4ELNS1_11target_archE910ELNS1_3gpuE8ELNS1_3repE0EEENS1_44radix_sort_block_sort_config_static_selectorELNS0_4arch9wavefront6targetE0EEEvSM_,@function
_ZN7rocprim17ROCPRIM_400000_NS6detail17trampoline_kernelINS0_13kernel_configILj256ELj4ELj4294967295EEENS1_37radix_sort_block_sort_config_selectorIjN6thrust23THRUST_200600_302600_NS5tupleIffNS7_9null_typeES9_S9_S9_S9_S9_S9_S9_EEEEZNS1_21radix_sort_block_sortIS4_Lb0ENS7_6detail15normal_iteratorINS7_10device_ptrIjEEEESH_NSE_INSF_ISA_EEEESJ_NS0_19identity_decomposerEEE10hipError_tT1_T2_T3_T4_jRjT5_jjP12ihipStream_tbEUlT_E_NS1_11comp_targetILNS1_3genE4ELNS1_11target_archE910ELNS1_3gpuE8ELNS1_3repE0EEENS1_44radix_sort_block_sort_config_static_selectorELNS0_4arch9wavefront6targetE0EEEvSM_: ; @_ZN7rocprim17ROCPRIM_400000_NS6detail17trampoline_kernelINS0_13kernel_configILj256ELj4ELj4294967295EEENS1_37radix_sort_block_sort_config_selectorIjN6thrust23THRUST_200600_302600_NS5tupleIffNS7_9null_typeES9_S9_S9_S9_S9_S9_S9_EEEEZNS1_21radix_sort_block_sortIS4_Lb0ENS7_6detail15normal_iteratorINS7_10device_ptrIjEEEESH_NSE_INSF_ISA_EEEESJ_NS0_19identity_decomposerEEE10hipError_tT1_T2_T3_T4_jRjT5_jjP12ihipStream_tbEUlT_E_NS1_11comp_targetILNS1_3genE4ELNS1_11target_archE910ELNS1_3gpuE8ELNS1_3repE0EEENS1_44radix_sort_block_sort_config_static_selectorELNS0_4arch9wavefront6targetE0EEEvSM_
; %bb.0:
	.section	.rodata,"a",@progbits
	.p2align	6, 0x0
	.amdhsa_kernel _ZN7rocprim17ROCPRIM_400000_NS6detail17trampoline_kernelINS0_13kernel_configILj256ELj4ELj4294967295EEENS1_37radix_sort_block_sort_config_selectorIjN6thrust23THRUST_200600_302600_NS5tupleIffNS7_9null_typeES9_S9_S9_S9_S9_S9_S9_EEEEZNS1_21radix_sort_block_sortIS4_Lb0ENS7_6detail15normal_iteratorINS7_10device_ptrIjEEEESH_NSE_INSF_ISA_EEEESJ_NS0_19identity_decomposerEEE10hipError_tT1_T2_T3_T4_jRjT5_jjP12ihipStream_tbEUlT_E_NS1_11comp_targetILNS1_3genE4ELNS1_11target_archE910ELNS1_3gpuE8ELNS1_3repE0EEENS1_44radix_sort_block_sort_config_static_selectorELNS0_4arch9wavefront6targetE0EEEvSM_
		.amdhsa_group_segment_fixed_size 0
		.amdhsa_private_segment_fixed_size 0
		.amdhsa_kernarg_size 48
		.amdhsa_user_sgpr_count 6
		.amdhsa_user_sgpr_private_segment_buffer 1
		.amdhsa_user_sgpr_dispatch_ptr 0
		.amdhsa_user_sgpr_queue_ptr 0
		.amdhsa_user_sgpr_kernarg_segment_ptr 1
		.amdhsa_user_sgpr_dispatch_id 0
		.amdhsa_user_sgpr_flat_scratch_init 0
		.amdhsa_user_sgpr_private_segment_size 0
		.amdhsa_wavefront_size32 1
		.amdhsa_uses_dynamic_stack 0
		.amdhsa_system_sgpr_private_segment_wavefront_offset 0
		.amdhsa_system_sgpr_workgroup_id_x 1
		.amdhsa_system_sgpr_workgroup_id_y 0
		.amdhsa_system_sgpr_workgroup_id_z 0
		.amdhsa_system_sgpr_workgroup_info 0
		.amdhsa_system_vgpr_workitem_id 0
		.amdhsa_next_free_vgpr 1
		.amdhsa_next_free_sgpr 1
		.amdhsa_reserve_vcc 0
		.amdhsa_reserve_flat_scratch 0
		.amdhsa_float_round_mode_32 0
		.amdhsa_float_round_mode_16_64 0
		.amdhsa_float_denorm_mode_32 3
		.amdhsa_float_denorm_mode_16_64 3
		.amdhsa_dx10_clamp 1
		.amdhsa_ieee_mode 1
		.amdhsa_fp16_overflow 0
		.amdhsa_workgroup_processor_mode 1
		.amdhsa_memory_ordered 1
		.amdhsa_forward_progress 1
		.amdhsa_shared_vgpr_count 0
		.amdhsa_exception_fp_ieee_invalid_op 0
		.amdhsa_exception_fp_denorm_src 0
		.amdhsa_exception_fp_ieee_div_zero 0
		.amdhsa_exception_fp_ieee_overflow 0
		.amdhsa_exception_fp_ieee_underflow 0
		.amdhsa_exception_fp_ieee_inexact 0
		.amdhsa_exception_int_div_zero 0
	.end_amdhsa_kernel
	.section	.text._ZN7rocprim17ROCPRIM_400000_NS6detail17trampoline_kernelINS0_13kernel_configILj256ELj4ELj4294967295EEENS1_37radix_sort_block_sort_config_selectorIjN6thrust23THRUST_200600_302600_NS5tupleIffNS7_9null_typeES9_S9_S9_S9_S9_S9_S9_EEEEZNS1_21radix_sort_block_sortIS4_Lb0ENS7_6detail15normal_iteratorINS7_10device_ptrIjEEEESH_NSE_INSF_ISA_EEEESJ_NS0_19identity_decomposerEEE10hipError_tT1_T2_T3_T4_jRjT5_jjP12ihipStream_tbEUlT_E_NS1_11comp_targetILNS1_3genE4ELNS1_11target_archE910ELNS1_3gpuE8ELNS1_3repE0EEENS1_44radix_sort_block_sort_config_static_selectorELNS0_4arch9wavefront6targetE0EEEvSM_,"axG",@progbits,_ZN7rocprim17ROCPRIM_400000_NS6detail17trampoline_kernelINS0_13kernel_configILj256ELj4ELj4294967295EEENS1_37radix_sort_block_sort_config_selectorIjN6thrust23THRUST_200600_302600_NS5tupleIffNS7_9null_typeES9_S9_S9_S9_S9_S9_S9_EEEEZNS1_21radix_sort_block_sortIS4_Lb0ENS7_6detail15normal_iteratorINS7_10device_ptrIjEEEESH_NSE_INSF_ISA_EEEESJ_NS0_19identity_decomposerEEE10hipError_tT1_T2_T3_T4_jRjT5_jjP12ihipStream_tbEUlT_E_NS1_11comp_targetILNS1_3genE4ELNS1_11target_archE910ELNS1_3gpuE8ELNS1_3repE0EEENS1_44radix_sort_block_sort_config_static_selectorELNS0_4arch9wavefront6targetE0EEEvSM_,comdat
.Lfunc_end9:
	.size	_ZN7rocprim17ROCPRIM_400000_NS6detail17trampoline_kernelINS0_13kernel_configILj256ELj4ELj4294967295EEENS1_37radix_sort_block_sort_config_selectorIjN6thrust23THRUST_200600_302600_NS5tupleIffNS7_9null_typeES9_S9_S9_S9_S9_S9_S9_EEEEZNS1_21radix_sort_block_sortIS4_Lb0ENS7_6detail15normal_iteratorINS7_10device_ptrIjEEEESH_NSE_INSF_ISA_EEEESJ_NS0_19identity_decomposerEEE10hipError_tT1_T2_T3_T4_jRjT5_jjP12ihipStream_tbEUlT_E_NS1_11comp_targetILNS1_3genE4ELNS1_11target_archE910ELNS1_3gpuE8ELNS1_3repE0EEENS1_44radix_sort_block_sort_config_static_selectorELNS0_4arch9wavefront6targetE0EEEvSM_, .Lfunc_end9-_ZN7rocprim17ROCPRIM_400000_NS6detail17trampoline_kernelINS0_13kernel_configILj256ELj4ELj4294967295EEENS1_37radix_sort_block_sort_config_selectorIjN6thrust23THRUST_200600_302600_NS5tupleIffNS7_9null_typeES9_S9_S9_S9_S9_S9_S9_EEEEZNS1_21radix_sort_block_sortIS4_Lb0ENS7_6detail15normal_iteratorINS7_10device_ptrIjEEEESH_NSE_INSF_ISA_EEEESJ_NS0_19identity_decomposerEEE10hipError_tT1_T2_T3_T4_jRjT5_jjP12ihipStream_tbEUlT_E_NS1_11comp_targetILNS1_3genE4ELNS1_11target_archE910ELNS1_3gpuE8ELNS1_3repE0EEENS1_44radix_sort_block_sort_config_static_selectorELNS0_4arch9wavefront6targetE0EEEvSM_
                                        ; -- End function
	.set _ZN7rocprim17ROCPRIM_400000_NS6detail17trampoline_kernelINS0_13kernel_configILj256ELj4ELj4294967295EEENS1_37radix_sort_block_sort_config_selectorIjN6thrust23THRUST_200600_302600_NS5tupleIffNS7_9null_typeES9_S9_S9_S9_S9_S9_S9_EEEEZNS1_21radix_sort_block_sortIS4_Lb0ENS7_6detail15normal_iteratorINS7_10device_ptrIjEEEESH_NSE_INSF_ISA_EEEESJ_NS0_19identity_decomposerEEE10hipError_tT1_T2_T3_T4_jRjT5_jjP12ihipStream_tbEUlT_E_NS1_11comp_targetILNS1_3genE4ELNS1_11target_archE910ELNS1_3gpuE8ELNS1_3repE0EEENS1_44radix_sort_block_sort_config_static_selectorELNS0_4arch9wavefront6targetE0EEEvSM_.num_vgpr, 0
	.set _ZN7rocprim17ROCPRIM_400000_NS6detail17trampoline_kernelINS0_13kernel_configILj256ELj4ELj4294967295EEENS1_37radix_sort_block_sort_config_selectorIjN6thrust23THRUST_200600_302600_NS5tupleIffNS7_9null_typeES9_S9_S9_S9_S9_S9_S9_EEEEZNS1_21radix_sort_block_sortIS4_Lb0ENS7_6detail15normal_iteratorINS7_10device_ptrIjEEEESH_NSE_INSF_ISA_EEEESJ_NS0_19identity_decomposerEEE10hipError_tT1_T2_T3_T4_jRjT5_jjP12ihipStream_tbEUlT_E_NS1_11comp_targetILNS1_3genE4ELNS1_11target_archE910ELNS1_3gpuE8ELNS1_3repE0EEENS1_44radix_sort_block_sort_config_static_selectorELNS0_4arch9wavefront6targetE0EEEvSM_.num_agpr, 0
	.set _ZN7rocprim17ROCPRIM_400000_NS6detail17trampoline_kernelINS0_13kernel_configILj256ELj4ELj4294967295EEENS1_37radix_sort_block_sort_config_selectorIjN6thrust23THRUST_200600_302600_NS5tupleIffNS7_9null_typeES9_S9_S9_S9_S9_S9_S9_EEEEZNS1_21radix_sort_block_sortIS4_Lb0ENS7_6detail15normal_iteratorINS7_10device_ptrIjEEEESH_NSE_INSF_ISA_EEEESJ_NS0_19identity_decomposerEEE10hipError_tT1_T2_T3_T4_jRjT5_jjP12ihipStream_tbEUlT_E_NS1_11comp_targetILNS1_3genE4ELNS1_11target_archE910ELNS1_3gpuE8ELNS1_3repE0EEENS1_44radix_sort_block_sort_config_static_selectorELNS0_4arch9wavefront6targetE0EEEvSM_.numbered_sgpr, 0
	.set _ZN7rocprim17ROCPRIM_400000_NS6detail17trampoline_kernelINS0_13kernel_configILj256ELj4ELj4294967295EEENS1_37radix_sort_block_sort_config_selectorIjN6thrust23THRUST_200600_302600_NS5tupleIffNS7_9null_typeES9_S9_S9_S9_S9_S9_S9_EEEEZNS1_21radix_sort_block_sortIS4_Lb0ENS7_6detail15normal_iteratorINS7_10device_ptrIjEEEESH_NSE_INSF_ISA_EEEESJ_NS0_19identity_decomposerEEE10hipError_tT1_T2_T3_T4_jRjT5_jjP12ihipStream_tbEUlT_E_NS1_11comp_targetILNS1_3genE4ELNS1_11target_archE910ELNS1_3gpuE8ELNS1_3repE0EEENS1_44radix_sort_block_sort_config_static_selectorELNS0_4arch9wavefront6targetE0EEEvSM_.num_named_barrier, 0
	.set _ZN7rocprim17ROCPRIM_400000_NS6detail17trampoline_kernelINS0_13kernel_configILj256ELj4ELj4294967295EEENS1_37radix_sort_block_sort_config_selectorIjN6thrust23THRUST_200600_302600_NS5tupleIffNS7_9null_typeES9_S9_S9_S9_S9_S9_S9_EEEEZNS1_21radix_sort_block_sortIS4_Lb0ENS7_6detail15normal_iteratorINS7_10device_ptrIjEEEESH_NSE_INSF_ISA_EEEESJ_NS0_19identity_decomposerEEE10hipError_tT1_T2_T3_T4_jRjT5_jjP12ihipStream_tbEUlT_E_NS1_11comp_targetILNS1_3genE4ELNS1_11target_archE910ELNS1_3gpuE8ELNS1_3repE0EEENS1_44radix_sort_block_sort_config_static_selectorELNS0_4arch9wavefront6targetE0EEEvSM_.private_seg_size, 0
	.set _ZN7rocprim17ROCPRIM_400000_NS6detail17trampoline_kernelINS0_13kernel_configILj256ELj4ELj4294967295EEENS1_37radix_sort_block_sort_config_selectorIjN6thrust23THRUST_200600_302600_NS5tupleIffNS7_9null_typeES9_S9_S9_S9_S9_S9_S9_EEEEZNS1_21radix_sort_block_sortIS4_Lb0ENS7_6detail15normal_iteratorINS7_10device_ptrIjEEEESH_NSE_INSF_ISA_EEEESJ_NS0_19identity_decomposerEEE10hipError_tT1_T2_T3_T4_jRjT5_jjP12ihipStream_tbEUlT_E_NS1_11comp_targetILNS1_3genE4ELNS1_11target_archE910ELNS1_3gpuE8ELNS1_3repE0EEENS1_44radix_sort_block_sort_config_static_selectorELNS0_4arch9wavefront6targetE0EEEvSM_.uses_vcc, 0
	.set _ZN7rocprim17ROCPRIM_400000_NS6detail17trampoline_kernelINS0_13kernel_configILj256ELj4ELj4294967295EEENS1_37radix_sort_block_sort_config_selectorIjN6thrust23THRUST_200600_302600_NS5tupleIffNS7_9null_typeES9_S9_S9_S9_S9_S9_S9_EEEEZNS1_21radix_sort_block_sortIS4_Lb0ENS7_6detail15normal_iteratorINS7_10device_ptrIjEEEESH_NSE_INSF_ISA_EEEESJ_NS0_19identity_decomposerEEE10hipError_tT1_T2_T3_T4_jRjT5_jjP12ihipStream_tbEUlT_E_NS1_11comp_targetILNS1_3genE4ELNS1_11target_archE910ELNS1_3gpuE8ELNS1_3repE0EEENS1_44radix_sort_block_sort_config_static_selectorELNS0_4arch9wavefront6targetE0EEEvSM_.uses_flat_scratch, 0
	.set _ZN7rocprim17ROCPRIM_400000_NS6detail17trampoline_kernelINS0_13kernel_configILj256ELj4ELj4294967295EEENS1_37radix_sort_block_sort_config_selectorIjN6thrust23THRUST_200600_302600_NS5tupleIffNS7_9null_typeES9_S9_S9_S9_S9_S9_S9_EEEEZNS1_21radix_sort_block_sortIS4_Lb0ENS7_6detail15normal_iteratorINS7_10device_ptrIjEEEESH_NSE_INSF_ISA_EEEESJ_NS0_19identity_decomposerEEE10hipError_tT1_T2_T3_T4_jRjT5_jjP12ihipStream_tbEUlT_E_NS1_11comp_targetILNS1_3genE4ELNS1_11target_archE910ELNS1_3gpuE8ELNS1_3repE0EEENS1_44radix_sort_block_sort_config_static_selectorELNS0_4arch9wavefront6targetE0EEEvSM_.has_dyn_sized_stack, 0
	.set _ZN7rocprim17ROCPRIM_400000_NS6detail17trampoline_kernelINS0_13kernel_configILj256ELj4ELj4294967295EEENS1_37radix_sort_block_sort_config_selectorIjN6thrust23THRUST_200600_302600_NS5tupleIffNS7_9null_typeES9_S9_S9_S9_S9_S9_S9_EEEEZNS1_21radix_sort_block_sortIS4_Lb0ENS7_6detail15normal_iteratorINS7_10device_ptrIjEEEESH_NSE_INSF_ISA_EEEESJ_NS0_19identity_decomposerEEE10hipError_tT1_T2_T3_T4_jRjT5_jjP12ihipStream_tbEUlT_E_NS1_11comp_targetILNS1_3genE4ELNS1_11target_archE910ELNS1_3gpuE8ELNS1_3repE0EEENS1_44radix_sort_block_sort_config_static_selectorELNS0_4arch9wavefront6targetE0EEEvSM_.has_recursion, 0
	.set _ZN7rocprim17ROCPRIM_400000_NS6detail17trampoline_kernelINS0_13kernel_configILj256ELj4ELj4294967295EEENS1_37radix_sort_block_sort_config_selectorIjN6thrust23THRUST_200600_302600_NS5tupleIffNS7_9null_typeES9_S9_S9_S9_S9_S9_S9_EEEEZNS1_21radix_sort_block_sortIS4_Lb0ENS7_6detail15normal_iteratorINS7_10device_ptrIjEEEESH_NSE_INSF_ISA_EEEESJ_NS0_19identity_decomposerEEE10hipError_tT1_T2_T3_T4_jRjT5_jjP12ihipStream_tbEUlT_E_NS1_11comp_targetILNS1_3genE4ELNS1_11target_archE910ELNS1_3gpuE8ELNS1_3repE0EEENS1_44radix_sort_block_sort_config_static_selectorELNS0_4arch9wavefront6targetE0EEEvSM_.has_indirect_call, 0
	.section	.AMDGPU.csdata,"",@progbits
; Kernel info:
; codeLenInByte = 0
; TotalNumSgprs: 0
; NumVgprs: 0
; ScratchSize: 0
; MemoryBound: 0
; FloatMode: 240
; IeeeMode: 1
; LDSByteSize: 0 bytes/workgroup (compile time only)
; SGPRBlocks: 0
; VGPRBlocks: 0
; NumSGPRsForWavesPerEU: 1
; NumVGPRsForWavesPerEU: 1
; Occupancy: 16
; WaveLimiterHint : 0
; COMPUTE_PGM_RSRC2:SCRATCH_EN: 0
; COMPUTE_PGM_RSRC2:USER_SGPR: 6
; COMPUTE_PGM_RSRC2:TRAP_HANDLER: 0
; COMPUTE_PGM_RSRC2:TGID_X_EN: 1
; COMPUTE_PGM_RSRC2:TGID_Y_EN: 0
; COMPUTE_PGM_RSRC2:TGID_Z_EN: 0
; COMPUTE_PGM_RSRC2:TIDIG_COMP_CNT: 0
	.section	.text._ZN7rocprim17ROCPRIM_400000_NS6detail17trampoline_kernelINS0_13kernel_configILj256ELj4ELj4294967295EEENS1_37radix_sort_block_sort_config_selectorIjN6thrust23THRUST_200600_302600_NS5tupleIffNS7_9null_typeES9_S9_S9_S9_S9_S9_S9_EEEEZNS1_21radix_sort_block_sortIS4_Lb0ENS7_6detail15normal_iteratorINS7_10device_ptrIjEEEESH_NSE_INSF_ISA_EEEESJ_NS0_19identity_decomposerEEE10hipError_tT1_T2_T3_T4_jRjT5_jjP12ihipStream_tbEUlT_E_NS1_11comp_targetILNS1_3genE3ELNS1_11target_archE908ELNS1_3gpuE7ELNS1_3repE0EEENS1_44radix_sort_block_sort_config_static_selectorELNS0_4arch9wavefront6targetE0EEEvSM_,"axG",@progbits,_ZN7rocprim17ROCPRIM_400000_NS6detail17trampoline_kernelINS0_13kernel_configILj256ELj4ELj4294967295EEENS1_37radix_sort_block_sort_config_selectorIjN6thrust23THRUST_200600_302600_NS5tupleIffNS7_9null_typeES9_S9_S9_S9_S9_S9_S9_EEEEZNS1_21radix_sort_block_sortIS4_Lb0ENS7_6detail15normal_iteratorINS7_10device_ptrIjEEEESH_NSE_INSF_ISA_EEEESJ_NS0_19identity_decomposerEEE10hipError_tT1_T2_T3_T4_jRjT5_jjP12ihipStream_tbEUlT_E_NS1_11comp_targetILNS1_3genE3ELNS1_11target_archE908ELNS1_3gpuE7ELNS1_3repE0EEENS1_44radix_sort_block_sort_config_static_selectorELNS0_4arch9wavefront6targetE0EEEvSM_,comdat
	.protected	_ZN7rocprim17ROCPRIM_400000_NS6detail17trampoline_kernelINS0_13kernel_configILj256ELj4ELj4294967295EEENS1_37radix_sort_block_sort_config_selectorIjN6thrust23THRUST_200600_302600_NS5tupleIffNS7_9null_typeES9_S9_S9_S9_S9_S9_S9_EEEEZNS1_21radix_sort_block_sortIS4_Lb0ENS7_6detail15normal_iteratorINS7_10device_ptrIjEEEESH_NSE_INSF_ISA_EEEESJ_NS0_19identity_decomposerEEE10hipError_tT1_T2_T3_T4_jRjT5_jjP12ihipStream_tbEUlT_E_NS1_11comp_targetILNS1_3genE3ELNS1_11target_archE908ELNS1_3gpuE7ELNS1_3repE0EEENS1_44radix_sort_block_sort_config_static_selectorELNS0_4arch9wavefront6targetE0EEEvSM_ ; -- Begin function _ZN7rocprim17ROCPRIM_400000_NS6detail17trampoline_kernelINS0_13kernel_configILj256ELj4ELj4294967295EEENS1_37radix_sort_block_sort_config_selectorIjN6thrust23THRUST_200600_302600_NS5tupleIffNS7_9null_typeES9_S9_S9_S9_S9_S9_S9_EEEEZNS1_21radix_sort_block_sortIS4_Lb0ENS7_6detail15normal_iteratorINS7_10device_ptrIjEEEESH_NSE_INSF_ISA_EEEESJ_NS0_19identity_decomposerEEE10hipError_tT1_T2_T3_T4_jRjT5_jjP12ihipStream_tbEUlT_E_NS1_11comp_targetILNS1_3genE3ELNS1_11target_archE908ELNS1_3gpuE7ELNS1_3repE0EEENS1_44radix_sort_block_sort_config_static_selectorELNS0_4arch9wavefront6targetE0EEEvSM_
	.globl	_ZN7rocprim17ROCPRIM_400000_NS6detail17trampoline_kernelINS0_13kernel_configILj256ELj4ELj4294967295EEENS1_37radix_sort_block_sort_config_selectorIjN6thrust23THRUST_200600_302600_NS5tupleIffNS7_9null_typeES9_S9_S9_S9_S9_S9_S9_EEEEZNS1_21radix_sort_block_sortIS4_Lb0ENS7_6detail15normal_iteratorINS7_10device_ptrIjEEEESH_NSE_INSF_ISA_EEEESJ_NS0_19identity_decomposerEEE10hipError_tT1_T2_T3_T4_jRjT5_jjP12ihipStream_tbEUlT_E_NS1_11comp_targetILNS1_3genE3ELNS1_11target_archE908ELNS1_3gpuE7ELNS1_3repE0EEENS1_44radix_sort_block_sort_config_static_selectorELNS0_4arch9wavefront6targetE0EEEvSM_
	.p2align	8
	.type	_ZN7rocprim17ROCPRIM_400000_NS6detail17trampoline_kernelINS0_13kernel_configILj256ELj4ELj4294967295EEENS1_37radix_sort_block_sort_config_selectorIjN6thrust23THRUST_200600_302600_NS5tupleIffNS7_9null_typeES9_S9_S9_S9_S9_S9_S9_EEEEZNS1_21radix_sort_block_sortIS4_Lb0ENS7_6detail15normal_iteratorINS7_10device_ptrIjEEEESH_NSE_INSF_ISA_EEEESJ_NS0_19identity_decomposerEEE10hipError_tT1_T2_T3_T4_jRjT5_jjP12ihipStream_tbEUlT_E_NS1_11comp_targetILNS1_3genE3ELNS1_11target_archE908ELNS1_3gpuE7ELNS1_3repE0EEENS1_44radix_sort_block_sort_config_static_selectorELNS0_4arch9wavefront6targetE0EEEvSM_,@function
_ZN7rocprim17ROCPRIM_400000_NS6detail17trampoline_kernelINS0_13kernel_configILj256ELj4ELj4294967295EEENS1_37radix_sort_block_sort_config_selectorIjN6thrust23THRUST_200600_302600_NS5tupleIffNS7_9null_typeES9_S9_S9_S9_S9_S9_S9_EEEEZNS1_21radix_sort_block_sortIS4_Lb0ENS7_6detail15normal_iteratorINS7_10device_ptrIjEEEESH_NSE_INSF_ISA_EEEESJ_NS0_19identity_decomposerEEE10hipError_tT1_T2_T3_T4_jRjT5_jjP12ihipStream_tbEUlT_E_NS1_11comp_targetILNS1_3genE3ELNS1_11target_archE908ELNS1_3gpuE7ELNS1_3repE0EEENS1_44radix_sort_block_sort_config_static_selectorELNS0_4arch9wavefront6targetE0EEEvSM_: ; @_ZN7rocprim17ROCPRIM_400000_NS6detail17trampoline_kernelINS0_13kernel_configILj256ELj4ELj4294967295EEENS1_37radix_sort_block_sort_config_selectorIjN6thrust23THRUST_200600_302600_NS5tupleIffNS7_9null_typeES9_S9_S9_S9_S9_S9_S9_EEEEZNS1_21radix_sort_block_sortIS4_Lb0ENS7_6detail15normal_iteratorINS7_10device_ptrIjEEEESH_NSE_INSF_ISA_EEEESJ_NS0_19identity_decomposerEEE10hipError_tT1_T2_T3_T4_jRjT5_jjP12ihipStream_tbEUlT_E_NS1_11comp_targetILNS1_3genE3ELNS1_11target_archE908ELNS1_3gpuE7ELNS1_3repE0EEENS1_44radix_sort_block_sort_config_static_selectorELNS0_4arch9wavefront6targetE0EEEvSM_
; %bb.0:
	.section	.rodata,"a",@progbits
	.p2align	6, 0x0
	.amdhsa_kernel _ZN7rocprim17ROCPRIM_400000_NS6detail17trampoline_kernelINS0_13kernel_configILj256ELj4ELj4294967295EEENS1_37radix_sort_block_sort_config_selectorIjN6thrust23THRUST_200600_302600_NS5tupleIffNS7_9null_typeES9_S9_S9_S9_S9_S9_S9_EEEEZNS1_21radix_sort_block_sortIS4_Lb0ENS7_6detail15normal_iteratorINS7_10device_ptrIjEEEESH_NSE_INSF_ISA_EEEESJ_NS0_19identity_decomposerEEE10hipError_tT1_T2_T3_T4_jRjT5_jjP12ihipStream_tbEUlT_E_NS1_11comp_targetILNS1_3genE3ELNS1_11target_archE908ELNS1_3gpuE7ELNS1_3repE0EEENS1_44radix_sort_block_sort_config_static_selectorELNS0_4arch9wavefront6targetE0EEEvSM_
		.amdhsa_group_segment_fixed_size 0
		.amdhsa_private_segment_fixed_size 0
		.amdhsa_kernarg_size 48
		.amdhsa_user_sgpr_count 6
		.amdhsa_user_sgpr_private_segment_buffer 1
		.amdhsa_user_sgpr_dispatch_ptr 0
		.amdhsa_user_sgpr_queue_ptr 0
		.amdhsa_user_sgpr_kernarg_segment_ptr 1
		.amdhsa_user_sgpr_dispatch_id 0
		.amdhsa_user_sgpr_flat_scratch_init 0
		.amdhsa_user_sgpr_private_segment_size 0
		.amdhsa_wavefront_size32 1
		.amdhsa_uses_dynamic_stack 0
		.amdhsa_system_sgpr_private_segment_wavefront_offset 0
		.amdhsa_system_sgpr_workgroup_id_x 1
		.amdhsa_system_sgpr_workgroup_id_y 0
		.amdhsa_system_sgpr_workgroup_id_z 0
		.amdhsa_system_sgpr_workgroup_info 0
		.amdhsa_system_vgpr_workitem_id 0
		.amdhsa_next_free_vgpr 1
		.amdhsa_next_free_sgpr 1
		.amdhsa_reserve_vcc 0
		.amdhsa_reserve_flat_scratch 0
		.amdhsa_float_round_mode_32 0
		.amdhsa_float_round_mode_16_64 0
		.amdhsa_float_denorm_mode_32 3
		.amdhsa_float_denorm_mode_16_64 3
		.amdhsa_dx10_clamp 1
		.amdhsa_ieee_mode 1
		.amdhsa_fp16_overflow 0
		.amdhsa_workgroup_processor_mode 1
		.amdhsa_memory_ordered 1
		.amdhsa_forward_progress 1
		.amdhsa_shared_vgpr_count 0
		.amdhsa_exception_fp_ieee_invalid_op 0
		.amdhsa_exception_fp_denorm_src 0
		.amdhsa_exception_fp_ieee_div_zero 0
		.amdhsa_exception_fp_ieee_overflow 0
		.amdhsa_exception_fp_ieee_underflow 0
		.amdhsa_exception_fp_ieee_inexact 0
		.amdhsa_exception_int_div_zero 0
	.end_amdhsa_kernel
	.section	.text._ZN7rocprim17ROCPRIM_400000_NS6detail17trampoline_kernelINS0_13kernel_configILj256ELj4ELj4294967295EEENS1_37radix_sort_block_sort_config_selectorIjN6thrust23THRUST_200600_302600_NS5tupleIffNS7_9null_typeES9_S9_S9_S9_S9_S9_S9_EEEEZNS1_21radix_sort_block_sortIS4_Lb0ENS7_6detail15normal_iteratorINS7_10device_ptrIjEEEESH_NSE_INSF_ISA_EEEESJ_NS0_19identity_decomposerEEE10hipError_tT1_T2_T3_T4_jRjT5_jjP12ihipStream_tbEUlT_E_NS1_11comp_targetILNS1_3genE3ELNS1_11target_archE908ELNS1_3gpuE7ELNS1_3repE0EEENS1_44radix_sort_block_sort_config_static_selectorELNS0_4arch9wavefront6targetE0EEEvSM_,"axG",@progbits,_ZN7rocprim17ROCPRIM_400000_NS6detail17trampoline_kernelINS0_13kernel_configILj256ELj4ELj4294967295EEENS1_37radix_sort_block_sort_config_selectorIjN6thrust23THRUST_200600_302600_NS5tupleIffNS7_9null_typeES9_S9_S9_S9_S9_S9_S9_EEEEZNS1_21radix_sort_block_sortIS4_Lb0ENS7_6detail15normal_iteratorINS7_10device_ptrIjEEEESH_NSE_INSF_ISA_EEEESJ_NS0_19identity_decomposerEEE10hipError_tT1_T2_T3_T4_jRjT5_jjP12ihipStream_tbEUlT_E_NS1_11comp_targetILNS1_3genE3ELNS1_11target_archE908ELNS1_3gpuE7ELNS1_3repE0EEENS1_44radix_sort_block_sort_config_static_selectorELNS0_4arch9wavefront6targetE0EEEvSM_,comdat
.Lfunc_end10:
	.size	_ZN7rocprim17ROCPRIM_400000_NS6detail17trampoline_kernelINS0_13kernel_configILj256ELj4ELj4294967295EEENS1_37radix_sort_block_sort_config_selectorIjN6thrust23THRUST_200600_302600_NS5tupleIffNS7_9null_typeES9_S9_S9_S9_S9_S9_S9_EEEEZNS1_21radix_sort_block_sortIS4_Lb0ENS7_6detail15normal_iteratorINS7_10device_ptrIjEEEESH_NSE_INSF_ISA_EEEESJ_NS0_19identity_decomposerEEE10hipError_tT1_T2_T3_T4_jRjT5_jjP12ihipStream_tbEUlT_E_NS1_11comp_targetILNS1_3genE3ELNS1_11target_archE908ELNS1_3gpuE7ELNS1_3repE0EEENS1_44radix_sort_block_sort_config_static_selectorELNS0_4arch9wavefront6targetE0EEEvSM_, .Lfunc_end10-_ZN7rocprim17ROCPRIM_400000_NS6detail17trampoline_kernelINS0_13kernel_configILj256ELj4ELj4294967295EEENS1_37radix_sort_block_sort_config_selectorIjN6thrust23THRUST_200600_302600_NS5tupleIffNS7_9null_typeES9_S9_S9_S9_S9_S9_S9_EEEEZNS1_21radix_sort_block_sortIS4_Lb0ENS7_6detail15normal_iteratorINS7_10device_ptrIjEEEESH_NSE_INSF_ISA_EEEESJ_NS0_19identity_decomposerEEE10hipError_tT1_T2_T3_T4_jRjT5_jjP12ihipStream_tbEUlT_E_NS1_11comp_targetILNS1_3genE3ELNS1_11target_archE908ELNS1_3gpuE7ELNS1_3repE0EEENS1_44radix_sort_block_sort_config_static_selectorELNS0_4arch9wavefront6targetE0EEEvSM_
                                        ; -- End function
	.set _ZN7rocprim17ROCPRIM_400000_NS6detail17trampoline_kernelINS0_13kernel_configILj256ELj4ELj4294967295EEENS1_37radix_sort_block_sort_config_selectorIjN6thrust23THRUST_200600_302600_NS5tupleIffNS7_9null_typeES9_S9_S9_S9_S9_S9_S9_EEEEZNS1_21radix_sort_block_sortIS4_Lb0ENS7_6detail15normal_iteratorINS7_10device_ptrIjEEEESH_NSE_INSF_ISA_EEEESJ_NS0_19identity_decomposerEEE10hipError_tT1_T2_T3_T4_jRjT5_jjP12ihipStream_tbEUlT_E_NS1_11comp_targetILNS1_3genE3ELNS1_11target_archE908ELNS1_3gpuE7ELNS1_3repE0EEENS1_44radix_sort_block_sort_config_static_selectorELNS0_4arch9wavefront6targetE0EEEvSM_.num_vgpr, 0
	.set _ZN7rocprim17ROCPRIM_400000_NS6detail17trampoline_kernelINS0_13kernel_configILj256ELj4ELj4294967295EEENS1_37radix_sort_block_sort_config_selectorIjN6thrust23THRUST_200600_302600_NS5tupleIffNS7_9null_typeES9_S9_S9_S9_S9_S9_S9_EEEEZNS1_21radix_sort_block_sortIS4_Lb0ENS7_6detail15normal_iteratorINS7_10device_ptrIjEEEESH_NSE_INSF_ISA_EEEESJ_NS0_19identity_decomposerEEE10hipError_tT1_T2_T3_T4_jRjT5_jjP12ihipStream_tbEUlT_E_NS1_11comp_targetILNS1_3genE3ELNS1_11target_archE908ELNS1_3gpuE7ELNS1_3repE0EEENS1_44radix_sort_block_sort_config_static_selectorELNS0_4arch9wavefront6targetE0EEEvSM_.num_agpr, 0
	.set _ZN7rocprim17ROCPRIM_400000_NS6detail17trampoline_kernelINS0_13kernel_configILj256ELj4ELj4294967295EEENS1_37radix_sort_block_sort_config_selectorIjN6thrust23THRUST_200600_302600_NS5tupleIffNS7_9null_typeES9_S9_S9_S9_S9_S9_S9_EEEEZNS1_21radix_sort_block_sortIS4_Lb0ENS7_6detail15normal_iteratorINS7_10device_ptrIjEEEESH_NSE_INSF_ISA_EEEESJ_NS0_19identity_decomposerEEE10hipError_tT1_T2_T3_T4_jRjT5_jjP12ihipStream_tbEUlT_E_NS1_11comp_targetILNS1_3genE3ELNS1_11target_archE908ELNS1_3gpuE7ELNS1_3repE0EEENS1_44radix_sort_block_sort_config_static_selectorELNS0_4arch9wavefront6targetE0EEEvSM_.numbered_sgpr, 0
	.set _ZN7rocprim17ROCPRIM_400000_NS6detail17trampoline_kernelINS0_13kernel_configILj256ELj4ELj4294967295EEENS1_37radix_sort_block_sort_config_selectorIjN6thrust23THRUST_200600_302600_NS5tupleIffNS7_9null_typeES9_S9_S9_S9_S9_S9_S9_EEEEZNS1_21radix_sort_block_sortIS4_Lb0ENS7_6detail15normal_iteratorINS7_10device_ptrIjEEEESH_NSE_INSF_ISA_EEEESJ_NS0_19identity_decomposerEEE10hipError_tT1_T2_T3_T4_jRjT5_jjP12ihipStream_tbEUlT_E_NS1_11comp_targetILNS1_3genE3ELNS1_11target_archE908ELNS1_3gpuE7ELNS1_3repE0EEENS1_44radix_sort_block_sort_config_static_selectorELNS0_4arch9wavefront6targetE0EEEvSM_.num_named_barrier, 0
	.set _ZN7rocprim17ROCPRIM_400000_NS6detail17trampoline_kernelINS0_13kernel_configILj256ELj4ELj4294967295EEENS1_37radix_sort_block_sort_config_selectorIjN6thrust23THRUST_200600_302600_NS5tupleIffNS7_9null_typeES9_S9_S9_S9_S9_S9_S9_EEEEZNS1_21radix_sort_block_sortIS4_Lb0ENS7_6detail15normal_iteratorINS7_10device_ptrIjEEEESH_NSE_INSF_ISA_EEEESJ_NS0_19identity_decomposerEEE10hipError_tT1_T2_T3_T4_jRjT5_jjP12ihipStream_tbEUlT_E_NS1_11comp_targetILNS1_3genE3ELNS1_11target_archE908ELNS1_3gpuE7ELNS1_3repE0EEENS1_44radix_sort_block_sort_config_static_selectorELNS0_4arch9wavefront6targetE0EEEvSM_.private_seg_size, 0
	.set _ZN7rocprim17ROCPRIM_400000_NS6detail17trampoline_kernelINS0_13kernel_configILj256ELj4ELj4294967295EEENS1_37radix_sort_block_sort_config_selectorIjN6thrust23THRUST_200600_302600_NS5tupleIffNS7_9null_typeES9_S9_S9_S9_S9_S9_S9_EEEEZNS1_21radix_sort_block_sortIS4_Lb0ENS7_6detail15normal_iteratorINS7_10device_ptrIjEEEESH_NSE_INSF_ISA_EEEESJ_NS0_19identity_decomposerEEE10hipError_tT1_T2_T3_T4_jRjT5_jjP12ihipStream_tbEUlT_E_NS1_11comp_targetILNS1_3genE3ELNS1_11target_archE908ELNS1_3gpuE7ELNS1_3repE0EEENS1_44radix_sort_block_sort_config_static_selectorELNS0_4arch9wavefront6targetE0EEEvSM_.uses_vcc, 0
	.set _ZN7rocprim17ROCPRIM_400000_NS6detail17trampoline_kernelINS0_13kernel_configILj256ELj4ELj4294967295EEENS1_37radix_sort_block_sort_config_selectorIjN6thrust23THRUST_200600_302600_NS5tupleIffNS7_9null_typeES9_S9_S9_S9_S9_S9_S9_EEEEZNS1_21radix_sort_block_sortIS4_Lb0ENS7_6detail15normal_iteratorINS7_10device_ptrIjEEEESH_NSE_INSF_ISA_EEEESJ_NS0_19identity_decomposerEEE10hipError_tT1_T2_T3_T4_jRjT5_jjP12ihipStream_tbEUlT_E_NS1_11comp_targetILNS1_3genE3ELNS1_11target_archE908ELNS1_3gpuE7ELNS1_3repE0EEENS1_44radix_sort_block_sort_config_static_selectorELNS0_4arch9wavefront6targetE0EEEvSM_.uses_flat_scratch, 0
	.set _ZN7rocprim17ROCPRIM_400000_NS6detail17trampoline_kernelINS0_13kernel_configILj256ELj4ELj4294967295EEENS1_37radix_sort_block_sort_config_selectorIjN6thrust23THRUST_200600_302600_NS5tupleIffNS7_9null_typeES9_S9_S9_S9_S9_S9_S9_EEEEZNS1_21radix_sort_block_sortIS4_Lb0ENS7_6detail15normal_iteratorINS7_10device_ptrIjEEEESH_NSE_INSF_ISA_EEEESJ_NS0_19identity_decomposerEEE10hipError_tT1_T2_T3_T4_jRjT5_jjP12ihipStream_tbEUlT_E_NS1_11comp_targetILNS1_3genE3ELNS1_11target_archE908ELNS1_3gpuE7ELNS1_3repE0EEENS1_44radix_sort_block_sort_config_static_selectorELNS0_4arch9wavefront6targetE0EEEvSM_.has_dyn_sized_stack, 0
	.set _ZN7rocprim17ROCPRIM_400000_NS6detail17trampoline_kernelINS0_13kernel_configILj256ELj4ELj4294967295EEENS1_37radix_sort_block_sort_config_selectorIjN6thrust23THRUST_200600_302600_NS5tupleIffNS7_9null_typeES9_S9_S9_S9_S9_S9_S9_EEEEZNS1_21radix_sort_block_sortIS4_Lb0ENS7_6detail15normal_iteratorINS7_10device_ptrIjEEEESH_NSE_INSF_ISA_EEEESJ_NS0_19identity_decomposerEEE10hipError_tT1_T2_T3_T4_jRjT5_jjP12ihipStream_tbEUlT_E_NS1_11comp_targetILNS1_3genE3ELNS1_11target_archE908ELNS1_3gpuE7ELNS1_3repE0EEENS1_44radix_sort_block_sort_config_static_selectorELNS0_4arch9wavefront6targetE0EEEvSM_.has_recursion, 0
	.set _ZN7rocprim17ROCPRIM_400000_NS6detail17trampoline_kernelINS0_13kernel_configILj256ELj4ELj4294967295EEENS1_37radix_sort_block_sort_config_selectorIjN6thrust23THRUST_200600_302600_NS5tupleIffNS7_9null_typeES9_S9_S9_S9_S9_S9_S9_EEEEZNS1_21radix_sort_block_sortIS4_Lb0ENS7_6detail15normal_iteratorINS7_10device_ptrIjEEEESH_NSE_INSF_ISA_EEEESJ_NS0_19identity_decomposerEEE10hipError_tT1_T2_T3_T4_jRjT5_jjP12ihipStream_tbEUlT_E_NS1_11comp_targetILNS1_3genE3ELNS1_11target_archE908ELNS1_3gpuE7ELNS1_3repE0EEENS1_44radix_sort_block_sort_config_static_selectorELNS0_4arch9wavefront6targetE0EEEvSM_.has_indirect_call, 0
	.section	.AMDGPU.csdata,"",@progbits
; Kernel info:
; codeLenInByte = 0
; TotalNumSgprs: 0
; NumVgprs: 0
; ScratchSize: 0
; MemoryBound: 0
; FloatMode: 240
; IeeeMode: 1
; LDSByteSize: 0 bytes/workgroup (compile time only)
; SGPRBlocks: 0
; VGPRBlocks: 0
; NumSGPRsForWavesPerEU: 1
; NumVGPRsForWavesPerEU: 1
; Occupancy: 16
; WaveLimiterHint : 0
; COMPUTE_PGM_RSRC2:SCRATCH_EN: 0
; COMPUTE_PGM_RSRC2:USER_SGPR: 6
; COMPUTE_PGM_RSRC2:TRAP_HANDLER: 0
; COMPUTE_PGM_RSRC2:TGID_X_EN: 1
; COMPUTE_PGM_RSRC2:TGID_Y_EN: 0
; COMPUTE_PGM_RSRC2:TGID_Z_EN: 0
; COMPUTE_PGM_RSRC2:TIDIG_COMP_CNT: 0
	.section	.text._ZN7rocprim17ROCPRIM_400000_NS6detail17trampoline_kernelINS0_13kernel_configILj256ELj4ELj4294967295EEENS1_37radix_sort_block_sort_config_selectorIjN6thrust23THRUST_200600_302600_NS5tupleIffNS7_9null_typeES9_S9_S9_S9_S9_S9_S9_EEEEZNS1_21radix_sort_block_sortIS4_Lb0ENS7_6detail15normal_iteratorINS7_10device_ptrIjEEEESH_NSE_INSF_ISA_EEEESJ_NS0_19identity_decomposerEEE10hipError_tT1_T2_T3_T4_jRjT5_jjP12ihipStream_tbEUlT_E_NS1_11comp_targetILNS1_3genE2ELNS1_11target_archE906ELNS1_3gpuE6ELNS1_3repE0EEENS1_44radix_sort_block_sort_config_static_selectorELNS0_4arch9wavefront6targetE0EEEvSM_,"axG",@progbits,_ZN7rocprim17ROCPRIM_400000_NS6detail17trampoline_kernelINS0_13kernel_configILj256ELj4ELj4294967295EEENS1_37radix_sort_block_sort_config_selectorIjN6thrust23THRUST_200600_302600_NS5tupleIffNS7_9null_typeES9_S9_S9_S9_S9_S9_S9_EEEEZNS1_21radix_sort_block_sortIS4_Lb0ENS7_6detail15normal_iteratorINS7_10device_ptrIjEEEESH_NSE_INSF_ISA_EEEESJ_NS0_19identity_decomposerEEE10hipError_tT1_T2_T3_T4_jRjT5_jjP12ihipStream_tbEUlT_E_NS1_11comp_targetILNS1_3genE2ELNS1_11target_archE906ELNS1_3gpuE6ELNS1_3repE0EEENS1_44radix_sort_block_sort_config_static_selectorELNS0_4arch9wavefront6targetE0EEEvSM_,comdat
	.protected	_ZN7rocprim17ROCPRIM_400000_NS6detail17trampoline_kernelINS0_13kernel_configILj256ELj4ELj4294967295EEENS1_37radix_sort_block_sort_config_selectorIjN6thrust23THRUST_200600_302600_NS5tupleIffNS7_9null_typeES9_S9_S9_S9_S9_S9_S9_EEEEZNS1_21radix_sort_block_sortIS4_Lb0ENS7_6detail15normal_iteratorINS7_10device_ptrIjEEEESH_NSE_INSF_ISA_EEEESJ_NS0_19identity_decomposerEEE10hipError_tT1_T2_T3_T4_jRjT5_jjP12ihipStream_tbEUlT_E_NS1_11comp_targetILNS1_3genE2ELNS1_11target_archE906ELNS1_3gpuE6ELNS1_3repE0EEENS1_44radix_sort_block_sort_config_static_selectorELNS0_4arch9wavefront6targetE0EEEvSM_ ; -- Begin function _ZN7rocprim17ROCPRIM_400000_NS6detail17trampoline_kernelINS0_13kernel_configILj256ELj4ELj4294967295EEENS1_37radix_sort_block_sort_config_selectorIjN6thrust23THRUST_200600_302600_NS5tupleIffNS7_9null_typeES9_S9_S9_S9_S9_S9_S9_EEEEZNS1_21radix_sort_block_sortIS4_Lb0ENS7_6detail15normal_iteratorINS7_10device_ptrIjEEEESH_NSE_INSF_ISA_EEEESJ_NS0_19identity_decomposerEEE10hipError_tT1_T2_T3_T4_jRjT5_jjP12ihipStream_tbEUlT_E_NS1_11comp_targetILNS1_3genE2ELNS1_11target_archE906ELNS1_3gpuE6ELNS1_3repE0EEENS1_44radix_sort_block_sort_config_static_selectorELNS0_4arch9wavefront6targetE0EEEvSM_
	.globl	_ZN7rocprim17ROCPRIM_400000_NS6detail17trampoline_kernelINS0_13kernel_configILj256ELj4ELj4294967295EEENS1_37radix_sort_block_sort_config_selectorIjN6thrust23THRUST_200600_302600_NS5tupleIffNS7_9null_typeES9_S9_S9_S9_S9_S9_S9_EEEEZNS1_21radix_sort_block_sortIS4_Lb0ENS7_6detail15normal_iteratorINS7_10device_ptrIjEEEESH_NSE_INSF_ISA_EEEESJ_NS0_19identity_decomposerEEE10hipError_tT1_T2_T3_T4_jRjT5_jjP12ihipStream_tbEUlT_E_NS1_11comp_targetILNS1_3genE2ELNS1_11target_archE906ELNS1_3gpuE6ELNS1_3repE0EEENS1_44radix_sort_block_sort_config_static_selectorELNS0_4arch9wavefront6targetE0EEEvSM_
	.p2align	8
	.type	_ZN7rocprim17ROCPRIM_400000_NS6detail17trampoline_kernelINS0_13kernel_configILj256ELj4ELj4294967295EEENS1_37radix_sort_block_sort_config_selectorIjN6thrust23THRUST_200600_302600_NS5tupleIffNS7_9null_typeES9_S9_S9_S9_S9_S9_S9_EEEEZNS1_21radix_sort_block_sortIS4_Lb0ENS7_6detail15normal_iteratorINS7_10device_ptrIjEEEESH_NSE_INSF_ISA_EEEESJ_NS0_19identity_decomposerEEE10hipError_tT1_T2_T3_T4_jRjT5_jjP12ihipStream_tbEUlT_E_NS1_11comp_targetILNS1_3genE2ELNS1_11target_archE906ELNS1_3gpuE6ELNS1_3repE0EEENS1_44radix_sort_block_sort_config_static_selectorELNS0_4arch9wavefront6targetE0EEEvSM_,@function
_ZN7rocprim17ROCPRIM_400000_NS6detail17trampoline_kernelINS0_13kernel_configILj256ELj4ELj4294967295EEENS1_37radix_sort_block_sort_config_selectorIjN6thrust23THRUST_200600_302600_NS5tupleIffNS7_9null_typeES9_S9_S9_S9_S9_S9_S9_EEEEZNS1_21radix_sort_block_sortIS4_Lb0ENS7_6detail15normal_iteratorINS7_10device_ptrIjEEEESH_NSE_INSF_ISA_EEEESJ_NS0_19identity_decomposerEEE10hipError_tT1_T2_T3_T4_jRjT5_jjP12ihipStream_tbEUlT_E_NS1_11comp_targetILNS1_3genE2ELNS1_11target_archE906ELNS1_3gpuE6ELNS1_3repE0EEENS1_44radix_sort_block_sort_config_static_selectorELNS0_4arch9wavefront6targetE0EEEvSM_: ; @_ZN7rocprim17ROCPRIM_400000_NS6detail17trampoline_kernelINS0_13kernel_configILj256ELj4ELj4294967295EEENS1_37radix_sort_block_sort_config_selectorIjN6thrust23THRUST_200600_302600_NS5tupleIffNS7_9null_typeES9_S9_S9_S9_S9_S9_S9_EEEEZNS1_21radix_sort_block_sortIS4_Lb0ENS7_6detail15normal_iteratorINS7_10device_ptrIjEEEESH_NSE_INSF_ISA_EEEESJ_NS0_19identity_decomposerEEE10hipError_tT1_T2_T3_T4_jRjT5_jjP12ihipStream_tbEUlT_E_NS1_11comp_targetILNS1_3genE2ELNS1_11target_archE906ELNS1_3gpuE6ELNS1_3repE0EEENS1_44radix_sort_block_sort_config_static_selectorELNS0_4arch9wavefront6targetE0EEEvSM_
; %bb.0:
	.section	.rodata,"a",@progbits
	.p2align	6, 0x0
	.amdhsa_kernel _ZN7rocprim17ROCPRIM_400000_NS6detail17trampoline_kernelINS0_13kernel_configILj256ELj4ELj4294967295EEENS1_37radix_sort_block_sort_config_selectorIjN6thrust23THRUST_200600_302600_NS5tupleIffNS7_9null_typeES9_S9_S9_S9_S9_S9_S9_EEEEZNS1_21radix_sort_block_sortIS4_Lb0ENS7_6detail15normal_iteratorINS7_10device_ptrIjEEEESH_NSE_INSF_ISA_EEEESJ_NS0_19identity_decomposerEEE10hipError_tT1_T2_T3_T4_jRjT5_jjP12ihipStream_tbEUlT_E_NS1_11comp_targetILNS1_3genE2ELNS1_11target_archE906ELNS1_3gpuE6ELNS1_3repE0EEENS1_44radix_sort_block_sort_config_static_selectorELNS0_4arch9wavefront6targetE0EEEvSM_
		.amdhsa_group_segment_fixed_size 0
		.amdhsa_private_segment_fixed_size 0
		.amdhsa_kernarg_size 48
		.amdhsa_user_sgpr_count 6
		.amdhsa_user_sgpr_private_segment_buffer 1
		.amdhsa_user_sgpr_dispatch_ptr 0
		.amdhsa_user_sgpr_queue_ptr 0
		.amdhsa_user_sgpr_kernarg_segment_ptr 1
		.amdhsa_user_sgpr_dispatch_id 0
		.amdhsa_user_sgpr_flat_scratch_init 0
		.amdhsa_user_sgpr_private_segment_size 0
		.amdhsa_wavefront_size32 1
		.amdhsa_uses_dynamic_stack 0
		.amdhsa_system_sgpr_private_segment_wavefront_offset 0
		.amdhsa_system_sgpr_workgroup_id_x 1
		.amdhsa_system_sgpr_workgroup_id_y 0
		.amdhsa_system_sgpr_workgroup_id_z 0
		.amdhsa_system_sgpr_workgroup_info 0
		.amdhsa_system_vgpr_workitem_id 0
		.amdhsa_next_free_vgpr 1
		.amdhsa_next_free_sgpr 1
		.amdhsa_reserve_vcc 0
		.amdhsa_reserve_flat_scratch 0
		.amdhsa_float_round_mode_32 0
		.amdhsa_float_round_mode_16_64 0
		.amdhsa_float_denorm_mode_32 3
		.amdhsa_float_denorm_mode_16_64 3
		.amdhsa_dx10_clamp 1
		.amdhsa_ieee_mode 1
		.amdhsa_fp16_overflow 0
		.amdhsa_workgroup_processor_mode 1
		.amdhsa_memory_ordered 1
		.amdhsa_forward_progress 1
		.amdhsa_shared_vgpr_count 0
		.amdhsa_exception_fp_ieee_invalid_op 0
		.amdhsa_exception_fp_denorm_src 0
		.amdhsa_exception_fp_ieee_div_zero 0
		.amdhsa_exception_fp_ieee_overflow 0
		.amdhsa_exception_fp_ieee_underflow 0
		.amdhsa_exception_fp_ieee_inexact 0
		.amdhsa_exception_int_div_zero 0
	.end_amdhsa_kernel
	.section	.text._ZN7rocprim17ROCPRIM_400000_NS6detail17trampoline_kernelINS0_13kernel_configILj256ELj4ELj4294967295EEENS1_37radix_sort_block_sort_config_selectorIjN6thrust23THRUST_200600_302600_NS5tupleIffNS7_9null_typeES9_S9_S9_S9_S9_S9_S9_EEEEZNS1_21radix_sort_block_sortIS4_Lb0ENS7_6detail15normal_iteratorINS7_10device_ptrIjEEEESH_NSE_INSF_ISA_EEEESJ_NS0_19identity_decomposerEEE10hipError_tT1_T2_T3_T4_jRjT5_jjP12ihipStream_tbEUlT_E_NS1_11comp_targetILNS1_3genE2ELNS1_11target_archE906ELNS1_3gpuE6ELNS1_3repE0EEENS1_44radix_sort_block_sort_config_static_selectorELNS0_4arch9wavefront6targetE0EEEvSM_,"axG",@progbits,_ZN7rocprim17ROCPRIM_400000_NS6detail17trampoline_kernelINS0_13kernel_configILj256ELj4ELj4294967295EEENS1_37radix_sort_block_sort_config_selectorIjN6thrust23THRUST_200600_302600_NS5tupleIffNS7_9null_typeES9_S9_S9_S9_S9_S9_S9_EEEEZNS1_21radix_sort_block_sortIS4_Lb0ENS7_6detail15normal_iteratorINS7_10device_ptrIjEEEESH_NSE_INSF_ISA_EEEESJ_NS0_19identity_decomposerEEE10hipError_tT1_T2_T3_T4_jRjT5_jjP12ihipStream_tbEUlT_E_NS1_11comp_targetILNS1_3genE2ELNS1_11target_archE906ELNS1_3gpuE6ELNS1_3repE0EEENS1_44radix_sort_block_sort_config_static_selectorELNS0_4arch9wavefront6targetE0EEEvSM_,comdat
.Lfunc_end11:
	.size	_ZN7rocprim17ROCPRIM_400000_NS6detail17trampoline_kernelINS0_13kernel_configILj256ELj4ELj4294967295EEENS1_37radix_sort_block_sort_config_selectorIjN6thrust23THRUST_200600_302600_NS5tupleIffNS7_9null_typeES9_S9_S9_S9_S9_S9_S9_EEEEZNS1_21radix_sort_block_sortIS4_Lb0ENS7_6detail15normal_iteratorINS7_10device_ptrIjEEEESH_NSE_INSF_ISA_EEEESJ_NS0_19identity_decomposerEEE10hipError_tT1_T2_T3_T4_jRjT5_jjP12ihipStream_tbEUlT_E_NS1_11comp_targetILNS1_3genE2ELNS1_11target_archE906ELNS1_3gpuE6ELNS1_3repE0EEENS1_44radix_sort_block_sort_config_static_selectorELNS0_4arch9wavefront6targetE0EEEvSM_, .Lfunc_end11-_ZN7rocprim17ROCPRIM_400000_NS6detail17trampoline_kernelINS0_13kernel_configILj256ELj4ELj4294967295EEENS1_37radix_sort_block_sort_config_selectorIjN6thrust23THRUST_200600_302600_NS5tupleIffNS7_9null_typeES9_S9_S9_S9_S9_S9_S9_EEEEZNS1_21radix_sort_block_sortIS4_Lb0ENS7_6detail15normal_iteratorINS7_10device_ptrIjEEEESH_NSE_INSF_ISA_EEEESJ_NS0_19identity_decomposerEEE10hipError_tT1_T2_T3_T4_jRjT5_jjP12ihipStream_tbEUlT_E_NS1_11comp_targetILNS1_3genE2ELNS1_11target_archE906ELNS1_3gpuE6ELNS1_3repE0EEENS1_44radix_sort_block_sort_config_static_selectorELNS0_4arch9wavefront6targetE0EEEvSM_
                                        ; -- End function
	.set _ZN7rocprim17ROCPRIM_400000_NS6detail17trampoline_kernelINS0_13kernel_configILj256ELj4ELj4294967295EEENS1_37radix_sort_block_sort_config_selectorIjN6thrust23THRUST_200600_302600_NS5tupleIffNS7_9null_typeES9_S9_S9_S9_S9_S9_S9_EEEEZNS1_21radix_sort_block_sortIS4_Lb0ENS7_6detail15normal_iteratorINS7_10device_ptrIjEEEESH_NSE_INSF_ISA_EEEESJ_NS0_19identity_decomposerEEE10hipError_tT1_T2_T3_T4_jRjT5_jjP12ihipStream_tbEUlT_E_NS1_11comp_targetILNS1_3genE2ELNS1_11target_archE906ELNS1_3gpuE6ELNS1_3repE0EEENS1_44radix_sort_block_sort_config_static_selectorELNS0_4arch9wavefront6targetE0EEEvSM_.num_vgpr, 0
	.set _ZN7rocprim17ROCPRIM_400000_NS6detail17trampoline_kernelINS0_13kernel_configILj256ELj4ELj4294967295EEENS1_37radix_sort_block_sort_config_selectorIjN6thrust23THRUST_200600_302600_NS5tupleIffNS7_9null_typeES9_S9_S9_S9_S9_S9_S9_EEEEZNS1_21radix_sort_block_sortIS4_Lb0ENS7_6detail15normal_iteratorINS7_10device_ptrIjEEEESH_NSE_INSF_ISA_EEEESJ_NS0_19identity_decomposerEEE10hipError_tT1_T2_T3_T4_jRjT5_jjP12ihipStream_tbEUlT_E_NS1_11comp_targetILNS1_3genE2ELNS1_11target_archE906ELNS1_3gpuE6ELNS1_3repE0EEENS1_44radix_sort_block_sort_config_static_selectorELNS0_4arch9wavefront6targetE0EEEvSM_.num_agpr, 0
	.set _ZN7rocprim17ROCPRIM_400000_NS6detail17trampoline_kernelINS0_13kernel_configILj256ELj4ELj4294967295EEENS1_37radix_sort_block_sort_config_selectorIjN6thrust23THRUST_200600_302600_NS5tupleIffNS7_9null_typeES9_S9_S9_S9_S9_S9_S9_EEEEZNS1_21radix_sort_block_sortIS4_Lb0ENS7_6detail15normal_iteratorINS7_10device_ptrIjEEEESH_NSE_INSF_ISA_EEEESJ_NS0_19identity_decomposerEEE10hipError_tT1_T2_T3_T4_jRjT5_jjP12ihipStream_tbEUlT_E_NS1_11comp_targetILNS1_3genE2ELNS1_11target_archE906ELNS1_3gpuE6ELNS1_3repE0EEENS1_44radix_sort_block_sort_config_static_selectorELNS0_4arch9wavefront6targetE0EEEvSM_.numbered_sgpr, 0
	.set _ZN7rocprim17ROCPRIM_400000_NS6detail17trampoline_kernelINS0_13kernel_configILj256ELj4ELj4294967295EEENS1_37radix_sort_block_sort_config_selectorIjN6thrust23THRUST_200600_302600_NS5tupleIffNS7_9null_typeES9_S9_S9_S9_S9_S9_S9_EEEEZNS1_21radix_sort_block_sortIS4_Lb0ENS7_6detail15normal_iteratorINS7_10device_ptrIjEEEESH_NSE_INSF_ISA_EEEESJ_NS0_19identity_decomposerEEE10hipError_tT1_T2_T3_T4_jRjT5_jjP12ihipStream_tbEUlT_E_NS1_11comp_targetILNS1_3genE2ELNS1_11target_archE906ELNS1_3gpuE6ELNS1_3repE0EEENS1_44radix_sort_block_sort_config_static_selectorELNS0_4arch9wavefront6targetE0EEEvSM_.num_named_barrier, 0
	.set _ZN7rocprim17ROCPRIM_400000_NS6detail17trampoline_kernelINS0_13kernel_configILj256ELj4ELj4294967295EEENS1_37radix_sort_block_sort_config_selectorIjN6thrust23THRUST_200600_302600_NS5tupleIffNS7_9null_typeES9_S9_S9_S9_S9_S9_S9_EEEEZNS1_21radix_sort_block_sortIS4_Lb0ENS7_6detail15normal_iteratorINS7_10device_ptrIjEEEESH_NSE_INSF_ISA_EEEESJ_NS0_19identity_decomposerEEE10hipError_tT1_T2_T3_T4_jRjT5_jjP12ihipStream_tbEUlT_E_NS1_11comp_targetILNS1_3genE2ELNS1_11target_archE906ELNS1_3gpuE6ELNS1_3repE0EEENS1_44radix_sort_block_sort_config_static_selectorELNS0_4arch9wavefront6targetE0EEEvSM_.private_seg_size, 0
	.set _ZN7rocprim17ROCPRIM_400000_NS6detail17trampoline_kernelINS0_13kernel_configILj256ELj4ELj4294967295EEENS1_37radix_sort_block_sort_config_selectorIjN6thrust23THRUST_200600_302600_NS5tupleIffNS7_9null_typeES9_S9_S9_S9_S9_S9_S9_EEEEZNS1_21radix_sort_block_sortIS4_Lb0ENS7_6detail15normal_iteratorINS7_10device_ptrIjEEEESH_NSE_INSF_ISA_EEEESJ_NS0_19identity_decomposerEEE10hipError_tT1_T2_T3_T4_jRjT5_jjP12ihipStream_tbEUlT_E_NS1_11comp_targetILNS1_3genE2ELNS1_11target_archE906ELNS1_3gpuE6ELNS1_3repE0EEENS1_44radix_sort_block_sort_config_static_selectorELNS0_4arch9wavefront6targetE0EEEvSM_.uses_vcc, 0
	.set _ZN7rocprim17ROCPRIM_400000_NS6detail17trampoline_kernelINS0_13kernel_configILj256ELj4ELj4294967295EEENS1_37radix_sort_block_sort_config_selectorIjN6thrust23THRUST_200600_302600_NS5tupleIffNS7_9null_typeES9_S9_S9_S9_S9_S9_S9_EEEEZNS1_21radix_sort_block_sortIS4_Lb0ENS7_6detail15normal_iteratorINS7_10device_ptrIjEEEESH_NSE_INSF_ISA_EEEESJ_NS0_19identity_decomposerEEE10hipError_tT1_T2_T3_T4_jRjT5_jjP12ihipStream_tbEUlT_E_NS1_11comp_targetILNS1_3genE2ELNS1_11target_archE906ELNS1_3gpuE6ELNS1_3repE0EEENS1_44radix_sort_block_sort_config_static_selectorELNS0_4arch9wavefront6targetE0EEEvSM_.uses_flat_scratch, 0
	.set _ZN7rocprim17ROCPRIM_400000_NS6detail17trampoline_kernelINS0_13kernel_configILj256ELj4ELj4294967295EEENS1_37radix_sort_block_sort_config_selectorIjN6thrust23THRUST_200600_302600_NS5tupleIffNS7_9null_typeES9_S9_S9_S9_S9_S9_S9_EEEEZNS1_21radix_sort_block_sortIS4_Lb0ENS7_6detail15normal_iteratorINS7_10device_ptrIjEEEESH_NSE_INSF_ISA_EEEESJ_NS0_19identity_decomposerEEE10hipError_tT1_T2_T3_T4_jRjT5_jjP12ihipStream_tbEUlT_E_NS1_11comp_targetILNS1_3genE2ELNS1_11target_archE906ELNS1_3gpuE6ELNS1_3repE0EEENS1_44radix_sort_block_sort_config_static_selectorELNS0_4arch9wavefront6targetE0EEEvSM_.has_dyn_sized_stack, 0
	.set _ZN7rocprim17ROCPRIM_400000_NS6detail17trampoline_kernelINS0_13kernel_configILj256ELj4ELj4294967295EEENS1_37radix_sort_block_sort_config_selectorIjN6thrust23THRUST_200600_302600_NS5tupleIffNS7_9null_typeES9_S9_S9_S9_S9_S9_S9_EEEEZNS1_21radix_sort_block_sortIS4_Lb0ENS7_6detail15normal_iteratorINS7_10device_ptrIjEEEESH_NSE_INSF_ISA_EEEESJ_NS0_19identity_decomposerEEE10hipError_tT1_T2_T3_T4_jRjT5_jjP12ihipStream_tbEUlT_E_NS1_11comp_targetILNS1_3genE2ELNS1_11target_archE906ELNS1_3gpuE6ELNS1_3repE0EEENS1_44radix_sort_block_sort_config_static_selectorELNS0_4arch9wavefront6targetE0EEEvSM_.has_recursion, 0
	.set _ZN7rocprim17ROCPRIM_400000_NS6detail17trampoline_kernelINS0_13kernel_configILj256ELj4ELj4294967295EEENS1_37radix_sort_block_sort_config_selectorIjN6thrust23THRUST_200600_302600_NS5tupleIffNS7_9null_typeES9_S9_S9_S9_S9_S9_S9_EEEEZNS1_21radix_sort_block_sortIS4_Lb0ENS7_6detail15normal_iteratorINS7_10device_ptrIjEEEESH_NSE_INSF_ISA_EEEESJ_NS0_19identity_decomposerEEE10hipError_tT1_T2_T3_T4_jRjT5_jjP12ihipStream_tbEUlT_E_NS1_11comp_targetILNS1_3genE2ELNS1_11target_archE906ELNS1_3gpuE6ELNS1_3repE0EEENS1_44radix_sort_block_sort_config_static_selectorELNS0_4arch9wavefront6targetE0EEEvSM_.has_indirect_call, 0
	.section	.AMDGPU.csdata,"",@progbits
; Kernel info:
; codeLenInByte = 0
; TotalNumSgprs: 0
; NumVgprs: 0
; ScratchSize: 0
; MemoryBound: 0
; FloatMode: 240
; IeeeMode: 1
; LDSByteSize: 0 bytes/workgroup (compile time only)
; SGPRBlocks: 0
; VGPRBlocks: 0
; NumSGPRsForWavesPerEU: 1
; NumVGPRsForWavesPerEU: 1
; Occupancy: 16
; WaveLimiterHint : 0
; COMPUTE_PGM_RSRC2:SCRATCH_EN: 0
; COMPUTE_PGM_RSRC2:USER_SGPR: 6
; COMPUTE_PGM_RSRC2:TRAP_HANDLER: 0
; COMPUTE_PGM_RSRC2:TGID_X_EN: 1
; COMPUTE_PGM_RSRC2:TGID_Y_EN: 0
; COMPUTE_PGM_RSRC2:TGID_Z_EN: 0
; COMPUTE_PGM_RSRC2:TIDIG_COMP_CNT: 0
	.section	.text._ZN7rocprim17ROCPRIM_400000_NS6detail17trampoline_kernelINS0_13kernel_configILj256ELj4ELj4294967295EEENS1_37radix_sort_block_sort_config_selectorIjN6thrust23THRUST_200600_302600_NS5tupleIffNS7_9null_typeES9_S9_S9_S9_S9_S9_S9_EEEEZNS1_21radix_sort_block_sortIS4_Lb0ENS7_6detail15normal_iteratorINS7_10device_ptrIjEEEESH_NSE_INSF_ISA_EEEESJ_NS0_19identity_decomposerEEE10hipError_tT1_T2_T3_T4_jRjT5_jjP12ihipStream_tbEUlT_E_NS1_11comp_targetILNS1_3genE10ELNS1_11target_archE1201ELNS1_3gpuE5ELNS1_3repE0EEENS1_44radix_sort_block_sort_config_static_selectorELNS0_4arch9wavefront6targetE0EEEvSM_,"axG",@progbits,_ZN7rocprim17ROCPRIM_400000_NS6detail17trampoline_kernelINS0_13kernel_configILj256ELj4ELj4294967295EEENS1_37radix_sort_block_sort_config_selectorIjN6thrust23THRUST_200600_302600_NS5tupleIffNS7_9null_typeES9_S9_S9_S9_S9_S9_S9_EEEEZNS1_21radix_sort_block_sortIS4_Lb0ENS7_6detail15normal_iteratorINS7_10device_ptrIjEEEESH_NSE_INSF_ISA_EEEESJ_NS0_19identity_decomposerEEE10hipError_tT1_T2_T3_T4_jRjT5_jjP12ihipStream_tbEUlT_E_NS1_11comp_targetILNS1_3genE10ELNS1_11target_archE1201ELNS1_3gpuE5ELNS1_3repE0EEENS1_44radix_sort_block_sort_config_static_selectorELNS0_4arch9wavefront6targetE0EEEvSM_,comdat
	.protected	_ZN7rocprim17ROCPRIM_400000_NS6detail17trampoline_kernelINS0_13kernel_configILj256ELj4ELj4294967295EEENS1_37radix_sort_block_sort_config_selectorIjN6thrust23THRUST_200600_302600_NS5tupleIffNS7_9null_typeES9_S9_S9_S9_S9_S9_S9_EEEEZNS1_21radix_sort_block_sortIS4_Lb0ENS7_6detail15normal_iteratorINS7_10device_ptrIjEEEESH_NSE_INSF_ISA_EEEESJ_NS0_19identity_decomposerEEE10hipError_tT1_T2_T3_T4_jRjT5_jjP12ihipStream_tbEUlT_E_NS1_11comp_targetILNS1_3genE10ELNS1_11target_archE1201ELNS1_3gpuE5ELNS1_3repE0EEENS1_44radix_sort_block_sort_config_static_selectorELNS0_4arch9wavefront6targetE0EEEvSM_ ; -- Begin function _ZN7rocprim17ROCPRIM_400000_NS6detail17trampoline_kernelINS0_13kernel_configILj256ELj4ELj4294967295EEENS1_37radix_sort_block_sort_config_selectorIjN6thrust23THRUST_200600_302600_NS5tupleIffNS7_9null_typeES9_S9_S9_S9_S9_S9_S9_EEEEZNS1_21radix_sort_block_sortIS4_Lb0ENS7_6detail15normal_iteratorINS7_10device_ptrIjEEEESH_NSE_INSF_ISA_EEEESJ_NS0_19identity_decomposerEEE10hipError_tT1_T2_T3_T4_jRjT5_jjP12ihipStream_tbEUlT_E_NS1_11comp_targetILNS1_3genE10ELNS1_11target_archE1201ELNS1_3gpuE5ELNS1_3repE0EEENS1_44radix_sort_block_sort_config_static_selectorELNS0_4arch9wavefront6targetE0EEEvSM_
	.globl	_ZN7rocprim17ROCPRIM_400000_NS6detail17trampoline_kernelINS0_13kernel_configILj256ELj4ELj4294967295EEENS1_37radix_sort_block_sort_config_selectorIjN6thrust23THRUST_200600_302600_NS5tupleIffNS7_9null_typeES9_S9_S9_S9_S9_S9_S9_EEEEZNS1_21radix_sort_block_sortIS4_Lb0ENS7_6detail15normal_iteratorINS7_10device_ptrIjEEEESH_NSE_INSF_ISA_EEEESJ_NS0_19identity_decomposerEEE10hipError_tT1_T2_T3_T4_jRjT5_jjP12ihipStream_tbEUlT_E_NS1_11comp_targetILNS1_3genE10ELNS1_11target_archE1201ELNS1_3gpuE5ELNS1_3repE0EEENS1_44radix_sort_block_sort_config_static_selectorELNS0_4arch9wavefront6targetE0EEEvSM_
	.p2align	8
	.type	_ZN7rocprim17ROCPRIM_400000_NS6detail17trampoline_kernelINS0_13kernel_configILj256ELj4ELj4294967295EEENS1_37radix_sort_block_sort_config_selectorIjN6thrust23THRUST_200600_302600_NS5tupleIffNS7_9null_typeES9_S9_S9_S9_S9_S9_S9_EEEEZNS1_21radix_sort_block_sortIS4_Lb0ENS7_6detail15normal_iteratorINS7_10device_ptrIjEEEESH_NSE_INSF_ISA_EEEESJ_NS0_19identity_decomposerEEE10hipError_tT1_T2_T3_T4_jRjT5_jjP12ihipStream_tbEUlT_E_NS1_11comp_targetILNS1_3genE10ELNS1_11target_archE1201ELNS1_3gpuE5ELNS1_3repE0EEENS1_44radix_sort_block_sort_config_static_selectorELNS0_4arch9wavefront6targetE0EEEvSM_,@function
_ZN7rocprim17ROCPRIM_400000_NS6detail17trampoline_kernelINS0_13kernel_configILj256ELj4ELj4294967295EEENS1_37radix_sort_block_sort_config_selectorIjN6thrust23THRUST_200600_302600_NS5tupleIffNS7_9null_typeES9_S9_S9_S9_S9_S9_S9_EEEEZNS1_21radix_sort_block_sortIS4_Lb0ENS7_6detail15normal_iteratorINS7_10device_ptrIjEEEESH_NSE_INSF_ISA_EEEESJ_NS0_19identity_decomposerEEE10hipError_tT1_T2_T3_T4_jRjT5_jjP12ihipStream_tbEUlT_E_NS1_11comp_targetILNS1_3genE10ELNS1_11target_archE1201ELNS1_3gpuE5ELNS1_3repE0EEENS1_44radix_sort_block_sort_config_static_selectorELNS0_4arch9wavefront6targetE0EEEvSM_: ; @_ZN7rocprim17ROCPRIM_400000_NS6detail17trampoline_kernelINS0_13kernel_configILj256ELj4ELj4294967295EEENS1_37radix_sort_block_sort_config_selectorIjN6thrust23THRUST_200600_302600_NS5tupleIffNS7_9null_typeES9_S9_S9_S9_S9_S9_S9_EEEEZNS1_21radix_sort_block_sortIS4_Lb0ENS7_6detail15normal_iteratorINS7_10device_ptrIjEEEESH_NSE_INSF_ISA_EEEESJ_NS0_19identity_decomposerEEE10hipError_tT1_T2_T3_T4_jRjT5_jjP12ihipStream_tbEUlT_E_NS1_11comp_targetILNS1_3genE10ELNS1_11target_archE1201ELNS1_3gpuE5ELNS1_3repE0EEENS1_44radix_sort_block_sort_config_static_selectorELNS0_4arch9wavefront6targetE0EEEvSM_
; %bb.0:
	.section	.rodata,"a",@progbits
	.p2align	6, 0x0
	.amdhsa_kernel _ZN7rocprim17ROCPRIM_400000_NS6detail17trampoline_kernelINS0_13kernel_configILj256ELj4ELj4294967295EEENS1_37radix_sort_block_sort_config_selectorIjN6thrust23THRUST_200600_302600_NS5tupleIffNS7_9null_typeES9_S9_S9_S9_S9_S9_S9_EEEEZNS1_21radix_sort_block_sortIS4_Lb0ENS7_6detail15normal_iteratorINS7_10device_ptrIjEEEESH_NSE_INSF_ISA_EEEESJ_NS0_19identity_decomposerEEE10hipError_tT1_T2_T3_T4_jRjT5_jjP12ihipStream_tbEUlT_E_NS1_11comp_targetILNS1_3genE10ELNS1_11target_archE1201ELNS1_3gpuE5ELNS1_3repE0EEENS1_44radix_sort_block_sort_config_static_selectorELNS0_4arch9wavefront6targetE0EEEvSM_
		.amdhsa_group_segment_fixed_size 0
		.amdhsa_private_segment_fixed_size 0
		.amdhsa_kernarg_size 48
		.amdhsa_user_sgpr_count 6
		.amdhsa_user_sgpr_private_segment_buffer 1
		.amdhsa_user_sgpr_dispatch_ptr 0
		.amdhsa_user_sgpr_queue_ptr 0
		.amdhsa_user_sgpr_kernarg_segment_ptr 1
		.amdhsa_user_sgpr_dispatch_id 0
		.amdhsa_user_sgpr_flat_scratch_init 0
		.amdhsa_user_sgpr_private_segment_size 0
		.amdhsa_wavefront_size32 1
		.amdhsa_uses_dynamic_stack 0
		.amdhsa_system_sgpr_private_segment_wavefront_offset 0
		.amdhsa_system_sgpr_workgroup_id_x 1
		.amdhsa_system_sgpr_workgroup_id_y 0
		.amdhsa_system_sgpr_workgroup_id_z 0
		.amdhsa_system_sgpr_workgroup_info 0
		.amdhsa_system_vgpr_workitem_id 0
		.amdhsa_next_free_vgpr 1
		.amdhsa_next_free_sgpr 1
		.amdhsa_reserve_vcc 0
		.amdhsa_reserve_flat_scratch 0
		.amdhsa_float_round_mode_32 0
		.amdhsa_float_round_mode_16_64 0
		.amdhsa_float_denorm_mode_32 3
		.amdhsa_float_denorm_mode_16_64 3
		.amdhsa_dx10_clamp 1
		.amdhsa_ieee_mode 1
		.amdhsa_fp16_overflow 0
		.amdhsa_workgroup_processor_mode 1
		.amdhsa_memory_ordered 1
		.amdhsa_forward_progress 1
		.amdhsa_shared_vgpr_count 0
		.amdhsa_exception_fp_ieee_invalid_op 0
		.amdhsa_exception_fp_denorm_src 0
		.amdhsa_exception_fp_ieee_div_zero 0
		.amdhsa_exception_fp_ieee_overflow 0
		.amdhsa_exception_fp_ieee_underflow 0
		.amdhsa_exception_fp_ieee_inexact 0
		.amdhsa_exception_int_div_zero 0
	.end_amdhsa_kernel
	.section	.text._ZN7rocprim17ROCPRIM_400000_NS6detail17trampoline_kernelINS0_13kernel_configILj256ELj4ELj4294967295EEENS1_37radix_sort_block_sort_config_selectorIjN6thrust23THRUST_200600_302600_NS5tupleIffNS7_9null_typeES9_S9_S9_S9_S9_S9_S9_EEEEZNS1_21radix_sort_block_sortIS4_Lb0ENS7_6detail15normal_iteratorINS7_10device_ptrIjEEEESH_NSE_INSF_ISA_EEEESJ_NS0_19identity_decomposerEEE10hipError_tT1_T2_T3_T4_jRjT5_jjP12ihipStream_tbEUlT_E_NS1_11comp_targetILNS1_3genE10ELNS1_11target_archE1201ELNS1_3gpuE5ELNS1_3repE0EEENS1_44radix_sort_block_sort_config_static_selectorELNS0_4arch9wavefront6targetE0EEEvSM_,"axG",@progbits,_ZN7rocprim17ROCPRIM_400000_NS6detail17trampoline_kernelINS0_13kernel_configILj256ELj4ELj4294967295EEENS1_37radix_sort_block_sort_config_selectorIjN6thrust23THRUST_200600_302600_NS5tupleIffNS7_9null_typeES9_S9_S9_S9_S9_S9_S9_EEEEZNS1_21radix_sort_block_sortIS4_Lb0ENS7_6detail15normal_iteratorINS7_10device_ptrIjEEEESH_NSE_INSF_ISA_EEEESJ_NS0_19identity_decomposerEEE10hipError_tT1_T2_T3_T4_jRjT5_jjP12ihipStream_tbEUlT_E_NS1_11comp_targetILNS1_3genE10ELNS1_11target_archE1201ELNS1_3gpuE5ELNS1_3repE0EEENS1_44radix_sort_block_sort_config_static_selectorELNS0_4arch9wavefront6targetE0EEEvSM_,comdat
.Lfunc_end12:
	.size	_ZN7rocprim17ROCPRIM_400000_NS6detail17trampoline_kernelINS0_13kernel_configILj256ELj4ELj4294967295EEENS1_37radix_sort_block_sort_config_selectorIjN6thrust23THRUST_200600_302600_NS5tupleIffNS7_9null_typeES9_S9_S9_S9_S9_S9_S9_EEEEZNS1_21radix_sort_block_sortIS4_Lb0ENS7_6detail15normal_iteratorINS7_10device_ptrIjEEEESH_NSE_INSF_ISA_EEEESJ_NS0_19identity_decomposerEEE10hipError_tT1_T2_T3_T4_jRjT5_jjP12ihipStream_tbEUlT_E_NS1_11comp_targetILNS1_3genE10ELNS1_11target_archE1201ELNS1_3gpuE5ELNS1_3repE0EEENS1_44radix_sort_block_sort_config_static_selectorELNS0_4arch9wavefront6targetE0EEEvSM_, .Lfunc_end12-_ZN7rocprim17ROCPRIM_400000_NS6detail17trampoline_kernelINS0_13kernel_configILj256ELj4ELj4294967295EEENS1_37radix_sort_block_sort_config_selectorIjN6thrust23THRUST_200600_302600_NS5tupleIffNS7_9null_typeES9_S9_S9_S9_S9_S9_S9_EEEEZNS1_21radix_sort_block_sortIS4_Lb0ENS7_6detail15normal_iteratorINS7_10device_ptrIjEEEESH_NSE_INSF_ISA_EEEESJ_NS0_19identity_decomposerEEE10hipError_tT1_T2_T3_T4_jRjT5_jjP12ihipStream_tbEUlT_E_NS1_11comp_targetILNS1_3genE10ELNS1_11target_archE1201ELNS1_3gpuE5ELNS1_3repE0EEENS1_44radix_sort_block_sort_config_static_selectorELNS0_4arch9wavefront6targetE0EEEvSM_
                                        ; -- End function
	.set _ZN7rocprim17ROCPRIM_400000_NS6detail17trampoline_kernelINS0_13kernel_configILj256ELj4ELj4294967295EEENS1_37radix_sort_block_sort_config_selectorIjN6thrust23THRUST_200600_302600_NS5tupleIffNS7_9null_typeES9_S9_S9_S9_S9_S9_S9_EEEEZNS1_21radix_sort_block_sortIS4_Lb0ENS7_6detail15normal_iteratorINS7_10device_ptrIjEEEESH_NSE_INSF_ISA_EEEESJ_NS0_19identity_decomposerEEE10hipError_tT1_T2_T3_T4_jRjT5_jjP12ihipStream_tbEUlT_E_NS1_11comp_targetILNS1_3genE10ELNS1_11target_archE1201ELNS1_3gpuE5ELNS1_3repE0EEENS1_44radix_sort_block_sort_config_static_selectorELNS0_4arch9wavefront6targetE0EEEvSM_.num_vgpr, 0
	.set _ZN7rocprim17ROCPRIM_400000_NS6detail17trampoline_kernelINS0_13kernel_configILj256ELj4ELj4294967295EEENS1_37radix_sort_block_sort_config_selectorIjN6thrust23THRUST_200600_302600_NS5tupleIffNS7_9null_typeES9_S9_S9_S9_S9_S9_S9_EEEEZNS1_21radix_sort_block_sortIS4_Lb0ENS7_6detail15normal_iteratorINS7_10device_ptrIjEEEESH_NSE_INSF_ISA_EEEESJ_NS0_19identity_decomposerEEE10hipError_tT1_T2_T3_T4_jRjT5_jjP12ihipStream_tbEUlT_E_NS1_11comp_targetILNS1_3genE10ELNS1_11target_archE1201ELNS1_3gpuE5ELNS1_3repE0EEENS1_44radix_sort_block_sort_config_static_selectorELNS0_4arch9wavefront6targetE0EEEvSM_.num_agpr, 0
	.set _ZN7rocprim17ROCPRIM_400000_NS6detail17trampoline_kernelINS0_13kernel_configILj256ELj4ELj4294967295EEENS1_37radix_sort_block_sort_config_selectorIjN6thrust23THRUST_200600_302600_NS5tupleIffNS7_9null_typeES9_S9_S9_S9_S9_S9_S9_EEEEZNS1_21radix_sort_block_sortIS4_Lb0ENS7_6detail15normal_iteratorINS7_10device_ptrIjEEEESH_NSE_INSF_ISA_EEEESJ_NS0_19identity_decomposerEEE10hipError_tT1_T2_T3_T4_jRjT5_jjP12ihipStream_tbEUlT_E_NS1_11comp_targetILNS1_3genE10ELNS1_11target_archE1201ELNS1_3gpuE5ELNS1_3repE0EEENS1_44radix_sort_block_sort_config_static_selectorELNS0_4arch9wavefront6targetE0EEEvSM_.numbered_sgpr, 0
	.set _ZN7rocprim17ROCPRIM_400000_NS6detail17trampoline_kernelINS0_13kernel_configILj256ELj4ELj4294967295EEENS1_37radix_sort_block_sort_config_selectorIjN6thrust23THRUST_200600_302600_NS5tupleIffNS7_9null_typeES9_S9_S9_S9_S9_S9_S9_EEEEZNS1_21radix_sort_block_sortIS4_Lb0ENS7_6detail15normal_iteratorINS7_10device_ptrIjEEEESH_NSE_INSF_ISA_EEEESJ_NS0_19identity_decomposerEEE10hipError_tT1_T2_T3_T4_jRjT5_jjP12ihipStream_tbEUlT_E_NS1_11comp_targetILNS1_3genE10ELNS1_11target_archE1201ELNS1_3gpuE5ELNS1_3repE0EEENS1_44radix_sort_block_sort_config_static_selectorELNS0_4arch9wavefront6targetE0EEEvSM_.num_named_barrier, 0
	.set _ZN7rocprim17ROCPRIM_400000_NS6detail17trampoline_kernelINS0_13kernel_configILj256ELj4ELj4294967295EEENS1_37radix_sort_block_sort_config_selectorIjN6thrust23THRUST_200600_302600_NS5tupleIffNS7_9null_typeES9_S9_S9_S9_S9_S9_S9_EEEEZNS1_21radix_sort_block_sortIS4_Lb0ENS7_6detail15normal_iteratorINS7_10device_ptrIjEEEESH_NSE_INSF_ISA_EEEESJ_NS0_19identity_decomposerEEE10hipError_tT1_T2_T3_T4_jRjT5_jjP12ihipStream_tbEUlT_E_NS1_11comp_targetILNS1_3genE10ELNS1_11target_archE1201ELNS1_3gpuE5ELNS1_3repE0EEENS1_44radix_sort_block_sort_config_static_selectorELNS0_4arch9wavefront6targetE0EEEvSM_.private_seg_size, 0
	.set _ZN7rocprim17ROCPRIM_400000_NS6detail17trampoline_kernelINS0_13kernel_configILj256ELj4ELj4294967295EEENS1_37radix_sort_block_sort_config_selectorIjN6thrust23THRUST_200600_302600_NS5tupleIffNS7_9null_typeES9_S9_S9_S9_S9_S9_S9_EEEEZNS1_21radix_sort_block_sortIS4_Lb0ENS7_6detail15normal_iteratorINS7_10device_ptrIjEEEESH_NSE_INSF_ISA_EEEESJ_NS0_19identity_decomposerEEE10hipError_tT1_T2_T3_T4_jRjT5_jjP12ihipStream_tbEUlT_E_NS1_11comp_targetILNS1_3genE10ELNS1_11target_archE1201ELNS1_3gpuE5ELNS1_3repE0EEENS1_44radix_sort_block_sort_config_static_selectorELNS0_4arch9wavefront6targetE0EEEvSM_.uses_vcc, 0
	.set _ZN7rocprim17ROCPRIM_400000_NS6detail17trampoline_kernelINS0_13kernel_configILj256ELj4ELj4294967295EEENS1_37radix_sort_block_sort_config_selectorIjN6thrust23THRUST_200600_302600_NS5tupleIffNS7_9null_typeES9_S9_S9_S9_S9_S9_S9_EEEEZNS1_21radix_sort_block_sortIS4_Lb0ENS7_6detail15normal_iteratorINS7_10device_ptrIjEEEESH_NSE_INSF_ISA_EEEESJ_NS0_19identity_decomposerEEE10hipError_tT1_T2_T3_T4_jRjT5_jjP12ihipStream_tbEUlT_E_NS1_11comp_targetILNS1_3genE10ELNS1_11target_archE1201ELNS1_3gpuE5ELNS1_3repE0EEENS1_44radix_sort_block_sort_config_static_selectorELNS0_4arch9wavefront6targetE0EEEvSM_.uses_flat_scratch, 0
	.set _ZN7rocprim17ROCPRIM_400000_NS6detail17trampoline_kernelINS0_13kernel_configILj256ELj4ELj4294967295EEENS1_37radix_sort_block_sort_config_selectorIjN6thrust23THRUST_200600_302600_NS5tupleIffNS7_9null_typeES9_S9_S9_S9_S9_S9_S9_EEEEZNS1_21radix_sort_block_sortIS4_Lb0ENS7_6detail15normal_iteratorINS7_10device_ptrIjEEEESH_NSE_INSF_ISA_EEEESJ_NS0_19identity_decomposerEEE10hipError_tT1_T2_T3_T4_jRjT5_jjP12ihipStream_tbEUlT_E_NS1_11comp_targetILNS1_3genE10ELNS1_11target_archE1201ELNS1_3gpuE5ELNS1_3repE0EEENS1_44radix_sort_block_sort_config_static_selectorELNS0_4arch9wavefront6targetE0EEEvSM_.has_dyn_sized_stack, 0
	.set _ZN7rocprim17ROCPRIM_400000_NS6detail17trampoline_kernelINS0_13kernel_configILj256ELj4ELj4294967295EEENS1_37radix_sort_block_sort_config_selectorIjN6thrust23THRUST_200600_302600_NS5tupleIffNS7_9null_typeES9_S9_S9_S9_S9_S9_S9_EEEEZNS1_21radix_sort_block_sortIS4_Lb0ENS7_6detail15normal_iteratorINS7_10device_ptrIjEEEESH_NSE_INSF_ISA_EEEESJ_NS0_19identity_decomposerEEE10hipError_tT1_T2_T3_T4_jRjT5_jjP12ihipStream_tbEUlT_E_NS1_11comp_targetILNS1_3genE10ELNS1_11target_archE1201ELNS1_3gpuE5ELNS1_3repE0EEENS1_44radix_sort_block_sort_config_static_selectorELNS0_4arch9wavefront6targetE0EEEvSM_.has_recursion, 0
	.set _ZN7rocprim17ROCPRIM_400000_NS6detail17trampoline_kernelINS0_13kernel_configILj256ELj4ELj4294967295EEENS1_37radix_sort_block_sort_config_selectorIjN6thrust23THRUST_200600_302600_NS5tupleIffNS7_9null_typeES9_S9_S9_S9_S9_S9_S9_EEEEZNS1_21radix_sort_block_sortIS4_Lb0ENS7_6detail15normal_iteratorINS7_10device_ptrIjEEEESH_NSE_INSF_ISA_EEEESJ_NS0_19identity_decomposerEEE10hipError_tT1_T2_T3_T4_jRjT5_jjP12ihipStream_tbEUlT_E_NS1_11comp_targetILNS1_3genE10ELNS1_11target_archE1201ELNS1_3gpuE5ELNS1_3repE0EEENS1_44radix_sort_block_sort_config_static_selectorELNS0_4arch9wavefront6targetE0EEEvSM_.has_indirect_call, 0
	.section	.AMDGPU.csdata,"",@progbits
; Kernel info:
; codeLenInByte = 0
; TotalNumSgprs: 0
; NumVgprs: 0
; ScratchSize: 0
; MemoryBound: 0
; FloatMode: 240
; IeeeMode: 1
; LDSByteSize: 0 bytes/workgroup (compile time only)
; SGPRBlocks: 0
; VGPRBlocks: 0
; NumSGPRsForWavesPerEU: 1
; NumVGPRsForWavesPerEU: 1
; Occupancy: 16
; WaveLimiterHint : 0
; COMPUTE_PGM_RSRC2:SCRATCH_EN: 0
; COMPUTE_PGM_RSRC2:USER_SGPR: 6
; COMPUTE_PGM_RSRC2:TRAP_HANDLER: 0
; COMPUTE_PGM_RSRC2:TGID_X_EN: 1
; COMPUTE_PGM_RSRC2:TGID_Y_EN: 0
; COMPUTE_PGM_RSRC2:TGID_Z_EN: 0
; COMPUTE_PGM_RSRC2:TIDIG_COMP_CNT: 0
	.section	.text._ZN7rocprim17ROCPRIM_400000_NS6detail17trampoline_kernelINS0_13kernel_configILj256ELj4ELj4294967295EEENS1_37radix_sort_block_sort_config_selectorIjN6thrust23THRUST_200600_302600_NS5tupleIffNS7_9null_typeES9_S9_S9_S9_S9_S9_S9_EEEEZNS1_21radix_sort_block_sortIS4_Lb0ENS7_6detail15normal_iteratorINS7_10device_ptrIjEEEESH_NSE_INSF_ISA_EEEESJ_NS0_19identity_decomposerEEE10hipError_tT1_T2_T3_T4_jRjT5_jjP12ihipStream_tbEUlT_E_NS1_11comp_targetILNS1_3genE10ELNS1_11target_archE1200ELNS1_3gpuE4ELNS1_3repE0EEENS1_44radix_sort_block_sort_config_static_selectorELNS0_4arch9wavefront6targetE0EEEvSM_,"axG",@progbits,_ZN7rocprim17ROCPRIM_400000_NS6detail17trampoline_kernelINS0_13kernel_configILj256ELj4ELj4294967295EEENS1_37radix_sort_block_sort_config_selectorIjN6thrust23THRUST_200600_302600_NS5tupleIffNS7_9null_typeES9_S9_S9_S9_S9_S9_S9_EEEEZNS1_21radix_sort_block_sortIS4_Lb0ENS7_6detail15normal_iteratorINS7_10device_ptrIjEEEESH_NSE_INSF_ISA_EEEESJ_NS0_19identity_decomposerEEE10hipError_tT1_T2_T3_T4_jRjT5_jjP12ihipStream_tbEUlT_E_NS1_11comp_targetILNS1_3genE10ELNS1_11target_archE1200ELNS1_3gpuE4ELNS1_3repE0EEENS1_44radix_sort_block_sort_config_static_selectorELNS0_4arch9wavefront6targetE0EEEvSM_,comdat
	.protected	_ZN7rocprim17ROCPRIM_400000_NS6detail17trampoline_kernelINS0_13kernel_configILj256ELj4ELj4294967295EEENS1_37radix_sort_block_sort_config_selectorIjN6thrust23THRUST_200600_302600_NS5tupleIffNS7_9null_typeES9_S9_S9_S9_S9_S9_S9_EEEEZNS1_21radix_sort_block_sortIS4_Lb0ENS7_6detail15normal_iteratorINS7_10device_ptrIjEEEESH_NSE_INSF_ISA_EEEESJ_NS0_19identity_decomposerEEE10hipError_tT1_T2_T3_T4_jRjT5_jjP12ihipStream_tbEUlT_E_NS1_11comp_targetILNS1_3genE10ELNS1_11target_archE1200ELNS1_3gpuE4ELNS1_3repE0EEENS1_44radix_sort_block_sort_config_static_selectorELNS0_4arch9wavefront6targetE0EEEvSM_ ; -- Begin function _ZN7rocprim17ROCPRIM_400000_NS6detail17trampoline_kernelINS0_13kernel_configILj256ELj4ELj4294967295EEENS1_37radix_sort_block_sort_config_selectorIjN6thrust23THRUST_200600_302600_NS5tupleIffNS7_9null_typeES9_S9_S9_S9_S9_S9_S9_EEEEZNS1_21radix_sort_block_sortIS4_Lb0ENS7_6detail15normal_iteratorINS7_10device_ptrIjEEEESH_NSE_INSF_ISA_EEEESJ_NS0_19identity_decomposerEEE10hipError_tT1_T2_T3_T4_jRjT5_jjP12ihipStream_tbEUlT_E_NS1_11comp_targetILNS1_3genE10ELNS1_11target_archE1200ELNS1_3gpuE4ELNS1_3repE0EEENS1_44radix_sort_block_sort_config_static_selectorELNS0_4arch9wavefront6targetE0EEEvSM_
	.globl	_ZN7rocprim17ROCPRIM_400000_NS6detail17trampoline_kernelINS0_13kernel_configILj256ELj4ELj4294967295EEENS1_37radix_sort_block_sort_config_selectorIjN6thrust23THRUST_200600_302600_NS5tupleIffNS7_9null_typeES9_S9_S9_S9_S9_S9_S9_EEEEZNS1_21radix_sort_block_sortIS4_Lb0ENS7_6detail15normal_iteratorINS7_10device_ptrIjEEEESH_NSE_INSF_ISA_EEEESJ_NS0_19identity_decomposerEEE10hipError_tT1_T2_T3_T4_jRjT5_jjP12ihipStream_tbEUlT_E_NS1_11comp_targetILNS1_3genE10ELNS1_11target_archE1200ELNS1_3gpuE4ELNS1_3repE0EEENS1_44radix_sort_block_sort_config_static_selectorELNS0_4arch9wavefront6targetE0EEEvSM_
	.p2align	8
	.type	_ZN7rocprim17ROCPRIM_400000_NS6detail17trampoline_kernelINS0_13kernel_configILj256ELj4ELj4294967295EEENS1_37radix_sort_block_sort_config_selectorIjN6thrust23THRUST_200600_302600_NS5tupleIffNS7_9null_typeES9_S9_S9_S9_S9_S9_S9_EEEEZNS1_21radix_sort_block_sortIS4_Lb0ENS7_6detail15normal_iteratorINS7_10device_ptrIjEEEESH_NSE_INSF_ISA_EEEESJ_NS0_19identity_decomposerEEE10hipError_tT1_T2_T3_T4_jRjT5_jjP12ihipStream_tbEUlT_E_NS1_11comp_targetILNS1_3genE10ELNS1_11target_archE1200ELNS1_3gpuE4ELNS1_3repE0EEENS1_44radix_sort_block_sort_config_static_selectorELNS0_4arch9wavefront6targetE0EEEvSM_,@function
_ZN7rocprim17ROCPRIM_400000_NS6detail17trampoline_kernelINS0_13kernel_configILj256ELj4ELj4294967295EEENS1_37radix_sort_block_sort_config_selectorIjN6thrust23THRUST_200600_302600_NS5tupleIffNS7_9null_typeES9_S9_S9_S9_S9_S9_S9_EEEEZNS1_21radix_sort_block_sortIS4_Lb0ENS7_6detail15normal_iteratorINS7_10device_ptrIjEEEESH_NSE_INSF_ISA_EEEESJ_NS0_19identity_decomposerEEE10hipError_tT1_T2_T3_T4_jRjT5_jjP12ihipStream_tbEUlT_E_NS1_11comp_targetILNS1_3genE10ELNS1_11target_archE1200ELNS1_3gpuE4ELNS1_3repE0EEENS1_44radix_sort_block_sort_config_static_selectorELNS0_4arch9wavefront6targetE0EEEvSM_: ; @_ZN7rocprim17ROCPRIM_400000_NS6detail17trampoline_kernelINS0_13kernel_configILj256ELj4ELj4294967295EEENS1_37radix_sort_block_sort_config_selectorIjN6thrust23THRUST_200600_302600_NS5tupleIffNS7_9null_typeES9_S9_S9_S9_S9_S9_S9_EEEEZNS1_21radix_sort_block_sortIS4_Lb0ENS7_6detail15normal_iteratorINS7_10device_ptrIjEEEESH_NSE_INSF_ISA_EEEESJ_NS0_19identity_decomposerEEE10hipError_tT1_T2_T3_T4_jRjT5_jjP12ihipStream_tbEUlT_E_NS1_11comp_targetILNS1_3genE10ELNS1_11target_archE1200ELNS1_3gpuE4ELNS1_3repE0EEENS1_44radix_sort_block_sort_config_static_selectorELNS0_4arch9wavefront6targetE0EEEvSM_
; %bb.0:
	.section	.rodata,"a",@progbits
	.p2align	6, 0x0
	.amdhsa_kernel _ZN7rocprim17ROCPRIM_400000_NS6detail17trampoline_kernelINS0_13kernel_configILj256ELj4ELj4294967295EEENS1_37radix_sort_block_sort_config_selectorIjN6thrust23THRUST_200600_302600_NS5tupleIffNS7_9null_typeES9_S9_S9_S9_S9_S9_S9_EEEEZNS1_21radix_sort_block_sortIS4_Lb0ENS7_6detail15normal_iteratorINS7_10device_ptrIjEEEESH_NSE_INSF_ISA_EEEESJ_NS0_19identity_decomposerEEE10hipError_tT1_T2_T3_T4_jRjT5_jjP12ihipStream_tbEUlT_E_NS1_11comp_targetILNS1_3genE10ELNS1_11target_archE1200ELNS1_3gpuE4ELNS1_3repE0EEENS1_44radix_sort_block_sort_config_static_selectorELNS0_4arch9wavefront6targetE0EEEvSM_
		.amdhsa_group_segment_fixed_size 0
		.amdhsa_private_segment_fixed_size 0
		.amdhsa_kernarg_size 48
		.amdhsa_user_sgpr_count 6
		.amdhsa_user_sgpr_private_segment_buffer 1
		.amdhsa_user_sgpr_dispatch_ptr 0
		.amdhsa_user_sgpr_queue_ptr 0
		.amdhsa_user_sgpr_kernarg_segment_ptr 1
		.amdhsa_user_sgpr_dispatch_id 0
		.amdhsa_user_sgpr_flat_scratch_init 0
		.amdhsa_user_sgpr_private_segment_size 0
		.amdhsa_wavefront_size32 1
		.amdhsa_uses_dynamic_stack 0
		.amdhsa_system_sgpr_private_segment_wavefront_offset 0
		.amdhsa_system_sgpr_workgroup_id_x 1
		.amdhsa_system_sgpr_workgroup_id_y 0
		.amdhsa_system_sgpr_workgroup_id_z 0
		.amdhsa_system_sgpr_workgroup_info 0
		.amdhsa_system_vgpr_workitem_id 0
		.amdhsa_next_free_vgpr 1
		.amdhsa_next_free_sgpr 1
		.amdhsa_reserve_vcc 0
		.amdhsa_reserve_flat_scratch 0
		.amdhsa_float_round_mode_32 0
		.amdhsa_float_round_mode_16_64 0
		.amdhsa_float_denorm_mode_32 3
		.amdhsa_float_denorm_mode_16_64 3
		.amdhsa_dx10_clamp 1
		.amdhsa_ieee_mode 1
		.amdhsa_fp16_overflow 0
		.amdhsa_workgroup_processor_mode 1
		.amdhsa_memory_ordered 1
		.amdhsa_forward_progress 1
		.amdhsa_shared_vgpr_count 0
		.amdhsa_exception_fp_ieee_invalid_op 0
		.amdhsa_exception_fp_denorm_src 0
		.amdhsa_exception_fp_ieee_div_zero 0
		.amdhsa_exception_fp_ieee_overflow 0
		.amdhsa_exception_fp_ieee_underflow 0
		.amdhsa_exception_fp_ieee_inexact 0
		.amdhsa_exception_int_div_zero 0
	.end_amdhsa_kernel
	.section	.text._ZN7rocprim17ROCPRIM_400000_NS6detail17trampoline_kernelINS0_13kernel_configILj256ELj4ELj4294967295EEENS1_37radix_sort_block_sort_config_selectorIjN6thrust23THRUST_200600_302600_NS5tupleIffNS7_9null_typeES9_S9_S9_S9_S9_S9_S9_EEEEZNS1_21radix_sort_block_sortIS4_Lb0ENS7_6detail15normal_iteratorINS7_10device_ptrIjEEEESH_NSE_INSF_ISA_EEEESJ_NS0_19identity_decomposerEEE10hipError_tT1_T2_T3_T4_jRjT5_jjP12ihipStream_tbEUlT_E_NS1_11comp_targetILNS1_3genE10ELNS1_11target_archE1200ELNS1_3gpuE4ELNS1_3repE0EEENS1_44radix_sort_block_sort_config_static_selectorELNS0_4arch9wavefront6targetE0EEEvSM_,"axG",@progbits,_ZN7rocprim17ROCPRIM_400000_NS6detail17trampoline_kernelINS0_13kernel_configILj256ELj4ELj4294967295EEENS1_37radix_sort_block_sort_config_selectorIjN6thrust23THRUST_200600_302600_NS5tupleIffNS7_9null_typeES9_S9_S9_S9_S9_S9_S9_EEEEZNS1_21radix_sort_block_sortIS4_Lb0ENS7_6detail15normal_iteratorINS7_10device_ptrIjEEEESH_NSE_INSF_ISA_EEEESJ_NS0_19identity_decomposerEEE10hipError_tT1_T2_T3_T4_jRjT5_jjP12ihipStream_tbEUlT_E_NS1_11comp_targetILNS1_3genE10ELNS1_11target_archE1200ELNS1_3gpuE4ELNS1_3repE0EEENS1_44radix_sort_block_sort_config_static_selectorELNS0_4arch9wavefront6targetE0EEEvSM_,comdat
.Lfunc_end13:
	.size	_ZN7rocprim17ROCPRIM_400000_NS6detail17trampoline_kernelINS0_13kernel_configILj256ELj4ELj4294967295EEENS1_37radix_sort_block_sort_config_selectorIjN6thrust23THRUST_200600_302600_NS5tupleIffNS7_9null_typeES9_S9_S9_S9_S9_S9_S9_EEEEZNS1_21radix_sort_block_sortIS4_Lb0ENS7_6detail15normal_iteratorINS7_10device_ptrIjEEEESH_NSE_INSF_ISA_EEEESJ_NS0_19identity_decomposerEEE10hipError_tT1_T2_T3_T4_jRjT5_jjP12ihipStream_tbEUlT_E_NS1_11comp_targetILNS1_3genE10ELNS1_11target_archE1200ELNS1_3gpuE4ELNS1_3repE0EEENS1_44radix_sort_block_sort_config_static_selectorELNS0_4arch9wavefront6targetE0EEEvSM_, .Lfunc_end13-_ZN7rocprim17ROCPRIM_400000_NS6detail17trampoline_kernelINS0_13kernel_configILj256ELj4ELj4294967295EEENS1_37radix_sort_block_sort_config_selectorIjN6thrust23THRUST_200600_302600_NS5tupleIffNS7_9null_typeES9_S9_S9_S9_S9_S9_S9_EEEEZNS1_21radix_sort_block_sortIS4_Lb0ENS7_6detail15normal_iteratorINS7_10device_ptrIjEEEESH_NSE_INSF_ISA_EEEESJ_NS0_19identity_decomposerEEE10hipError_tT1_T2_T3_T4_jRjT5_jjP12ihipStream_tbEUlT_E_NS1_11comp_targetILNS1_3genE10ELNS1_11target_archE1200ELNS1_3gpuE4ELNS1_3repE0EEENS1_44radix_sort_block_sort_config_static_selectorELNS0_4arch9wavefront6targetE0EEEvSM_
                                        ; -- End function
	.set _ZN7rocprim17ROCPRIM_400000_NS6detail17trampoline_kernelINS0_13kernel_configILj256ELj4ELj4294967295EEENS1_37radix_sort_block_sort_config_selectorIjN6thrust23THRUST_200600_302600_NS5tupleIffNS7_9null_typeES9_S9_S9_S9_S9_S9_S9_EEEEZNS1_21radix_sort_block_sortIS4_Lb0ENS7_6detail15normal_iteratorINS7_10device_ptrIjEEEESH_NSE_INSF_ISA_EEEESJ_NS0_19identity_decomposerEEE10hipError_tT1_T2_T3_T4_jRjT5_jjP12ihipStream_tbEUlT_E_NS1_11comp_targetILNS1_3genE10ELNS1_11target_archE1200ELNS1_3gpuE4ELNS1_3repE0EEENS1_44radix_sort_block_sort_config_static_selectorELNS0_4arch9wavefront6targetE0EEEvSM_.num_vgpr, 0
	.set _ZN7rocprim17ROCPRIM_400000_NS6detail17trampoline_kernelINS0_13kernel_configILj256ELj4ELj4294967295EEENS1_37radix_sort_block_sort_config_selectorIjN6thrust23THRUST_200600_302600_NS5tupleIffNS7_9null_typeES9_S9_S9_S9_S9_S9_S9_EEEEZNS1_21radix_sort_block_sortIS4_Lb0ENS7_6detail15normal_iteratorINS7_10device_ptrIjEEEESH_NSE_INSF_ISA_EEEESJ_NS0_19identity_decomposerEEE10hipError_tT1_T2_T3_T4_jRjT5_jjP12ihipStream_tbEUlT_E_NS1_11comp_targetILNS1_3genE10ELNS1_11target_archE1200ELNS1_3gpuE4ELNS1_3repE0EEENS1_44radix_sort_block_sort_config_static_selectorELNS0_4arch9wavefront6targetE0EEEvSM_.num_agpr, 0
	.set _ZN7rocprim17ROCPRIM_400000_NS6detail17trampoline_kernelINS0_13kernel_configILj256ELj4ELj4294967295EEENS1_37radix_sort_block_sort_config_selectorIjN6thrust23THRUST_200600_302600_NS5tupleIffNS7_9null_typeES9_S9_S9_S9_S9_S9_S9_EEEEZNS1_21radix_sort_block_sortIS4_Lb0ENS7_6detail15normal_iteratorINS7_10device_ptrIjEEEESH_NSE_INSF_ISA_EEEESJ_NS0_19identity_decomposerEEE10hipError_tT1_T2_T3_T4_jRjT5_jjP12ihipStream_tbEUlT_E_NS1_11comp_targetILNS1_3genE10ELNS1_11target_archE1200ELNS1_3gpuE4ELNS1_3repE0EEENS1_44radix_sort_block_sort_config_static_selectorELNS0_4arch9wavefront6targetE0EEEvSM_.numbered_sgpr, 0
	.set _ZN7rocprim17ROCPRIM_400000_NS6detail17trampoline_kernelINS0_13kernel_configILj256ELj4ELj4294967295EEENS1_37radix_sort_block_sort_config_selectorIjN6thrust23THRUST_200600_302600_NS5tupleIffNS7_9null_typeES9_S9_S9_S9_S9_S9_S9_EEEEZNS1_21radix_sort_block_sortIS4_Lb0ENS7_6detail15normal_iteratorINS7_10device_ptrIjEEEESH_NSE_INSF_ISA_EEEESJ_NS0_19identity_decomposerEEE10hipError_tT1_T2_T3_T4_jRjT5_jjP12ihipStream_tbEUlT_E_NS1_11comp_targetILNS1_3genE10ELNS1_11target_archE1200ELNS1_3gpuE4ELNS1_3repE0EEENS1_44radix_sort_block_sort_config_static_selectorELNS0_4arch9wavefront6targetE0EEEvSM_.num_named_barrier, 0
	.set _ZN7rocprim17ROCPRIM_400000_NS6detail17trampoline_kernelINS0_13kernel_configILj256ELj4ELj4294967295EEENS1_37radix_sort_block_sort_config_selectorIjN6thrust23THRUST_200600_302600_NS5tupleIffNS7_9null_typeES9_S9_S9_S9_S9_S9_S9_EEEEZNS1_21radix_sort_block_sortIS4_Lb0ENS7_6detail15normal_iteratorINS7_10device_ptrIjEEEESH_NSE_INSF_ISA_EEEESJ_NS0_19identity_decomposerEEE10hipError_tT1_T2_T3_T4_jRjT5_jjP12ihipStream_tbEUlT_E_NS1_11comp_targetILNS1_3genE10ELNS1_11target_archE1200ELNS1_3gpuE4ELNS1_3repE0EEENS1_44radix_sort_block_sort_config_static_selectorELNS0_4arch9wavefront6targetE0EEEvSM_.private_seg_size, 0
	.set _ZN7rocprim17ROCPRIM_400000_NS6detail17trampoline_kernelINS0_13kernel_configILj256ELj4ELj4294967295EEENS1_37radix_sort_block_sort_config_selectorIjN6thrust23THRUST_200600_302600_NS5tupleIffNS7_9null_typeES9_S9_S9_S9_S9_S9_S9_EEEEZNS1_21radix_sort_block_sortIS4_Lb0ENS7_6detail15normal_iteratorINS7_10device_ptrIjEEEESH_NSE_INSF_ISA_EEEESJ_NS0_19identity_decomposerEEE10hipError_tT1_T2_T3_T4_jRjT5_jjP12ihipStream_tbEUlT_E_NS1_11comp_targetILNS1_3genE10ELNS1_11target_archE1200ELNS1_3gpuE4ELNS1_3repE0EEENS1_44radix_sort_block_sort_config_static_selectorELNS0_4arch9wavefront6targetE0EEEvSM_.uses_vcc, 0
	.set _ZN7rocprim17ROCPRIM_400000_NS6detail17trampoline_kernelINS0_13kernel_configILj256ELj4ELj4294967295EEENS1_37radix_sort_block_sort_config_selectorIjN6thrust23THRUST_200600_302600_NS5tupleIffNS7_9null_typeES9_S9_S9_S9_S9_S9_S9_EEEEZNS1_21radix_sort_block_sortIS4_Lb0ENS7_6detail15normal_iteratorINS7_10device_ptrIjEEEESH_NSE_INSF_ISA_EEEESJ_NS0_19identity_decomposerEEE10hipError_tT1_T2_T3_T4_jRjT5_jjP12ihipStream_tbEUlT_E_NS1_11comp_targetILNS1_3genE10ELNS1_11target_archE1200ELNS1_3gpuE4ELNS1_3repE0EEENS1_44radix_sort_block_sort_config_static_selectorELNS0_4arch9wavefront6targetE0EEEvSM_.uses_flat_scratch, 0
	.set _ZN7rocprim17ROCPRIM_400000_NS6detail17trampoline_kernelINS0_13kernel_configILj256ELj4ELj4294967295EEENS1_37radix_sort_block_sort_config_selectorIjN6thrust23THRUST_200600_302600_NS5tupleIffNS7_9null_typeES9_S9_S9_S9_S9_S9_S9_EEEEZNS1_21radix_sort_block_sortIS4_Lb0ENS7_6detail15normal_iteratorINS7_10device_ptrIjEEEESH_NSE_INSF_ISA_EEEESJ_NS0_19identity_decomposerEEE10hipError_tT1_T2_T3_T4_jRjT5_jjP12ihipStream_tbEUlT_E_NS1_11comp_targetILNS1_3genE10ELNS1_11target_archE1200ELNS1_3gpuE4ELNS1_3repE0EEENS1_44radix_sort_block_sort_config_static_selectorELNS0_4arch9wavefront6targetE0EEEvSM_.has_dyn_sized_stack, 0
	.set _ZN7rocprim17ROCPRIM_400000_NS6detail17trampoline_kernelINS0_13kernel_configILj256ELj4ELj4294967295EEENS1_37radix_sort_block_sort_config_selectorIjN6thrust23THRUST_200600_302600_NS5tupleIffNS7_9null_typeES9_S9_S9_S9_S9_S9_S9_EEEEZNS1_21radix_sort_block_sortIS4_Lb0ENS7_6detail15normal_iteratorINS7_10device_ptrIjEEEESH_NSE_INSF_ISA_EEEESJ_NS0_19identity_decomposerEEE10hipError_tT1_T2_T3_T4_jRjT5_jjP12ihipStream_tbEUlT_E_NS1_11comp_targetILNS1_3genE10ELNS1_11target_archE1200ELNS1_3gpuE4ELNS1_3repE0EEENS1_44radix_sort_block_sort_config_static_selectorELNS0_4arch9wavefront6targetE0EEEvSM_.has_recursion, 0
	.set _ZN7rocprim17ROCPRIM_400000_NS6detail17trampoline_kernelINS0_13kernel_configILj256ELj4ELj4294967295EEENS1_37radix_sort_block_sort_config_selectorIjN6thrust23THRUST_200600_302600_NS5tupleIffNS7_9null_typeES9_S9_S9_S9_S9_S9_S9_EEEEZNS1_21radix_sort_block_sortIS4_Lb0ENS7_6detail15normal_iteratorINS7_10device_ptrIjEEEESH_NSE_INSF_ISA_EEEESJ_NS0_19identity_decomposerEEE10hipError_tT1_T2_T3_T4_jRjT5_jjP12ihipStream_tbEUlT_E_NS1_11comp_targetILNS1_3genE10ELNS1_11target_archE1200ELNS1_3gpuE4ELNS1_3repE0EEENS1_44radix_sort_block_sort_config_static_selectorELNS0_4arch9wavefront6targetE0EEEvSM_.has_indirect_call, 0
	.section	.AMDGPU.csdata,"",@progbits
; Kernel info:
; codeLenInByte = 0
; TotalNumSgprs: 0
; NumVgprs: 0
; ScratchSize: 0
; MemoryBound: 0
; FloatMode: 240
; IeeeMode: 1
; LDSByteSize: 0 bytes/workgroup (compile time only)
; SGPRBlocks: 0
; VGPRBlocks: 0
; NumSGPRsForWavesPerEU: 1
; NumVGPRsForWavesPerEU: 1
; Occupancy: 16
; WaveLimiterHint : 0
; COMPUTE_PGM_RSRC2:SCRATCH_EN: 0
; COMPUTE_PGM_RSRC2:USER_SGPR: 6
; COMPUTE_PGM_RSRC2:TRAP_HANDLER: 0
; COMPUTE_PGM_RSRC2:TGID_X_EN: 1
; COMPUTE_PGM_RSRC2:TGID_Y_EN: 0
; COMPUTE_PGM_RSRC2:TGID_Z_EN: 0
; COMPUTE_PGM_RSRC2:TIDIG_COMP_CNT: 0
	.section	.text._ZN7rocprim17ROCPRIM_400000_NS6detail17trampoline_kernelINS0_13kernel_configILj256ELj4ELj4294967295EEENS1_37radix_sort_block_sort_config_selectorIjN6thrust23THRUST_200600_302600_NS5tupleIffNS7_9null_typeES9_S9_S9_S9_S9_S9_S9_EEEEZNS1_21radix_sort_block_sortIS4_Lb0ENS7_6detail15normal_iteratorINS7_10device_ptrIjEEEESH_NSE_INSF_ISA_EEEESJ_NS0_19identity_decomposerEEE10hipError_tT1_T2_T3_T4_jRjT5_jjP12ihipStream_tbEUlT_E_NS1_11comp_targetILNS1_3genE9ELNS1_11target_archE1100ELNS1_3gpuE3ELNS1_3repE0EEENS1_44radix_sort_block_sort_config_static_selectorELNS0_4arch9wavefront6targetE0EEEvSM_,"axG",@progbits,_ZN7rocprim17ROCPRIM_400000_NS6detail17trampoline_kernelINS0_13kernel_configILj256ELj4ELj4294967295EEENS1_37radix_sort_block_sort_config_selectorIjN6thrust23THRUST_200600_302600_NS5tupleIffNS7_9null_typeES9_S9_S9_S9_S9_S9_S9_EEEEZNS1_21radix_sort_block_sortIS4_Lb0ENS7_6detail15normal_iteratorINS7_10device_ptrIjEEEESH_NSE_INSF_ISA_EEEESJ_NS0_19identity_decomposerEEE10hipError_tT1_T2_T3_T4_jRjT5_jjP12ihipStream_tbEUlT_E_NS1_11comp_targetILNS1_3genE9ELNS1_11target_archE1100ELNS1_3gpuE3ELNS1_3repE0EEENS1_44radix_sort_block_sort_config_static_selectorELNS0_4arch9wavefront6targetE0EEEvSM_,comdat
	.protected	_ZN7rocprim17ROCPRIM_400000_NS6detail17trampoline_kernelINS0_13kernel_configILj256ELj4ELj4294967295EEENS1_37radix_sort_block_sort_config_selectorIjN6thrust23THRUST_200600_302600_NS5tupleIffNS7_9null_typeES9_S9_S9_S9_S9_S9_S9_EEEEZNS1_21radix_sort_block_sortIS4_Lb0ENS7_6detail15normal_iteratorINS7_10device_ptrIjEEEESH_NSE_INSF_ISA_EEEESJ_NS0_19identity_decomposerEEE10hipError_tT1_T2_T3_T4_jRjT5_jjP12ihipStream_tbEUlT_E_NS1_11comp_targetILNS1_3genE9ELNS1_11target_archE1100ELNS1_3gpuE3ELNS1_3repE0EEENS1_44radix_sort_block_sort_config_static_selectorELNS0_4arch9wavefront6targetE0EEEvSM_ ; -- Begin function _ZN7rocprim17ROCPRIM_400000_NS6detail17trampoline_kernelINS0_13kernel_configILj256ELj4ELj4294967295EEENS1_37radix_sort_block_sort_config_selectorIjN6thrust23THRUST_200600_302600_NS5tupleIffNS7_9null_typeES9_S9_S9_S9_S9_S9_S9_EEEEZNS1_21radix_sort_block_sortIS4_Lb0ENS7_6detail15normal_iteratorINS7_10device_ptrIjEEEESH_NSE_INSF_ISA_EEEESJ_NS0_19identity_decomposerEEE10hipError_tT1_T2_T3_T4_jRjT5_jjP12ihipStream_tbEUlT_E_NS1_11comp_targetILNS1_3genE9ELNS1_11target_archE1100ELNS1_3gpuE3ELNS1_3repE0EEENS1_44radix_sort_block_sort_config_static_selectorELNS0_4arch9wavefront6targetE0EEEvSM_
	.globl	_ZN7rocprim17ROCPRIM_400000_NS6detail17trampoline_kernelINS0_13kernel_configILj256ELj4ELj4294967295EEENS1_37radix_sort_block_sort_config_selectorIjN6thrust23THRUST_200600_302600_NS5tupleIffNS7_9null_typeES9_S9_S9_S9_S9_S9_S9_EEEEZNS1_21radix_sort_block_sortIS4_Lb0ENS7_6detail15normal_iteratorINS7_10device_ptrIjEEEESH_NSE_INSF_ISA_EEEESJ_NS0_19identity_decomposerEEE10hipError_tT1_T2_T3_T4_jRjT5_jjP12ihipStream_tbEUlT_E_NS1_11comp_targetILNS1_3genE9ELNS1_11target_archE1100ELNS1_3gpuE3ELNS1_3repE0EEENS1_44radix_sort_block_sort_config_static_selectorELNS0_4arch9wavefront6targetE0EEEvSM_
	.p2align	8
	.type	_ZN7rocprim17ROCPRIM_400000_NS6detail17trampoline_kernelINS0_13kernel_configILj256ELj4ELj4294967295EEENS1_37radix_sort_block_sort_config_selectorIjN6thrust23THRUST_200600_302600_NS5tupleIffNS7_9null_typeES9_S9_S9_S9_S9_S9_S9_EEEEZNS1_21radix_sort_block_sortIS4_Lb0ENS7_6detail15normal_iteratorINS7_10device_ptrIjEEEESH_NSE_INSF_ISA_EEEESJ_NS0_19identity_decomposerEEE10hipError_tT1_T2_T3_T4_jRjT5_jjP12ihipStream_tbEUlT_E_NS1_11comp_targetILNS1_3genE9ELNS1_11target_archE1100ELNS1_3gpuE3ELNS1_3repE0EEENS1_44radix_sort_block_sort_config_static_selectorELNS0_4arch9wavefront6targetE0EEEvSM_,@function
_ZN7rocprim17ROCPRIM_400000_NS6detail17trampoline_kernelINS0_13kernel_configILj256ELj4ELj4294967295EEENS1_37radix_sort_block_sort_config_selectorIjN6thrust23THRUST_200600_302600_NS5tupleIffNS7_9null_typeES9_S9_S9_S9_S9_S9_S9_EEEEZNS1_21radix_sort_block_sortIS4_Lb0ENS7_6detail15normal_iteratorINS7_10device_ptrIjEEEESH_NSE_INSF_ISA_EEEESJ_NS0_19identity_decomposerEEE10hipError_tT1_T2_T3_T4_jRjT5_jjP12ihipStream_tbEUlT_E_NS1_11comp_targetILNS1_3genE9ELNS1_11target_archE1100ELNS1_3gpuE3ELNS1_3repE0EEENS1_44radix_sort_block_sort_config_static_selectorELNS0_4arch9wavefront6targetE0EEEvSM_: ; @_ZN7rocprim17ROCPRIM_400000_NS6detail17trampoline_kernelINS0_13kernel_configILj256ELj4ELj4294967295EEENS1_37radix_sort_block_sort_config_selectorIjN6thrust23THRUST_200600_302600_NS5tupleIffNS7_9null_typeES9_S9_S9_S9_S9_S9_S9_EEEEZNS1_21radix_sort_block_sortIS4_Lb0ENS7_6detail15normal_iteratorINS7_10device_ptrIjEEEESH_NSE_INSF_ISA_EEEESJ_NS0_19identity_decomposerEEE10hipError_tT1_T2_T3_T4_jRjT5_jjP12ihipStream_tbEUlT_E_NS1_11comp_targetILNS1_3genE9ELNS1_11target_archE1100ELNS1_3gpuE3ELNS1_3repE0EEENS1_44radix_sort_block_sort_config_static_selectorELNS0_4arch9wavefront6targetE0EEEvSM_
; %bb.0:
	.section	.rodata,"a",@progbits
	.p2align	6, 0x0
	.amdhsa_kernel _ZN7rocprim17ROCPRIM_400000_NS6detail17trampoline_kernelINS0_13kernel_configILj256ELj4ELj4294967295EEENS1_37radix_sort_block_sort_config_selectorIjN6thrust23THRUST_200600_302600_NS5tupleIffNS7_9null_typeES9_S9_S9_S9_S9_S9_S9_EEEEZNS1_21radix_sort_block_sortIS4_Lb0ENS7_6detail15normal_iteratorINS7_10device_ptrIjEEEESH_NSE_INSF_ISA_EEEESJ_NS0_19identity_decomposerEEE10hipError_tT1_T2_T3_T4_jRjT5_jjP12ihipStream_tbEUlT_E_NS1_11comp_targetILNS1_3genE9ELNS1_11target_archE1100ELNS1_3gpuE3ELNS1_3repE0EEENS1_44radix_sort_block_sort_config_static_selectorELNS0_4arch9wavefront6targetE0EEEvSM_
		.amdhsa_group_segment_fixed_size 0
		.amdhsa_private_segment_fixed_size 0
		.amdhsa_kernarg_size 48
		.amdhsa_user_sgpr_count 6
		.amdhsa_user_sgpr_private_segment_buffer 1
		.amdhsa_user_sgpr_dispatch_ptr 0
		.amdhsa_user_sgpr_queue_ptr 0
		.amdhsa_user_sgpr_kernarg_segment_ptr 1
		.amdhsa_user_sgpr_dispatch_id 0
		.amdhsa_user_sgpr_flat_scratch_init 0
		.amdhsa_user_sgpr_private_segment_size 0
		.amdhsa_wavefront_size32 1
		.amdhsa_uses_dynamic_stack 0
		.amdhsa_system_sgpr_private_segment_wavefront_offset 0
		.amdhsa_system_sgpr_workgroup_id_x 1
		.amdhsa_system_sgpr_workgroup_id_y 0
		.amdhsa_system_sgpr_workgroup_id_z 0
		.amdhsa_system_sgpr_workgroup_info 0
		.amdhsa_system_vgpr_workitem_id 0
		.amdhsa_next_free_vgpr 1
		.amdhsa_next_free_sgpr 1
		.amdhsa_reserve_vcc 0
		.amdhsa_reserve_flat_scratch 0
		.amdhsa_float_round_mode_32 0
		.amdhsa_float_round_mode_16_64 0
		.amdhsa_float_denorm_mode_32 3
		.amdhsa_float_denorm_mode_16_64 3
		.amdhsa_dx10_clamp 1
		.amdhsa_ieee_mode 1
		.amdhsa_fp16_overflow 0
		.amdhsa_workgroup_processor_mode 1
		.amdhsa_memory_ordered 1
		.amdhsa_forward_progress 1
		.amdhsa_shared_vgpr_count 0
		.amdhsa_exception_fp_ieee_invalid_op 0
		.amdhsa_exception_fp_denorm_src 0
		.amdhsa_exception_fp_ieee_div_zero 0
		.amdhsa_exception_fp_ieee_overflow 0
		.amdhsa_exception_fp_ieee_underflow 0
		.amdhsa_exception_fp_ieee_inexact 0
		.amdhsa_exception_int_div_zero 0
	.end_amdhsa_kernel
	.section	.text._ZN7rocprim17ROCPRIM_400000_NS6detail17trampoline_kernelINS0_13kernel_configILj256ELj4ELj4294967295EEENS1_37radix_sort_block_sort_config_selectorIjN6thrust23THRUST_200600_302600_NS5tupleIffNS7_9null_typeES9_S9_S9_S9_S9_S9_S9_EEEEZNS1_21radix_sort_block_sortIS4_Lb0ENS7_6detail15normal_iteratorINS7_10device_ptrIjEEEESH_NSE_INSF_ISA_EEEESJ_NS0_19identity_decomposerEEE10hipError_tT1_T2_T3_T4_jRjT5_jjP12ihipStream_tbEUlT_E_NS1_11comp_targetILNS1_3genE9ELNS1_11target_archE1100ELNS1_3gpuE3ELNS1_3repE0EEENS1_44radix_sort_block_sort_config_static_selectorELNS0_4arch9wavefront6targetE0EEEvSM_,"axG",@progbits,_ZN7rocprim17ROCPRIM_400000_NS6detail17trampoline_kernelINS0_13kernel_configILj256ELj4ELj4294967295EEENS1_37radix_sort_block_sort_config_selectorIjN6thrust23THRUST_200600_302600_NS5tupleIffNS7_9null_typeES9_S9_S9_S9_S9_S9_S9_EEEEZNS1_21radix_sort_block_sortIS4_Lb0ENS7_6detail15normal_iteratorINS7_10device_ptrIjEEEESH_NSE_INSF_ISA_EEEESJ_NS0_19identity_decomposerEEE10hipError_tT1_T2_T3_T4_jRjT5_jjP12ihipStream_tbEUlT_E_NS1_11comp_targetILNS1_3genE9ELNS1_11target_archE1100ELNS1_3gpuE3ELNS1_3repE0EEENS1_44radix_sort_block_sort_config_static_selectorELNS0_4arch9wavefront6targetE0EEEvSM_,comdat
.Lfunc_end14:
	.size	_ZN7rocprim17ROCPRIM_400000_NS6detail17trampoline_kernelINS0_13kernel_configILj256ELj4ELj4294967295EEENS1_37radix_sort_block_sort_config_selectorIjN6thrust23THRUST_200600_302600_NS5tupleIffNS7_9null_typeES9_S9_S9_S9_S9_S9_S9_EEEEZNS1_21radix_sort_block_sortIS4_Lb0ENS7_6detail15normal_iteratorINS7_10device_ptrIjEEEESH_NSE_INSF_ISA_EEEESJ_NS0_19identity_decomposerEEE10hipError_tT1_T2_T3_T4_jRjT5_jjP12ihipStream_tbEUlT_E_NS1_11comp_targetILNS1_3genE9ELNS1_11target_archE1100ELNS1_3gpuE3ELNS1_3repE0EEENS1_44radix_sort_block_sort_config_static_selectorELNS0_4arch9wavefront6targetE0EEEvSM_, .Lfunc_end14-_ZN7rocprim17ROCPRIM_400000_NS6detail17trampoline_kernelINS0_13kernel_configILj256ELj4ELj4294967295EEENS1_37radix_sort_block_sort_config_selectorIjN6thrust23THRUST_200600_302600_NS5tupleIffNS7_9null_typeES9_S9_S9_S9_S9_S9_S9_EEEEZNS1_21radix_sort_block_sortIS4_Lb0ENS7_6detail15normal_iteratorINS7_10device_ptrIjEEEESH_NSE_INSF_ISA_EEEESJ_NS0_19identity_decomposerEEE10hipError_tT1_T2_T3_T4_jRjT5_jjP12ihipStream_tbEUlT_E_NS1_11comp_targetILNS1_3genE9ELNS1_11target_archE1100ELNS1_3gpuE3ELNS1_3repE0EEENS1_44radix_sort_block_sort_config_static_selectorELNS0_4arch9wavefront6targetE0EEEvSM_
                                        ; -- End function
	.set _ZN7rocprim17ROCPRIM_400000_NS6detail17trampoline_kernelINS0_13kernel_configILj256ELj4ELj4294967295EEENS1_37radix_sort_block_sort_config_selectorIjN6thrust23THRUST_200600_302600_NS5tupleIffNS7_9null_typeES9_S9_S9_S9_S9_S9_S9_EEEEZNS1_21radix_sort_block_sortIS4_Lb0ENS7_6detail15normal_iteratorINS7_10device_ptrIjEEEESH_NSE_INSF_ISA_EEEESJ_NS0_19identity_decomposerEEE10hipError_tT1_T2_T3_T4_jRjT5_jjP12ihipStream_tbEUlT_E_NS1_11comp_targetILNS1_3genE9ELNS1_11target_archE1100ELNS1_3gpuE3ELNS1_3repE0EEENS1_44radix_sort_block_sort_config_static_selectorELNS0_4arch9wavefront6targetE0EEEvSM_.num_vgpr, 0
	.set _ZN7rocprim17ROCPRIM_400000_NS6detail17trampoline_kernelINS0_13kernel_configILj256ELj4ELj4294967295EEENS1_37radix_sort_block_sort_config_selectorIjN6thrust23THRUST_200600_302600_NS5tupleIffNS7_9null_typeES9_S9_S9_S9_S9_S9_S9_EEEEZNS1_21radix_sort_block_sortIS4_Lb0ENS7_6detail15normal_iteratorINS7_10device_ptrIjEEEESH_NSE_INSF_ISA_EEEESJ_NS0_19identity_decomposerEEE10hipError_tT1_T2_T3_T4_jRjT5_jjP12ihipStream_tbEUlT_E_NS1_11comp_targetILNS1_3genE9ELNS1_11target_archE1100ELNS1_3gpuE3ELNS1_3repE0EEENS1_44radix_sort_block_sort_config_static_selectorELNS0_4arch9wavefront6targetE0EEEvSM_.num_agpr, 0
	.set _ZN7rocprim17ROCPRIM_400000_NS6detail17trampoline_kernelINS0_13kernel_configILj256ELj4ELj4294967295EEENS1_37radix_sort_block_sort_config_selectorIjN6thrust23THRUST_200600_302600_NS5tupleIffNS7_9null_typeES9_S9_S9_S9_S9_S9_S9_EEEEZNS1_21radix_sort_block_sortIS4_Lb0ENS7_6detail15normal_iteratorINS7_10device_ptrIjEEEESH_NSE_INSF_ISA_EEEESJ_NS0_19identity_decomposerEEE10hipError_tT1_T2_T3_T4_jRjT5_jjP12ihipStream_tbEUlT_E_NS1_11comp_targetILNS1_3genE9ELNS1_11target_archE1100ELNS1_3gpuE3ELNS1_3repE0EEENS1_44radix_sort_block_sort_config_static_selectorELNS0_4arch9wavefront6targetE0EEEvSM_.numbered_sgpr, 0
	.set _ZN7rocprim17ROCPRIM_400000_NS6detail17trampoline_kernelINS0_13kernel_configILj256ELj4ELj4294967295EEENS1_37radix_sort_block_sort_config_selectorIjN6thrust23THRUST_200600_302600_NS5tupleIffNS7_9null_typeES9_S9_S9_S9_S9_S9_S9_EEEEZNS1_21radix_sort_block_sortIS4_Lb0ENS7_6detail15normal_iteratorINS7_10device_ptrIjEEEESH_NSE_INSF_ISA_EEEESJ_NS0_19identity_decomposerEEE10hipError_tT1_T2_T3_T4_jRjT5_jjP12ihipStream_tbEUlT_E_NS1_11comp_targetILNS1_3genE9ELNS1_11target_archE1100ELNS1_3gpuE3ELNS1_3repE0EEENS1_44radix_sort_block_sort_config_static_selectorELNS0_4arch9wavefront6targetE0EEEvSM_.num_named_barrier, 0
	.set _ZN7rocprim17ROCPRIM_400000_NS6detail17trampoline_kernelINS0_13kernel_configILj256ELj4ELj4294967295EEENS1_37radix_sort_block_sort_config_selectorIjN6thrust23THRUST_200600_302600_NS5tupleIffNS7_9null_typeES9_S9_S9_S9_S9_S9_S9_EEEEZNS1_21radix_sort_block_sortIS4_Lb0ENS7_6detail15normal_iteratorINS7_10device_ptrIjEEEESH_NSE_INSF_ISA_EEEESJ_NS0_19identity_decomposerEEE10hipError_tT1_T2_T3_T4_jRjT5_jjP12ihipStream_tbEUlT_E_NS1_11comp_targetILNS1_3genE9ELNS1_11target_archE1100ELNS1_3gpuE3ELNS1_3repE0EEENS1_44radix_sort_block_sort_config_static_selectorELNS0_4arch9wavefront6targetE0EEEvSM_.private_seg_size, 0
	.set _ZN7rocprim17ROCPRIM_400000_NS6detail17trampoline_kernelINS0_13kernel_configILj256ELj4ELj4294967295EEENS1_37radix_sort_block_sort_config_selectorIjN6thrust23THRUST_200600_302600_NS5tupleIffNS7_9null_typeES9_S9_S9_S9_S9_S9_S9_EEEEZNS1_21radix_sort_block_sortIS4_Lb0ENS7_6detail15normal_iteratorINS7_10device_ptrIjEEEESH_NSE_INSF_ISA_EEEESJ_NS0_19identity_decomposerEEE10hipError_tT1_T2_T3_T4_jRjT5_jjP12ihipStream_tbEUlT_E_NS1_11comp_targetILNS1_3genE9ELNS1_11target_archE1100ELNS1_3gpuE3ELNS1_3repE0EEENS1_44radix_sort_block_sort_config_static_selectorELNS0_4arch9wavefront6targetE0EEEvSM_.uses_vcc, 0
	.set _ZN7rocprim17ROCPRIM_400000_NS6detail17trampoline_kernelINS0_13kernel_configILj256ELj4ELj4294967295EEENS1_37radix_sort_block_sort_config_selectorIjN6thrust23THRUST_200600_302600_NS5tupleIffNS7_9null_typeES9_S9_S9_S9_S9_S9_S9_EEEEZNS1_21radix_sort_block_sortIS4_Lb0ENS7_6detail15normal_iteratorINS7_10device_ptrIjEEEESH_NSE_INSF_ISA_EEEESJ_NS0_19identity_decomposerEEE10hipError_tT1_T2_T3_T4_jRjT5_jjP12ihipStream_tbEUlT_E_NS1_11comp_targetILNS1_3genE9ELNS1_11target_archE1100ELNS1_3gpuE3ELNS1_3repE0EEENS1_44radix_sort_block_sort_config_static_selectorELNS0_4arch9wavefront6targetE0EEEvSM_.uses_flat_scratch, 0
	.set _ZN7rocprim17ROCPRIM_400000_NS6detail17trampoline_kernelINS0_13kernel_configILj256ELj4ELj4294967295EEENS1_37radix_sort_block_sort_config_selectorIjN6thrust23THRUST_200600_302600_NS5tupleIffNS7_9null_typeES9_S9_S9_S9_S9_S9_S9_EEEEZNS1_21radix_sort_block_sortIS4_Lb0ENS7_6detail15normal_iteratorINS7_10device_ptrIjEEEESH_NSE_INSF_ISA_EEEESJ_NS0_19identity_decomposerEEE10hipError_tT1_T2_T3_T4_jRjT5_jjP12ihipStream_tbEUlT_E_NS1_11comp_targetILNS1_3genE9ELNS1_11target_archE1100ELNS1_3gpuE3ELNS1_3repE0EEENS1_44radix_sort_block_sort_config_static_selectorELNS0_4arch9wavefront6targetE0EEEvSM_.has_dyn_sized_stack, 0
	.set _ZN7rocprim17ROCPRIM_400000_NS6detail17trampoline_kernelINS0_13kernel_configILj256ELj4ELj4294967295EEENS1_37radix_sort_block_sort_config_selectorIjN6thrust23THRUST_200600_302600_NS5tupleIffNS7_9null_typeES9_S9_S9_S9_S9_S9_S9_EEEEZNS1_21radix_sort_block_sortIS4_Lb0ENS7_6detail15normal_iteratorINS7_10device_ptrIjEEEESH_NSE_INSF_ISA_EEEESJ_NS0_19identity_decomposerEEE10hipError_tT1_T2_T3_T4_jRjT5_jjP12ihipStream_tbEUlT_E_NS1_11comp_targetILNS1_3genE9ELNS1_11target_archE1100ELNS1_3gpuE3ELNS1_3repE0EEENS1_44radix_sort_block_sort_config_static_selectorELNS0_4arch9wavefront6targetE0EEEvSM_.has_recursion, 0
	.set _ZN7rocprim17ROCPRIM_400000_NS6detail17trampoline_kernelINS0_13kernel_configILj256ELj4ELj4294967295EEENS1_37radix_sort_block_sort_config_selectorIjN6thrust23THRUST_200600_302600_NS5tupleIffNS7_9null_typeES9_S9_S9_S9_S9_S9_S9_EEEEZNS1_21radix_sort_block_sortIS4_Lb0ENS7_6detail15normal_iteratorINS7_10device_ptrIjEEEESH_NSE_INSF_ISA_EEEESJ_NS0_19identity_decomposerEEE10hipError_tT1_T2_T3_T4_jRjT5_jjP12ihipStream_tbEUlT_E_NS1_11comp_targetILNS1_3genE9ELNS1_11target_archE1100ELNS1_3gpuE3ELNS1_3repE0EEENS1_44radix_sort_block_sort_config_static_selectorELNS0_4arch9wavefront6targetE0EEEvSM_.has_indirect_call, 0
	.section	.AMDGPU.csdata,"",@progbits
; Kernel info:
; codeLenInByte = 0
; TotalNumSgprs: 0
; NumVgprs: 0
; ScratchSize: 0
; MemoryBound: 0
; FloatMode: 240
; IeeeMode: 1
; LDSByteSize: 0 bytes/workgroup (compile time only)
; SGPRBlocks: 0
; VGPRBlocks: 0
; NumSGPRsForWavesPerEU: 1
; NumVGPRsForWavesPerEU: 1
; Occupancy: 16
; WaveLimiterHint : 0
; COMPUTE_PGM_RSRC2:SCRATCH_EN: 0
; COMPUTE_PGM_RSRC2:USER_SGPR: 6
; COMPUTE_PGM_RSRC2:TRAP_HANDLER: 0
; COMPUTE_PGM_RSRC2:TGID_X_EN: 1
; COMPUTE_PGM_RSRC2:TGID_Y_EN: 0
; COMPUTE_PGM_RSRC2:TGID_Z_EN: 0
; COMPUTE_PGM_RSRC2:TIDIG_COMP_CNT: 0
	.section	.text._ZN7rocprim17ROCPRIM_400000_NS6detail17trampoline_kernelINS0_13kernel_configILj256ELj4ELj4294967295EEENS1_37radix_sort_block_sort_config_selectorIjN6thrust23THRUST_200600_302600_NS5tupleIffNS7_9null_typeES9_S9_S9_S9_S9_S9_S9_EEEEZNS1_21radix_sort_block_sortIS4_Lb0ENS7_6detail15normal_iteratorINS7_10device_ptrIjEEEESH_NSE_INSF_ISA_EEEESJ_NS0_19identity_decomposerEEE10hipError_tT1_T2_T3_T4_jRjT5_jjP12ihipStream_tbEUlT_E_NS1_11comp_targetILNS1_3genE8ELNS1_11target_archE1030ELNS1_3gpuE2ELNS1_3repE0EEENS1_44radix_sort_block_sort_config_static_selectorELNS0_4arch9wavefront6targetE0EEEvSM_,"axG",@progbits,_ZN7rocprim17ROCPRIM_400000_NS6detail17trampoline_kernelINS0_13kernel_configILj256ELj4ELj4294967295EEENS1_37radix_sort_block_sort_config_selectorIjN6thrust23THRUST_200600_302600_NS5tupleIffNS7_9null_typeES9_S9_S9_S9_S9_S9_S9_EEEEZNS1_21radix_sort_block_sortIS4_Lb0ENS7_6detail15normal_iteratorINS7_10device_ptrIjEEEESH_NSE_INSF_ISA_EEEESJ_NS0_19identity_decomposerEEE10hipError_tT1_T2_T3_T4_jRjT5_jjP12ihipStream_tbEUlT_E_NS1_11comp_targetILNS1_3genE8ELNS1_11target_archE1030ELNS1_3gpuE2ELNS1_3repE0EEENS1_44radix_sort_block_sort_config_static_selectorELNS0_4arch9wavefront6targetE0EEEvSM_,comdat
	.protected	_ZN7rocprim17ROCPRIM_400000_NS6detail17trampoline_kernelINS0_13kernel_configILj256ELj4ELj4294967295EEENS1_37radix_sort_block_sort_config_selectorIjN6thrust23THRUST_200600_302600_NS5tupleIffNS7_9null_typeES9_S9_S9_S9_S9_S9_S9_EEEEZNS1_21radix_sort_block_sortIS4_Lb0ENS7_6detail15normal_iteratorINS7_10device_ptrIjEEEESH_NSE_INSF_ISA_EEEESJ_NS0_19identity_decomposerEEE10hipError_tT1_T2_T3_T4_jRjT5_jjP12ihipStream_tbEUlT_E_NS1_11comp_targetILNS1_3genE8ELNS1_11target_archE1030ELNS1_3gpuE2ELNS1_3repE0EEENS1_44radix_sort_block_sort_config_static_selectorELNS0_4arch9wavefront6targetE0EEEvSM_ ; -- Begin function _ZN7rocprim17ROCPRIM_400000_NS6detail17trampoline_kernelINS0_13kernel_configILj256ELj4ELj4294967295EEENS1_37radix_sort_block_sort_config_selectorIjN6thrust23THRUST_200600_302600_NS5tupleIffNS7_9null_typeES9_S9_S9_S9_S9_S9_S9_EEEEZNS1_21radix_sort_block_sortIS4_Lb0ENS7_6detail15normal_iteratorINS7_10device_ptrIjEEEESH_NSE_INSF_ISA_EEEESJ_NS0_19identity_decomposerEEE10hipError_tT1_T2_T3_T4_jRjT5_jjP12ihipStream_tbEUlT_E_NS1_11comp_targetILNS1_3genE8ELNS1_11target_archE1030ELNS1_3gpuE2ELNS1_3repE0EEENS1_44radix_sort_block_sort_config_static_selectorELNS0_4arch9wavefront6targetE0EEEvSM_
	.globl	_ZN7rocprim17ROCPRIM_400000_NS6detail17trampoline_kernelINS0_13kernel_configILj256ELj4ELj4294967295EEENS1_37radix_sort_block_sort_config_selectorIjN6thrust23THRUST_200600_302600_NS5tupleIffNS7_9null_typeES9_S9_S9_S9_S9_S9_S9_EEEEZNS1_21radix_sort_block_sortIS4_Lb0ENS7_6detail15normal_iteratorINS7_10device_ptrIjEEEESH_NSE_INSF_ISA_EEEESJ_NS0_19identity_decomposerEEE10hipError_tT1_T2_T3_T4_jRjT5_jjP12ihipStream_tbEUlT_E_NS1_11comp_targetILNS1_3genE8ELNS1_11target_archE1030ELNS1_3gpuE2ELNS1_3repE0EEENS1_44radix_sort_block_sort_config_static_selectorELNS0_4arch9wavefront6targetE0EEEvSM_
	.p2align	8
	.type	_ZN7rocprim17ROCPRIM_400000_NS6detail17trampoline_kernelINS0_13kernel_configILj256ELj4ELj4294967295EEENS1_37radix_sort_block_sort_config_selectorIjN6thrust23THRUST_200600_302600_NS5tupleIffNS7_9null_typeES9_S9_S9_S9_S9_S9_S9_EEEEZNS1_21radix_sort_block_sortIS4_Lb0ENS7_6detail15normal_iteratorINS7_10device_ptrIjEEEESH_NSE_INSF_ISA_EEEESJ_NS0_19identity_decomposerEEE10hipError_tT1_T2_T3_T4_jRjT5_jjP12ihipStream_tbEUlT_E_NS1_11comp_targetILNS1_3genE8ELNS1_11target_archE1030ELNS1_3gpuE2ELNS1_3repE0EEENS1_44radix_sort_block_sort_config_static_selectorELNS0_4arch9wavefront6targetE0EEEvSM_,@function
_ZN7rocprim17ROCPRIM_400000_NS6detail17trampoline_kernelINS0_13kernel_configILj256ELj4ELj4294967295EEENS1_37radix_sort_block_sort_config_selectorIjN6thrust23THRUST_200600_302600_NS5tupleIffNS7_9null_typeES9_S9_S9_S9_S9_S9_S9_EEEEZNS1_21radix_sort_block_sortIS4_Lb0ENS7_6detail15normal_iteratorINS7_10device_ptrIjEEEESH_NSE_INSF_ISA_EEEESJ_NS0_19identity_decomposerEEE10hipError_tT1_T2_T3_T4_jRjT5_jjP12ihipStream_tbEUlT_E_NS1_11comp_targetILNS1_3genE8ELNS1_11target_archE1030ELNS1_3gpuE2ELNS1_3repE0EEENS1_44radix_sort_block_sort_config_static_selectorELNS0_4arch9wavefront6targetE0EEEvSM_: ; @_ZN7rocprim17ROCPRIM_400000_NS6detail17trampoline_kernelINS0_13kernel_configILj256ELj4ELj4294967295EEENS1_37radix_sort_block_sort_config_selectorIjN6thrust23THRUST_200600_302600_NS5tupleIffNS7_9null_typeES9_S9_S9_S9_S9_S9_S9_EEEEZNS1_21radix_sort_block_sortIS4_Lb0ENS7_6detail15normal_iteratorINS7_10device_ptrIjEEEESH_NSE_INSF_ISA_EEEESJ_NS0_19identity_decomposerEEE10hipError_tT1_T2_T3_T4_jRjT5_jjP12ihipStream_tbEUlT_E_NS1_11comp_targetILNS1_3genE8ELNS1_11target_archE1030ELNS1_3gpuE2ELNS1_3repE0EEENS1_44radix_sort_block_sort_config_static_selectorELNS0_4arch9wavefront6targetE0EEEvSM_
; %bb.0:
	s_clause 0x1
	s_load_dword s0, s[4:5], 0x20
	s_load_dwordx8 s[12:19], s[4:5], 0x0
	v_lshlrev_b32_e32 v29, 2, v0
	v_mbcnt_lo_u32_b32 v17, -1, 0
	s_mov_b32 s21, 0
	v_and_b32_e32 v18, 0x380, v29
	v_lshlrev_b32_e32 v19, 2, v17
	v_lshlrev_b32_e32 v21, 3, v17
	;; [unrolled: 1-line block ×4, first 2 shown]
	s_waitcnt lgkmcnt(0)
	s_lshr_b32 s1, s0, 10
	s_cmp_lg_u32 s6, s1
	s_cselect_b32 s27, -1, 0
	s_lshl_b32 s20, s6, 10
	s_lshl_b64 s[22:23], s[20:21], 2
	s_add_u32 s2, s12, s22
	s_addc_u32 s3, s13, s23
	v_add_co_u32 v4, s2, s2, v19
	v_add_co_ci_u32_e64 v5, null, s3, 0, s2
	s_cmp_eq_u32 s6, s1
	v_add_co_u32 v3, vcc_lo, v4, v3
	v_add_co_ci_u32_e64 v4, null, 0, v5, vcc_lo
	s_mov_b32 s1, -1
	s_cbranch_scc1 .LBB15_2
; %bb.1:
	s_lshl_b64 s[2:3], s[20:21], 3
	s_add_u32 s1, s16, s2
	s_addc_u32 s2, s17, s3
	v_add_co_u32 v5, s1, s1, v21
	v_add_co_ci_u32_e64 v6, null, s2, 0, s1
	s_mov_b32 s1, s21
	v_add_co_u32 v15, vcc_lo, v5, v20
	v_add_co_ci_u32_e64 v16, null, 0, v6, vcc_lo
	s_clause 0x3
	global_load_dword v5, v[3:4], off
	global_load_dword v6, v[3:4], off offset:128
	global_load_dword v7, v[3:4], off offset:256
	;; [unrolled: 1-line block ×3, first 2 shown]
	s_clause 0x3
	global_load_dwordx2 v[9:10], v[15:16], off
	global_load_dwordx2 v[11:12], v[15:16], off offset:256
	global_load_dwordx2 v[13:14], v[15:16], off offset:512
	;; [unrolled: 1-line block ×3, first 2 shown]
	s_load_dwordx2 s[24:25], s[4:5], 0x28
	s_andn2_b32 vcc_lo, exec_lo, s1
	s_sub_i32 s26, s0, s20
	s_cbranch_vccz .LBB15_3
	s_branch .LBB15_20
.LBB15_2:
                                        ; implicit-def: $vgpr5_vgpr6_vgpr7_vgpr8
                                        ; implicit-def: $vgpr9
                                        ; implicit-def: $vgpr13
	s_load_dwordx2 s[24:25], s[4:5], 0x28
	s_andn2_b32 vcc_lo, exec_lo, s1
	s_sub_i32 s26, s0, s20
	s_cbranch_vccnz .LBB15_20
.LBB15_3:
	s_waitcnt vmcnt(3)
	v_or_b32_e32 v9, v17, v18
	v_mov_b32_e32 v5, -1
	v_cmp_gt_u32_e32 vcc_lo, s26, v9
	v_mov_b32_e32 v6, v5
	v_mov_b32_e32 v7, v5
	v_mov_b32_e32 v8, v5
	s_and_saveexec_b32 s0, vcc_lo
	s_cbranch_execz .LBB15_5
; %bb.4:
	global_load_dword v10, v[3:4], off
	s_waitcnt vmcnt(3)
	v_mov_b32_e32 v11, v5
	v_mov_b32_e32 v12, v5
	s_waitcnt vmcnt(2)
	v_mov_b32_e32 v13, v5
	s_waitcnt vmcnt(0)
	v_mov_b32_e32 v5, v10
	v_mov_b32_e32 v6, v11
	;; [unrolled: 1-line block ×4, first 2 shown]
.LBB15_5:
	s_or_b32 exec_lo, exec_lo, s0
	v_or_b32_e32 v10, 32, v9
	v_cmp_gt_u32_e64 s2, s26, v10
	s_and_saveexec_b32 s0, s2
	s_cbranch_execz .LBB15_7
; %bb.6:
	global_load_dword v6, v[3:4], off offset:128
.LBB15_7:
	s_or_b32 exec_lo, exec_lo, s0
	v_or_b32_e32 v10, 64, v9
	v_cmp_gt_u32_e64 s1, s26, v10
	s_and_saveexec_b32 s0, s1
	s_cbranch_execz .LBB15_9
; %bb.8:
	global_load_dword v7, v[3:4], off offset:256
.LBB15_9:
	s_or_b32 exec_lo, exec_lo, s0
	v_or_b32_e32 v9, 0x60, v9
	v_cmp_gt_u32_e64 s0, s26, v9
	s_and_saveexec_b32 s3, s0
	s_cbranch_execz .LBB15_11
; %bb.10:
	global_load_dword v8, v[3:4], off offset:384
.LBB15_11:
	s_or_b32 exec_lo, exec_lo, s3
	s_lshl_b64 s[6:7], s[20:21], 3
	s_waitcnt vmcnt(2)
	v_mov_b32_e32 v12, 0
	s_add_u32 s3, s16, s6
	s_addc_u32 s6, s17, s7
	v_add_co_u32 v3, s3, s3, v21
	v_add_co_ci_u32_e64 v4, null, s6, 0, s3
	v_mov_b32_e32 v10, 0
	v_add_co_u32 v3, s3, v3, v20
	v_add_co_ci_u32_e64 v4, null, 0, v4, s3
	v_mov_b32_e32 v9, 0
	s_and_saveexec_b32 s3, vcc_lo
	s_cbranch_execz .LBB15_13
; %bb.12:
	global_load_dwordx2 v[9:10], v[3:4], off
.LBB15_13:
	s_or_b32 exec_lo, exec_lo, s3
	v_mov_b32_e32 v11, 0
	s_and_saveexec_b32 s3, s2
	s_cbranch_execz .LBB15_15
; %bb.14:
	global_load_dwordx2 v[11:12], v[3:4], off offset:256
.LBB15_15:
	s_or_b32 exec_lo, exec_lo, s3
	s_waitcnt vmcnt(0)
	v_mov_b32_e32 v15, 0
	v_mov_b32_e32 v14, 0
	;; [unrolled: 1-line block ×3, first 2 shown]
	s_and_saveexec_b32 s2, s1
	s_cbranch_execz .LBB15_17
; %bb.16:
	global_load_dwordx2 v[13:14], v[3:4], off offset:512
.LBB15_17:
	s_or_b32 exec_lo, exec_lo, s2
	v_mov_b32_e32 v16, 0
	s_and_saveexec_b32 s1, s0
	s_cbranch_execz .LBB15_19
; %bb.18:
	global_load_dwordx2 v[15:16], v[3:4], off offset:768
.LBB15_19:
	s_or_b32 exec_lo, exec_lo, s1
.LBB15_20:
	s_load_dword s7, s[4:5], 0x3c
	s_getpc_b64 s[4:5]
	s_add_u32 s4, s4, _ZN7rocprim17ROCPRIM_400000_NS16block_radix_sortIjLj256ELj4EN6thrust23THRUST_200600_302600_NS5tupleIffNS3_9null_typeES5_S5_S5_S5_S5_S5_S5_EELj1ELj1ELj0ELNS0_26block_radix_rank_algorithmE1ELNS0_18block_padding_hintE2ELNS0_4arch9wavefront6targetE0EE19radix_bits_per_passE@rel32@lo+4
	s_addc_u32 s5, s5, _ZN7rocprim17ROCPRIM_400000_NS16block_radix_sortIjLj256ELj4EN6thrust23THRUST_200600_302600_NS5tupleIffNS3_9null_typeES5_S5_S5_S5_S5_S5_S5_EELj1ELj1ELj0ELNS0_26block_radix_rank_algorithmE1ELNS0_18block_padding_hintE2ELNS0_4arch9wavefront6targetE0EE19radix_bits_per_passE@rel32@hi+12
	v_sub_co_u32 v22, s2, v17, 1
	s_load_dword s16, s[4:5], 0x0
	v_lshrrev_b32_e32 v23, 3, v0
	v_lshlrev_b32_e32 v30, 5, v0
	v_cmp_gt_i32_e32 vcc_lo, 0, v22
	v_and_b32_e32 v3, 15, v17
	s_mov_b32 s28, 0
	v_and_b32_e32 v4, 16, v17
	v_or_b32_e32 v21, 31, v0
	v_mul_i32_i24_e32 v24, 0xffffffe4, v0
	v_and_b32_e32 v25, 7, v17
	v_and_b32_e32 v34, 28, v23
	s_mov_b32 s30, s28
	s_mov_b32 s29, s28
	;; [unrolled: 1-line block ×3, first 2 shown]
	v_lshl_add_u32 v31, v18, 2, v19
	v_add3_u32 v32, v19, v19, v20
	s_waitcnt lgkmcnt(0)
	s_lshr_b32 s5, s7, 16
	s_and_b32 s7, s7, 0xffff
	v_mad_u32_u24 v1, v2, s5, v1
	v_mov_b32_e32 v19, s30
	v_cmp_gt_u32_e64 s0, 8, v0
	v_cmp_lt_u32_e64 s1, 31, v0
	v_cmp_eq_u32_e64 s3, 0, v0
	v_mad_u64_u32 v[1:2], null, v1, s7, v[0:1]
	v_cndmask_b32_e32 v2, v22, v17, vcc_lo
	v_mov_b32_e32 v17, s28
	v_cmp_eq_u32_e64 s4, 0, v3
	v_cmp_lt_u32_e64 s5, 1, v3
	v_cmp_lt_u32_e64 s6, 3, v3
	;; [unrolled: 1-line block ×3, first 2 shown]
	v_lshrrev_b32_e32 v1, 3, v1
	v_cmp_eq_u32_e64 s8, 0, v4
	v_cmp_eq_u32_e64 s9, v0, v21
	v_cmp_eq_u32_e64 s10, 0, v25
	v_cmp_lt_u32_e64 s11, 1, v25
	v_cmp_lt_u32_e64 s12, 3, v25
	v_lshlrev_b32_e32 v35, 2, v2
	v_add_nc_u32_e32 v36, -4, v34
	v_and_b32_e32 v37, 0x1ffffffc, v1
	v_mov_b32_e32 v18, s29
	v_mov_b32_e32 v20, s31
	v_add_nc_u32_e32 v33, v30, v24
	s_add_i32 s17, s25, s24
	s_branch .LBB15_22
.LBB15_21:                              ;   in Loop: Header=BB15_22 Depth=1
	s_andn2_b32 vcc_lo, exec_lo, s13
	s_cbranch_vccz .LBB15_38
.LBB15_22:                              ; =>This Inner Loop Header: Depth=1
	s_waitcnt vmcnt(4)
	v_mov_b32_e32 v1, v5
	s_min_u32 s13, s16, s25
	v_mov_b32_e32 v2, v6
	v_mov_b32_e32 v3, v7
	;; [unrolled: 1-line block ×3, first 2 shown]
	v_lshrrev_b32_e32 v5, s24, v1
	s_lshl_b32 s13, -1, s13
	s_waitcnt vmcnt(0)
	v_mov_b32_e32 v27, v13
	s_not_b32 s28, s13
	v_mov_b32_e32 v28, v14
	v_and_b32_e32 v6, s28, v5
	ds_write2_b64 v30, v[17:18], v[19:20] offset0:4 offset1:5
	ds_write2_b64 v30, v[17:18], v[19:20] offset0:6 offset1:7
	s_waitcnt lgkmcnt(0)
	s_barrier
	buffer_gl0_inv
	v_and_b32_e32 v5, 1, v6
	v_lshlrev_b32_e32 v7, 30, v6
	v_lshlrev_b32_e32 v8, 29, v6
	;; [unrolled: 1-line block ×4, first 2 shown]
	v_add_co_u32 v5, s13, v5, -1
	v_cndmask_b32_e64 v22, 0, 1, s13
	v_not_b32_e32 v26, v7
	v_cmp_gt_i32_e64 s13, 0, v7
	v_not_b32_e32 v7, v8
	v_lshlrev_b32_e32 v24, 26, v6
	v_cmp_ne_u32_e32 vcc_lo, 0, v22
	v_ashrrev_i32_e32 v26, 31, v26
	v_lshlrev_b32_e32 v25, 25, v6
	v_ashrrev_i32_e32 v7, 31, v7
	v_lshlrev_b32_e32 v22, 24, v6
	v_xor_b32_e32 v5, vcc_lo, v5
	v_cmp_gt_i32_e32 vcc_lo, 0, v8
	v_not_b32_e32 v8, v21
	v_xor_b32_e32 v26, s13, v26
	v_cmp_gt_i32_e64 s13, 0, v21
	v_and_b32_e32 v5, exec_lo, v5
	v_not_b32_e32 v21, v23
	v_ashrrev_i32_e32 v8, 31, v8
	v_xor_b32_e32 v7, vcc_lo, v7
	v_cmp_gt_i32_e32 vcc_lo, 0, v23
	v_and_b32_e32 v5, v5, v26
	v_not_b32_e32 v23, v24
	v_ashrrev_i32_e32 v21, 31, v21
	v_xor_b32_e32 v8, s13, v8
	v_cmp_gt_i32_e64 s13, 0, v24
	v_and_b32_e32 v5, v5, v7
	v_not_b32_e32 v7, v25
	v_ashrrev_i32_e32 v23, 31, v23
	v_xor_b32_e32 v21, vcc_lo, v21
	v_cmp_gt_i32_e32 vcc_lo, 0, v25
	v_and_b32_e32 v5, v5, v8
	v_not_b32_e32 v8, v22
	v_ashrrev_i32_e32 v7, 31, v7
	v_xor_b32_e32 v23, s13, v23
	v_cmp_gt_i32_e64 s13, 0, v22
	v_and_b32_e32 v5, v5, v21
	v_ashrrev_i32_e32 v8, 31, v8
	v_xor_b32_e32 v7, vcc_lo, v7
	v_lshlrev_b32_e32 v6, 5, v6
	v_mov_b32_e32 v24, v10
	v_and_b32_e32 v5, v5, v23
	v_xor_b32_e32 v8, s13, v8
	v_mov_b32_e32 v23, v9
	v_mov_b32_e32 v25, v11
	;; [unrolled: 1-line block ×3, first 2 shown]
	v_and_b32_e32 v5, v5, v7
	v_mov_b32_e32 v21, v15
	v_mov_b32_e32 v22, v16
	v_add_nc_u32_e32 v14, v37, v6
	v_and_b32_e32 v5, v5, v8
	; wave barrier
	v_mbcnt_lo_u32_b32 v13, v5, 0
	v_cmp_ne_u32_e64 s13, 0, v5
	v_cmp_eq_u32_e32 vcc_lo, 0, v13
	s_and_b32 s29, s13, vcc_lo
	s_and_saveexec_b32 s13, s29
; %bb.23:                               ;   in Loop: Header=BB15_22 Depth=1
	v_bcnt_u32_b32 v5, v5, 0
	ds_write_b32 v14, v5 offset:32
; %bb.24:                               ;   in Loop: Header=BB15_22 Depth=1
	s_or_b32 exec_lo, exec_lo, s13
	v_lshrrev_b32_e32 v5, s24, v2
	; wave barrier
	v_and_b32_e32 v5, s28, v5
	v_and_b32_e32 v6, 1, v5
	v_lshlrev_b32_e32 v7, 30, v5
	v_lshlrev_b32_e32 v8, 29, v5
	;; [unrolled: 1-line block ×4, first 2 shown]
	v_add_co_u32 v6, s13, v6, -1
	v_cndmask_b32_e64 v10, 0, 1, s13
	v_not_b32_e32 v16, v7
	v_cmp_gt_i32_e64 s13, 0, v7
	v_not_b32_e32 v7, v8
	v_lshlrev_b32_e32 v12, 26, v5
	v_cmp_ne_u32_e32 vcc_lo, 0, v10
	v_ashrrev_i32_e32 v16, 31, v16
	v_lshlrev_b32_e32 v15, 25, v5
	v_ashrrev_i32_e32 v7, 31, v7
	v_lshlrev_b32_e32 v10, 24, v5
	v_xor_b32_e32 v6, vcc_lo, v6
	v_cmp_gt_i32_e32 vcc_lo, 0, v8
	v_not_b32_e32 v8, v9
	v_xor_b32_e32 v16, s13, v16
	v_cmp_gt_i32_e64 s13, 0, v9
	v_and_b32_e32 v6, exec_lo, v6
	v_not_b32_e32 v9, v11
	v_ashrrev_i32_e32 v8, 31, v8
	v_xor_b32_e32 v7, vcc_lo, v7
	v_cmp_gt_i32_e32 vcc_lo, 0, v11
	v_and_b32_e32 v6, v6, v16
	v_not_b32_e32 v11, v12
	v_ashrrev_i32_e32 v9, 31, v9
	v_xor_b32_e32 v8, s13, v8
	v_cmp_gt_i32_e64 s13, 0, v12
	v_and_b32_e32 v6, v6, v7
	v_not_b32_e32 v7, v15
	v_ashrrev_i32_e32 v11, 31, v11
	v_xor_b32_e32 v9, vcc_lo, v9
	v_cmp_gt_i32_e32 vcc_lo, 0, v15
	v_and_b32_e32 v6, v6, v8
	v_not_b32_e32 v8, v10
	v_ashrrev_i32_e32 v7, 31, v7
	v_xor_b32_e32 v11, s13, v11
	v_lshlrev_b32_e32 v5, 5, v5
	v_and_b32_e32 v6, v6, v9
	v_cmp_gt_i32_e64 s13, 0, v10
	v_ashrrev_i32_e32 v8, 31, v8
	v_xor_b32_e32 v7, vcc_lo, v7
	v_add_nc_u32_e32 v16, v37, v5
	v_and_b32_e32 v6, v6, v11
	v_xor_b32_e32 v5, s13, v8
	ds_read_b32 v15, v16 offset:32
	v_and_b32_e32 v6, v6, v7
	; wave barrier
	v_and_b32_e32 v5, v6, v5
	v_mbcnt_lo_u32_b32 v38, v5, 0
	v_cmp_ne_u32_e64 s13, 0, v5
	v_cmp_eq_u32_e32 vcc_lo, 0, v38
	s_and_b32 s29, s13, vcc_lo
	s_and_saveexec_b32 s13, s29
	s_cbranch_execz .LBB15_26
; %bb.25:                               ;   in Loop: Header=BB15_22 Depth=1
	s_waitcnt lgkmcnt(0)
	v_bcnt_u32_b32 v5, v5, v15
	ds_write_b32 v16, v5 offset:32
.LBB15_26:                              ;   in Loop: Header=BB15_22 Depth=1
	s_or_b32 exec_lo, exec_lo, s13
	v_lshrrev_b32_e32 v5, s24, v3
	; wave barrier
	v_and_b32_e32 v5, s28, v5
	v_and_b32_e32 v6, 1, v5
	v_lshlrev_b32_e32 v7, 30, v5
	v_lshlrev_b32_e32 v8, 29, v5
	;; [unrolled: 1-line block ×4, first 2 shown]
	v_add_co_u32 v6, s13, v6, -1
	v_cndmask_b32_e64 v10, 0, 1, s13
	v_not_b32_e32 v40, v7
	v_cmp_gt_i32_e64 s13, 0, v7
	v_not_b32_e32 v7, v8
	v_lshlrev_b32_e32 v12, 26, v5
	v_cmp_ne_u32_e32 vcc_lo, 0, v10
	v_ashrrev_i32_e32 v40, 31, v40
	v_lshlrev_b32_e32 v39, 25, v5
	v_ashrrev_i32_e32 v7, 31, v7
	v_lshlrev_b32_e32 v10, 24, v5
	v_xor_b32_e32 v6, vcc_lo, v6
	v_cmp_gt_i32_e32 vcc_lo, 0, v8
	v_not_b32_e32 v8, v9
	v_xor_b32_e32 v40, s13, v40
	v_cmp_gt_i32_e64 s13, 0, v9
	v_and_b32_e32 v6, exec_lo, v6
	v_not_b32_e32 v9, v11
	v_ashrrev_i32_e32 v8, 31, v8
	v_xor_b32_e32 v7, vcc_lo, v7
	v_cmp_gt_i32_e32 vcc_lo, 0, v11
	v_and_b32_e32 v6, v6, v40
	v_not_b32_e32 v11, v12
	v_ashrrev_i32_e32 v9, 31, v9
	v_xor_b32_e32 v8, s13, v8
	v_cmp_gt_i32_e64 s13, 0, v12
	v_and_b32_e32 v6, v6, v7
	v_not_b32_e32 v7, v39
	v_ashrrev_i32_e32 v11, 31, v11
	v_xor_b32_e32 v9, vcc_lo, v9
	v_cmp_gt_i32_e32 vcc_lo, 0, v39
	v_and_b32_e32 v6, v6, v8
	v_not_b32_e32 v8, v10
	v_ashrrev_i32_e32 v7, 31, v7
	v_xor_b32_e32 v11, s13, v11
	v_lshlrev_b32_e32 v5, 5, v5
	v_and_b32_e32 v6, v6, v9
	v_cmp_gt_i32_e64 s13, 0, v10
	v_ashrrev_i32_e32 v8, 31, v8
	v_xor_b32_e32 v7, vcc_lo, v7
	v_add_nc_u32_e32 v39, v37, v5
	v_and_b32_e32 v6, v6, v11
	v_xor_b32_e32 v5, s13, v8
	ds_read_b32 v40, v39 offset:32
	v_and_b32_e32 v6, v6, v7
	; wave barrier
	v_and_b32_e32 v5, v6, v5
	v_mbcnt_lo_u32_b32 v41, v5, 0
	v_cmp_ne_u32_e64 s13, 0, v5
	v_cmp_eq_u32_e32 vcc_lo, 0, v41
	s_and_b32 s29, s13, vcc_lo
	s_and_saveexec_b32 s13, s29
	s_cbranch_execz .LBB15_28
; %bb.27:                               ;   in Loop: Header=BB15_22 Depth=1
	s_waitcnt lgkmcnt(0)
	v_bcnt_u32_b32 v5, v5, v40
	ds_write_b32 v39, v5 offset:32
.LBB15_28:                              ;   in Loop: Header=BB15_22 Depth=1
	s_or_b32 exec_lo, exec_lo, s13
	v_lshrrev_b32_e32 v5, s24, v4
	; wave barrier
	v_and_b32_e32 v5, s28, v5
	v_and_b32_e32 v6, 1, v5
	v_lshlrev_b32_e32 v7, 30, v5
	v_lshlrev_b32_e32 v8, 29, v5
	;; [unrolled: 1-line block ×4, first 2 shown]
	v_add_co_u32 v6, s13, v6, -1
	v_cndmask_b32_e64 v10, 0, 1, s13
	v_not_b32_e32 v43, v7
	v_cmp_gt_i32_e64 s13, 0, v7
	v_not_b32_e32 v7, v8
	v_lshlrev_b32_e32 v12, 26, v5
	v_cmp_ne_u32_e32 vcc_lo, 0, v10
	v_ashrrev_i32_e32 v43, 31, v43
	v_lshlrev_b32_e32 v42, 25, v5
	v_ashrrev_i32_e32 v7, 31, v7
	v_lshlrev_b32_e32 v10, 24, v5
	v_xor_b32_e32 v6, vcc_lo, v6
	v_cmp_gt_i32_e32 vcc_lo, 0, v8
	v_not_b32_e32 v8, v9
	v_xor_b32_e32 v43, s13, v43
	v_cmp_gt_i32_e64 s13, 0, v9
	v_and_b32_e32 v6, exec_lo, v6
	v_not_b32_e32 v9, v11
	v_ashrrev_i32_e32 v8, 31, v8
	v_xor_b32_e32 v7, vcc_lo, v7
	v_cmp_gt_i32_e32 vcc_lo, 0, v11
	v_and_b32_e32 v6, v6, v43
	v_not_b32_e32 v11, v12
	v_ashrrev_i32_e32 v9, 31, v9
	v_xor_b32_e32 v8, s13, v8
	v_cmp_gt_i32_e64 s13, 0, v12
	v_and_b32_e32 v6, v6, v7
	v_not_b32_e32 v7, v42
	v_ashrrev_i32_e32 v11, 31, v11
	v_xor_b32_e32 v9, vcc_lo, v9
	v_cmp_gt_i32_e32 vcc_lo, 0, v42
	v_and_b32_e32 v6, v6, v8
	v_not_b32_e32 v8, v10
	v_ashrrev_i32_e32 v7, 31, v7
	v_xor_b32_e32 v11, s13, v11
	v_lshlrev_b32_e32 v5, 5, v5
	v_and_b32_e32 v6, v6, v9
	v_cmp_gt_i32_e64 s13, 0, v10
	v_ashrrev_i32_e32 v8, 31, v8
	v_xor_b32_e32 v7, vcc_lo, v7
	v_add_nc_u32_e32 v42, v37, v5
	v_and_b32_e32 v6, v6, v11
	v_xor_b32_e32 v5, s13, v8
	ds_read_b32 v44, v42 offset:32
	v_and_b32_e32 v6, v6, v7
	; wave barrier
	v_and_b32_e32 v5, v6, v5
	v_mbcnt_lo_u32_b32 v45, v5, 0
	v_cmp_ne_u32_e64 s13, 0, v5
	v_cmp_eq_u32_e32 vcc_lo, 0, v45
	s_and_b32 s28, s13, vcc_lo
	s_and_saveexec_b32 s13, s28
	s_cbranch_execz .LBB15_30
; %bb.29:                               ;   in Loop: Header=BB15_22 Depth=1
	s_waitcnt lgkmcnt(0)
	v_bcnt_u32_b32 v5, v5, v44
	ds_write_b32 v42, v5 offset:32
.LBB15_30:                              ;   in Loop: Header=BB15_22 Depth=1
	s_or_b32 exec_lo, exec_lo, s13
	; wave barrier
	s_waitcnt lgkmcnt(0)
	s_barrier
	buffer_gl0_inv
	ds_read2_b64 v[9:12], v30 offset0:4 offset1:5
	ds_read2_b64 v[5:8], v30 offset0:6 offset1:7
	s_waitcnt lgkmcnt(1)
	v_add_nc_u32_e32 v43, v10, v9
	v_add3_u32 v43, v43, v11, v12
	s_waitcnt lgkmcnt(0)
	v_add3_u32 v43, v43, v5, v6
	v_add3_u32 v8, v43, v7, v8
	v_mov_b32_dpp v43, v8 row_shr:1 row_mask:0xf bank_mask:0xf
	v_cndmask_b32_e64 v43, v43, 0, s4
	v_add_nc_u32_e32 v8, v43, v8
	v_mov_b32_dpp v43, v8 row_shr:2 row_mask:0xf bank_mask:0xf
	v_cndmask_b32_e64 v43, 0, v43, s5
	v_add_nc_u32_e32 v8, v8, v43
	;; [unrolled: 3-line block ×4, first 2 shown]
	ds_swizzle_b32 v43, v8 offset:swizzle(BROADCAST,32,15)
	s_waitcnt lgkmcnt(0)
	v_cndmask_b32_e64 v43, v43, 0, s8
	v_add_nc_u32_e32 v8, v8, v43
	s_and_saveexec_b32 s13, s9
; %bb.31:                               ;   in Loop: Header=BB15_22 Depth=1
	ds_write_b32 v34, v8
; %bb.32:                               ;   in Loop: Header=BB15_22 Depth=1
	s_or_b32 exec_lo, exec_lo, s13
	s_waitcnt lgkmcnt(0)
	s_barrier
	buffer_gl0_inv
	s_and_saveexec_b32 s13, s0
	s_cbranch_execz .LBB15_34
; %bb.33:                               ;   in Loop: Header=BB15_22 Depth=1
	ds_read_b32 v43, v33
	s_waitcnt lgkmcnt(0)
	v_mov_b32_dpp v46, v43 row_shr:1 row_mask:0xf bank_mask:0xf
	v_cndmask_b32_e64 v46, v46, 0, s10
	v_add_nc_u32_e32 v43, v46, v43
	v_mov_b32_dpp v46, v43 row_shr:2 row_mask:0xf bank_mask:0xf
	v_cndmask_b32_e64 v46, 0, v46, s11
	v_add_nc_u32_e32 v43, v43, v46
	;; [unrolled: 3-line block ×3, first 2 shown]
	ds_write_b32 v33, v43
.LBB15_34:                              ;   in Loop: Header=BB15_22 Depth=1
	s_or_b32 exec_lo, exec_lo, s13
	v_mov_b32_e32 v43, 0
	s_waitcnt lgkmcnt(0)
	s_barrier
	buffer_gl0_inv
	s_and_saveexec_b32 s13, s1
; %bb.35:                               ;   in Loop: Header=BB15_22 Depth=1
	ds_read_b32 v43, v36
; %bb.36:                               ;   in Loop: Header=BB15_22 Depth=1
	s_or_b32 exec_lo, exec_lo, s13
	s_waitcnt lgkmcnt(0)
	v_add_nc_u32_e32 v8, v43, v8
	s_add_i32 s24, s24, 8
	s_mov_b32 s13, -1
	s_cmp_ge_u32 s24, s17
	ds_bpermute_b32 v8, v35, v8
	s_waitcnt lgkmcnt(0)
	v_cndmask_b32_e64 v8, v8, v43, s2
	v_cndmask_b32_e64 v8, v8, 0, s3
	v_add_nc_u32_e32 v9, v8, v9
	v_add_nc_u32_e32 v10, v9, v10
	;; [unrolled: 1-line block ×7, first 2 shown]
	ds_write2_b64 v30, v[8:9], v[10:11] offset0:4 offset1:5
	ds_write2_b64 v30, v[46:47], v[5:6] offset0:6 offset1:7
	s_waitcnt lgkmcnt(0)
	s_barrier
	buffer_gl0_inv
	ds_read_b32 v5, v14 offset:32
	ds_read_b32 v6, v16 offset:32
	;; [unrolled: 1-line block ×4, first 2 shown]
	s_waitcnt lgkmcnt(0)
                                        ; implicit-def: $vgpr9
	v_add_nc_u32_e32 v43, v5, v13
	v_add3_u32 v42, v38, v15, v6
	v_add3_u32 v39, v41, v40, v7
	;; [unrolled: 1-line block ×3, first 2 shown]
                                        ; implicit-def: $vgpr5_vgpr6_vgpr7_vgpr8
                                        ; implicit-def: $vgpr13
	v_lshlrev_b32_e32 v45, 2, v43
	v_lshlrev_b32_e32 v44, 2, v42
	;; [unrolled: 1-line block ×4, first 2 shown]
	s_cbranch_scc1 .LBB15_21
; %bb.37:                               ;   in Loop: Header=BB15_22 Depth=1
	v_lshl_add_u32 v9, v43, 2, v45
	v_lshl_add_u32 v10, v42, 2, v44
	;; [unrolled: 1-line block ×4, first 2 shown]
	s_barrier
	buffer_gl0_inv
	ds_write_b32 v45, v1
	ds_write_b32 v44, v2
	;; [unrolled: 1-line block ×4, first 2 shown]
	s_waitcnt lgkmcnt(0)
	s_barrier
	buffer_gl0_inv
	ds_read2_b32 v[5:6], v31 offset1:32
	ds_read2_b32 v[7:8], v31 offset0:64 offset1:96
	s_waitcnt lgkmcnt(0)
	s_barrier
	buffer_gl0_inv
	ds_write_b64 v9, v[23:24]
	ds_write_b64 v10, v[25:26]
	;; [unrolled: 1-line block ×4, first 2 shown]
	s_waitcnt lgkmcnt(0)
	s_barrier
	buffer_gl0_inv
	ds_read2_b64 v[9:12], v32 offset1:32
	ds_read2_b64 v[13:16], v32 offset0:64 offset1:96
	s_add_i32 s25, s25, -8
	s_mov_b32 s13, 0
	s_waitcnt lgkmcnt(0)
	s_barrier
	buffer_gl0_inv
	s_branch .LBB15_21
.LBB15_38:
	s_barrier
	buffer_gl0_inv
	ds_write_b32 v45, v1
	ds_write_b32 v44, v2
	;; [unrolled: 1-line block ×4, first 2 shown]
	v_lshl_add_u32 v1, v43, 2, v45
	v_lshl_add_u32 v4, v38, 2, v40
	v_lshlrev_b32_e32 v15, 3, v0
	v_lshl_add_u32 v2, v42, 2, v44
	v_lshl_add_u32 v3, v39, 2, v41
	s_waitcnt lgkmcnt(0)
	s_barrier
	buffer_gl0_inv
	ds_read2st64_b32 v[11:12], v33 offset1:4
	ds_read2st64_b32 v[9:10], v33 offset0:8 offset1:12
	s_waitcnt lgkmcnt(0)
	s_barrier
	buffer_gl0_inv
	ds_write_b64 v1, v[23:24]
	ds_write_b64 v2, v[25:26]
	;; [unrolled: 1-line block ×4, first 2 shown]
	s_waitcnt lgkmcnt(0)
	s_barrier
	buffer_gl0_inv
	ds_read2st64_b64 v[5:8], v15 offset1:4
	ds_read2st64_b64 v[1:4], v15 offset0:8 offset1:12
	s_add_u32 s0, s14, s22
	s_addc_u32 s1, s15, s23
	v_add_co_u32 v13, s0, s0, v29
	v_add_co_ci_u32_e64 v14, null, s1, 0, s0
	s_andn2_b32 vcc_lo, exec_lo, s27
	s_mov_b32 s0, -1
	s_cbranch_vccnz .LBB15_40
; %bb.39:
	s_lshl_b64 s[2:3], s[20:21], 3
	v_add_co_u32 v16, vcc_lo, 0x800, v13
	s_add_u32 s2, s18, s2
	s_addc_u32 s3, s19, s3
	v_add_co_u32 v20, s1, s2, v15
	v_add_co_ci_u32_e64 v21, null, s3, 0, s1
	v_add_co_ci_u32_e64 v17, null, 0, v14, vcc_lo
	v_add_co_u32 v18, vcc_lo, v20, 0x1000
	v_add_co_ci_u32_e64 v19, null, 0, v21, vcc_lo
	v_add_co_u32 v20, vcc_lo, 0x1800, v20
	s_mov_b32 s0, 0
	v_add_co_ci_u32_e64 v21, null, 0, v21, vcc_lo
	global_store_dword v[13:14], v11, off
	global_store_dword v[13:14], v12, off offset:1024
	global_store_dword v[16:17], v9, off
	global_store_dword v[16:17], v10, off offset:1024
	s_waitcnt lgkmcnt(1)
	global_store_dwordx2 v15, v[5:6], s[2:3]
	global_store_dwordx2 v[18:19], v[7:8], off offset:-2048
	s_waitcnt lgkmcnt(0)
	global_store_dwordx2 v[18:19], v[1:2], off
	global_store_dwordx2 v[20:21], v[3:4], off
.LBB15_40:
	s_andn2_b32 vcc_lo, exec_lo, s0
	s_cbranch_vccnz .LBB15_54
; %bb.41:
	v_cmp_gt_u32_e64 s1, s26, v0
	s_and_saveexec_b32 s0, s1
	s_cbranch_execz .LBB15_43
; %bb.42:
	global_store_dword v[13:14], v11, off
.LBB15_43:
	s_or_b32 exec_lo, exec_lo, s0
	v_or_b32_e32 v11, 0x100, v0
	v_cmp_gt_u32_e64 s2, s26, v11
	s_and_saveexec_b32 s0, s2
	s_cbranch_execz .LBB15_45
; %bb.44:
	global_store_dword v[13:14], v12, off offset:1024
.LBB15_45:
	s_or_b32 exec_lo, exec_lo, s0
	v_or_b32_e32 v11, 0x200, v0
	v_cmp_gt_u32_e32 vcc_lo, s26, v11
	s_and_saveexec_b32 s3, vcc_lo
	s_cbranch_execz .LBB15_47
; %bb.46:
	v_add_co_u32 v11, s0, 0x800, v13
	v_add_co_ci_u32_e64 v12, null, 0, v14, s0
	global_store_dword v[11:12], v9, off
.LBB15_47:
	s_or_b32 exec_lo, exec_lo, s3
	v_or_b32_e32 v0, 0x300, v0
	v_cmp_gt_u32_e64 s0, s26, v0
	s_and_saveexec_b32 s4, s0
	s_cbranch_execz .LBB15_49
; %bb.48:
	v_add_co_u32 v11, s3, 0x800, v13
	v_add_co_ci_u32_e64 v12, null, 0, v14, s3
	global_store_dword v[11:12], v10, off offset:1024
.LBB15_49:
	s_or_b32 exec_lo, exec_lo, s4
	s_lshl_b64 s[4:5], s[20:21], 3
	s_add_u32 s3, s18, s4
	s_addc_u32 s4, s19, s5
	v_add_co_u32 v9, s3, s3, v15
	v_add_co_ci_u32_e64 v10, null, s4, 0, s3
	s_and_saveexec_b32 s3, s1
	s_cbranch_execnz .LBB15_55
; %bb.50:
	s_or_b32 exec_lo, exec_lo, s3
	s_and_saveexec_b32 s3, s2
	s_cbranch_execnz .LBB15_56
.LBB15_51:
	s_or_b32 exec_lo, exec_lo, s3
	s_and_saveexec_b32 s1, vcc_lo
	s_cbranch_execnz .LBB15_57
.LBB15_52:
	s_or_b32 exec_lo, exec_lo, s1
	s_and_saveexec_b32 s1, s0
	s_cbranch_execz .LBB15_54
.LBB15_53:
	v_add_co_u32 v0, vcc_lo, 0x1800, v9
	s_waitcnt lgkmcnt(0)
	v_add_co_ci_u32_e64 v1, null, 0, v10, vcc_lo
	global_store_dwordx2 v[0:1], v[3:4], off
.LBB15_54:
	s_endpgm
.LBB15_55:
	s_waitcnt lgkmcnt(1)
	global_store_dwordx2 v[9:10], v[5:6], off
	s_or_b32 exec_lo, exec_lo, s3
	s_and_saveexec_b32 s3, s2
	s_cbranch_execz .LBB15_51
.LBB15_56:
	s_waitcnt lgkmcnt(1)
	v_add_co_u32 v5, s1, 0x800, v9
	v_add_co_ci_u32_e64 v6, null, 0, v10, s1
	global_store_dwordx2 v[5:6], v[7:8], off
	s_or_b32 exec_lo, exec_lo, s3
	s_and_saveexec_b32 s1, vcc_lo
	s_cbranch_execz .LBB15_52
.LBB15_57:
	s_waitcnt lgkmcnt(1)
	v_add_co_u32 v5, vcc_lo, 0x1000, v9
	v_add_co_ci_u32_e64 v6, null, 0, v10, vcc_lo
	s_waitcnt lgkmcnt(0)
	global_store_dwordx2 v[5:6], v[1:2], off
	s_or_b32 exec_lo, exec_lo, s1
	s_and_saveexec_b32 s1, s0
	s_cbranch_execnz .LBB15_53
	s_branch .LBB15_54
	.section	.rodata,"a",@progbits
	.p2align	6, 0x0
	.amdhsa_kernel _ZN7rocprim17ROCPRIM_400000_NS6detail17trampoline_kernelINS0_13kernel_configILj256ELj4ELj4294967295EEENS1_37radix_sort_block_sort_config_selectorIjN6thrust23THRUST_200600_302600_NS5tupleIffNS7_9null_typeES9_S9_S9_S9_S9_S9_S9_EEEEZNS1_21radix_sort_block_sortIS4_Lb0ENS7_6detail15normal_iteratorINS7_10device_ptrIjEEEESH_NSE_INSF_ISA_EEEESJ_NS0_19identity_decomposerEEE10hipError_tT1_T2_T3_T4_jRjT5_jjP12ihipStream_tbEUlT_E_NS1_11comp_targetILNS1_3genE8ELNS1_11target_archE1030ELNS1_3gpuE2ELNS1_3repE0EEENS1_44radix_sort_block_sort_config_static_selectorELNS0_4arch9wavefront6targetE0EEEvSM_
		.amdhsa_group_segment_fixed_size 8224
		.amdhsa_private_segment_fixed_size 0
		.amdhsa_kernarg_size 304
		.amdhsa_user_sgpr_count 6
		.amdhsa_user_sgpr_private_segment_buffer 1
		.amdhsa_user_sgpr_dispatch_ptr 0
		.amdhsa_user_sgpr_queue_ptr 0
		.amdhsa_user_sgpr_kernarg_segment_ptr 1
		.amdhsa_user_sgpr_dispatch_id 0
		.amdhsa_user_sgpr_flat_scratch_init 0
		.amdhsa_user_sgpr_private_segment_size 0
		.amdhsa_wavefront_size32 1
		.amdhsa_uses_dynamic_stack 0
		.amdhsa_system_sgpr_private_segment_wavefront_offset 0
		.amdhsa_system_sgpr_workgroup_id_x 1
		.amdhsa_system_sgpr_workgroup_id_y 0
		.amdhsa_system_sgpr_workgroup_id_z 0
		.amdhsa_system_sgpr_workgroup_info 0
		.amdhsa_system_vgpr_workitem_id 2
		.amdhsa_next_free_vgpr 48
		.amdhsa_next_free_sgpr 32
		.amdhsa_reserve_vcc 1
		.amdhsa_reserve_flat_scratch 0
		.amdhsa_float_round_mode_32 0
		.amdhsa_float_round_mode_16_64 0
		.amdhsa_float_denorm_mode_32 3
		.amdhsa_float_denorm_mode_16_64 3
		.amdhsa_dx10_clamp 1
		.amdhsa_ieee_mode 1
		.amdhsa_fp16_overflow 0
		.amdhsa_workgroup_processor_mode 1
		.amdhsa_memory_ordered 1
		.amdhsa_forward_progress 1
		.amdhsa_shared_vgpr_count 0
		.amdhsa_exception_fp_ieee_invalid_op 0
		.amdhsa_exception_fp_denorm_src 0
		.amdhsa_exception_fp_ieee_div_zero 0
		.amdhsa_exception_fp_ieee_overflow 0
		.amdhsa_exception_fp_ieee_underflow 0
		.amdhsa_exception_fp_ieee_inexact 0
		.amdhsa_exception_int_div_zero 0
	.end_amdhsa_kernel
	.section	.text._ZN7rocprim17ROCPRIM_400000_NS6detail17trampoline_kernelINS0_13kernel_configILj256ELj4ELj4294967295EEENS1_37radix_sort_block_sort_config_selectorIjN6thrust23THRUST_200600_302600_NS5tupleIffNS7_9null_typeES9_S9_S9_S9_S9_S9_S9_EEEEZNS1_21radix_sort_block_sortIS4_Lb0ENS7_6detail15normal_iteratorINS7_10device_ptrIjEEEESH_NSE_INSF_ISA_EEEESJ_NS0_19identity_decomposerEEE10hipError_tT1_T2_T3_T4_jRjT5_jjP12ihipStream_tbEUlT_E_NS1_11comp_targetILNS1_3genE8ELNS1_11target_archE1030ELNS1_3gpuE2ELNS1_3repE0EEENS1_44radix_sort_block_sort_config_static_selectorELNS0_4arch9wavefront6targetE0EEEvSM_,"axG",@progbits,_ZN7rocprim17ROCPRIM_400000_NS6detail17trampoline_kernelINS0_13kernel_configILj256ELj4ELj4294967295EEENS1_37radix_sort_block_sort_config_selectorIjN6thrust23THRUST_200600_302600_NS5tupleIffNS7_9null_typeES9_S9_S9_S9_S9_S9_S9_EEEEZNS1_21radix_sort_block_sortIS4_Lb0ENS7_6detail15normal_iteratorINS7_10device_ptrIjEEEESH_NSE_INSF_ISA_EEEESJ_NS0_19identity_decomposerEEE10hipError_tT1_T2_T3_T4_jRjT5_jjP12ihipStream_tbEUlT_E_NS1_11comp_targetILNS1_3genE8ELNS1_11target_archE1030ELNS1_3gpuE2ELNS1_3repE0EEENS1_44radix_sort_block_sort_config_static_selectorELNS0_4arch9wavefront6targetE0EEEvSM_,comdat
.Lfunc_end15:
	.size	_ZN7rocprim17ROCPRIM_400000_NS6detail17trampoline_kernelINS0_13kernel_configILj256ELj4ELj4294967295EEENS1_37radix_sort_block_sort_config_selectorIjN6thrust23THRUST_200600_302600_NS5tupleIffNS7_9null_typeES9_S9_S9_S9_S9_S9_S9_EEEEZNS1_21radix_sort_block_sortIS4_Lb0ENS7_6detail15normal_iteratorINS7_10device_ptrIjEEEESH_NSE_INSF_ISA_EEEESJ_NS0_19identity_decomposerEEE10hipError_tT1_T2_T3_T4_jRjT5_jjP12ihipStream_tbEUlT_E_NS1_11comp_targetILNS1_3genE8ELNS1_11target_archE1030ELNS1_3gpuE2ELNS1_3repE0EEENS1_44radix_sort_block_sort_config_static_selectorELNS0_4arch9wavefront6targetE0EEEvSM_, .Lfunc_end15-_ZN7rocprim17ROCPRIM_400000_NS6detail17trampoline_kernelINS0_13kernel_configILj256ELj4ELj4294967295EEENS1_37radix_sort_block_sort_config_selectorIjN6thrust23THRUST_200600_302600_NS5tupleIffNS7_9null_typeES9_S9_S9_S9_S9_S9_S9_EEEEZNS1_21radix_sort_block_sortIS4_Lb0ENS7_6detail15normal_iteratorINS7_10device_ptrIjEEEESH_NSE_INSF_ISA_EEEESJ_NS0_19identity_decomposerEEE10hipError_tT1_T2_T3_T4_jRjT5_jjP12ihipStream_tbEUlT_E_NS1_11comp_targetILNS1_3genE8ELNS1_11target_archE1030ELNS1_3gpuE2ELNS1_3repE0EEENS1_44radix_sort_block_sort_config_static_selectorELNS0_4arch9wavefront6targetE0EEEvSM_
                                        ; -- End function
	.set _ZN7rocprim17ROCPRIM_400000_NS6detail17trampoline_kernelINS0_13kernel_configILj256ELj4ELj4294967295EEENS1_37radix_sort_block_sort_config_selectorIjN6thrust23THRUST_200600_302600_NS5tupleIffNS7_9null_typeES9_S9_S9_S9_S9_S9_S9_EEEEZNS1_21radix_sort_block_sortIS4_Lb0ENS7_6detail15normal_iteratorINS7_10device_ptrIjEEEESH_NSE_INSF_ISA_EEEESJ_NS0_19identity_decomposerEEE10hipError_tT1_T2_T3_T4_jRjT5_jjP12ihipStream_tbEUlT_E_NS1_11comp_targetILNS1_3genE8ELNS1_11target_archE1030ELNS1_3gpuE2ELNS1_3repE0EEENS1_44radix_sort_block_sort_config_static_selectorELNS0_4arch9wavefront6targetE0EEEvSM_.num_vgpr, 48
	.set _ZN7rocprim17ROCPRIM_400000_NS6detail17trampoline_kernelINS0_13kernel_configILj256ELj4ELj4294967295EEENS1_37radix_sort_block_sort_config_selectorIjN6thrust23THRUST_200600_302600_NS5tupleIffNS7_9null_typeES9_S9_S9_S9_S9_S9_S9_EEEEZNS1_21radix_sort_block_sortIS4_Lb0ENS7_6detail15normal_iteratorINS7_10device_ptrIjEEEESH_NSE_INSF_ISA_EEEESJ_NS0_19identity_decomposerEEE10hipError_tT1_T2_T3_T4_jRjT5_jjP12ihipStream_tbEUlT_E_NS1_11comp_targetILNS1_3genE8ELNS1_11target_archE1030ELNS1_3gpuE2ELNS1_3repE0EEENS1_44radix_sort_block_sort_config_static_selectorELNS0_4arch9wavefront6targetE0EEEvSM_.num_agpr, 0
	.set _ZN7rocprim17ROCPRIM_400000_NS6detail17trampoline_kernelINS0_13kernel_configILj256ELj4ELj4294967295EEENS1_37radix_sort_block_sort_config_selectorIjN6thrust23THRUST_200600_302600_NS5tupleIffNS7_9null_typeES9_S9_S9_S9_S9_S9_S9_EEEEZNS1_21radix_sort_block_sortIS4_Lb0ENS7_6detail15normal_iteratorINS7_10device_ptrIjEEEESH_NSE_INSF_ISA_EEEESJ_NS0_19identity_decomposerEEE10hipError_tT1_T2_T3_T4_jRjT5_jjP12ihipStream_tbEUlT_E_NS1_11comp_targetILNS1_3genE8ELNS1_11target_archE1030ELNS1_3gpuE2ELNS1_3repE0EEENS1_44radix_sort_block_sort_config_static_selectorELNS0_4arch9wavefront6targetE0EEEvSM_.numbered_sgpr, 32
	.set _ZN7rocprim17ROCPRIM_400000_NS6detail17trampoline_kernelINS0_13kernel_configILj256ELj4ELj4294967295EEENS1_37radix_sort_block_sort_config_selectorIjN6thrust23THRUST_200600_302600_NS5tupleIffNS7_9null_typeES9_S9_S9_S9_S9_S9_S9_EEEEZNS1_21radix_sort_block_sortIS4_Lb0ENS7_6detail15normal_iteratorINS7_10device_ptrIjEEEESH_NSE_INSF_ISA_EEEESJ_NS0_19identity_decomposerEEE10hipError_tT1_T2_T3_T4_jRjT5_jjP12ihipStream_tbEUlT_E_NS1_11comp_targetILNS1_3genE8ELNS1_11target_archE1030ELNS1_3gpuE2ELNS1_3repE0EEENS1_44radix_sort_block_sort_config_static_selectorELNS0_4arch9wavefront6targetE0EEEvSM_.num_named_barrier, 0
	.set _ZN7rocprim17ROCPRIM_400000_NS6detail17trampoline_kernelINS0_13kernel_configILj256ELj4ELj4294967295EEENS1_37radix_sort_block_sort_config_selectorIjN6thrust23THRUST_200600_302600_NS5tupleIffNS7_9null_typeES9_S9_S9_S9_S9_S9_S9_EEEEZNS1_21radix_sort_block_sortIS4_Lb0ENS7_6detail15normal_iteratorINS7_10device_ptrIjEEEESH_NSE_INSF_ISA_EEEESJ_NS0_19identity_decomposerEEE10hipError_tT1_T2_T3_T4_jRjT5_jjP12ihipStream_tbEUlT_E_NS1_11comp_targetILNS1_3genE8ELNS1_11target_archE1030ELNS1_3gpuE2ELNS1_3repE0EEENS1_44radix_sort_block_sort_config_static_selectorELNS0_4arch9wavefront6targetE0EEEvSM_.private_seg_size, 0
	.set _ZN7rocprim17ROCPRIM_400000_NS6detail17trampoline_kernelINS0_13kernel_configILj256ELj4ELj4294967295EEENS1_37radix_sort_block_sort_config_selectorIjN6thrust23THRUST_200600_302600_NS5tupleIffNS7_9null_typeES9_S9_S9_S9_S9_S9_S9_EEEEZNS1_21radix_sort_block_sortIS4_Lb0ENS7_6detail15normal_iteratorINS7_10device_ptrIjEEEESH_NSE_INSF_ISA_EEEESJ_NS0_19identity_decomposerEEE10hipError_tT1_T2_T3_T4_jRjT5_jjP12ihipStream_tbEUlT_E_NS1_11comp_targetILNS1_3genE8ELNS1_11target_archE1030ELNS1_3gpuE2ELNS1_3repE0EEENS1_44radix_sort_block_sort_config_static_selectorELNS0_4arch9wavefront6targetE0EEEvSM_.uses_vcc, 1
	.set _ZN7rocprim17ROCPRIM_400000_NS6detail17trampoline_kernelINS0_13kernel_configILj256ELj4ELj4294967295EEENS1_37radix_sort_block_sort_config_selectorIjN6thrust23THRUST_200600_302600_NS5tupleIffNS7_9null_typeES9_S9_S9_S9_S9_S9_S9_EEEEZNS1_21radix_sort_block_sortIS4_Lb0ENS7_6detail15normal_iteratorINS7_10device_ptrIjEEEESH_NSE_INSF_ISA_EEEESJ_NS0_19identity_decomposerEEE10hipError_tT1_T2_T3_T4_jRjT5_jjP12ihipStream_tbEUlT_E_NS1_11comp_targetILNS1_3genE8ELNS1_11target_archE1030ELNS1_3gpuE2ELNS1_3repE0EEENS1_44radix_sort_block_sort_config_static_selectorELNS0_4arch9wavefront6targetE0EEEvSM_.uses_flat_scratch, 0
	.set _ZN7rocprim17ROCPRIM_400000_NS6detail17trampoline_kernelINS0_13kernel_configILj256ELj4ELj4294967295EEENS1_37radix_sort_block_sort_config_selectorIjN6thrust23THRUST_200600_302600_NS5tupleIffNS7_9null_typeES9_S9_S9_S9_S9_S9_S9_EEEEZNS1_21radix_sort_block_sortIS4_Lb0ENS7_6detail15normal_iteratorINS7_10device_ptrIjEEEESH_NSE_INSF_ISA_EEEESJ_NS0_19identity_decomposerEEE10hipError_tT1_T2_T3_T4_jRjT5_jjP12ihipStream_tbEUlT_E_NS1_11comp_targetILNS1_3genE8ELNS1_11target_archE1030ELNS1_3gpuE2ELNS1_3repE0EEENS1_44radix_sort_block_sort_config_static_selectorELNS0_4arch9wavefront6targetE0EEEvSM_.has_dyn_sized_stack, 0
	.set _ZN7rocprim17ROCPRIM_400000_NS6detail17trampoline_kernelINS0_13kernel_configILj256ELj4ELj4294967295EEENS1_37radix_sort_block_sort_config_selectorIjN6thrust23THRUST_200600_302600_NS5tupleIffNS7_9null_typeES9_S9_S9_S9_S9_S9_S9_EEEEZNS1_21radix_sort_block_sortIS4_Lb0ENS7_6detail15normal_iteratorINS7_10device_ptrIjEEEESH_NSE_INSF_ISA_EEEESJ_NS0_19identity_decomposerEEE10hipError_tT1_T2_T3_T4_jRjT5_jjP12ihipStream_tbEUlT_E_NS1_11comp_targetILNS1_3genE8ELNS1_11target_archE1030ELNS1_3gpuE2ELNS1_3repE0EEENS1_44radix_sort_block_sort_config_static_selectorELNS0_4arch9wavefront6targetE0EEEvSM_.has_recursion, 0
	.set _ZN7rocprim17ROCPRIM_400000_NS6detail17trampoline_kernelINS0_13kernel_configILj256ELj4ELj4294967295EEENS1_37radix_sort_block_sort_config_selectorIjN6thrust23THRUST_200600_302600_NS5tupleIffNS7_9null_typeES9_S9_S9_S9_S9_S9_S9_EEEEZNS1_21radix_sort_block_sortIS4_Lb0ENS7_6detail15normal_iteratorINS7_10device_ptrIjEEEESH_NSE_INSF_ISA_EEEESJ_NS0_19identity_decomposerEEE10hipError_tT1_T2_T3_T4_jRjT5_jjP12ihipStream_tbEUlT_E_NS1_11comp_targetILNS1_3genE8ELNS1_11target_archE1030ELNS1_3gpuE2ELNS1_3repE0EEENS1_44radix_sort_block_sort_config_static_selectorELNS0_4arch9wavefront6targetE0EEEvSM_.has_indirect_call, 0
	.section	.AMDGPU.csdata,"",@progbits
; Kernel info:
; codeLenInByte = 3764
; TotalNumSgprs: 34
; NumVgprs: 48
; ScratchSize: 0
; MemoryBound: 0
; FloatMode: 240
; IeeeMode: 1
; LDSByteSize: 8224 bytes/workgroup (compile time only)
; SGPRBlocks: 0
; VGPRBlocks: 5
; NumSGPRsForWavesPerEU: 34
; NumVGPRsForWavesPerEU: 48
; Occupancy: 16
; WaveLimiterHint : 1
; COMPUTE_PGM_RSRC2:SCRATCH_EN: 0
; COMPUTE_PGM_RSRC2:USER_SGPR: 6
; COMPUTE_PGM_RSRC2:TRAP_HANDLER: 0
; COMPUTE_PGM_RSRC2:TGID_X_EN: 1
; COMPUTE_PGM_RSRC2:TGID_Y_EN: 0
; COMPUTE_PGM_RSRC2:TGID_Z_EN: 0
; COMPUTE_PGM_RSRC2:TIDIG_COMP_CNT: 2
	.section	.text._ZN7rocprim17ROCPRIM_400000_NS6detail44device_merge_sort_compile_time_verifier_archINS1_11comp_targetILNS1_3genE0ELNS1_11target_archE4294967295ELNS1_3gpuE0ELNS1_3repE0EEES8_NS1_28merge_sort_block_sort_configILj256ELj4ELNS0_20block_sort_algorithmE0EEENS0_14default_configENS1_37merge_sort_block_sort_config_selectorIjN6thrust23THRUST_200600_302600_NS5tupleIffNSF_9null_typeESH_SH_SH_SH_SH_SH_SH_EEEENS1_38merge_sort_block_merge_config_selectorIjSI_EEEEvv,"axG",@progbits,_ZN7rocprim17ROCPRIM_400000_NS6detail44device_merge_sort_compile_time_verifier_archINS1_11comp_targetILNS1_3genE0ELNS1_11target_archE4294967295ELNS1_3gpuE0ELNS1_3repE0EEES8_NS1_28merge_sort_block_sort_configILj256ELj4ELNS0_20block_sort_algorithmE0EEENS0_14default_configENS1_37merge_sort_block_sort_config_selectorIjN6thrust23THRUST_200600_302600_NS5tupleIffNSF_9null_typeESH_SH_SH_SH_SH_SH_SH_EEEENS1_38merge_sort_block_merge_config_selectorIjSI_EEEEvv,comdat
	.protected	_ZN7rocprim17ROCPRIM_400000_NS6detail44device_merge_sort_compile_time_verifier_archINS1_11comp_targetILNS1_3genE0ELNS1_11target_archE4294967295ELNS1_3gpuE0ELNS1_3repE0EEES8_NS1_28merge_sort_block_sort_configILj256ELj4ELNS0_20block_sort_algorithmE0EEENS0_14default_configENS1_37merge_sort_block_sort_config_selectorIjN6thrust23THRUST_200600_302600_NS5tupleIffNSF_9null_typeESH_SH_SH_SH_SH_SH_SH_EEEENS1_38merge_sort_block_merge_config_selectorIjSI_EEEEvv ; -- Begin function _ZN7rocprim17ROCPRIM_400000_NS6detail44device_merge_sort_compile_time_verifier_archINS1_11comp_targetILNS1_3genE0ELNS1_11target_archE4294967295ELNS1_3gpuE0ELNS1_3repE0EEES8_NS1_28merge_sort_block_sort_configILj256ELj4ELNS0_20block_sort_algorithmE0EEENS0_14default_configENS1_37merge_sort_block_sort_config_selectorIjN6thrust23THRUST_200600_302600_NS5tupleIffNSF_9null_typeESH_SH_SH_SH_SH_SH_SH_EEEENS1_38merge_sort_block_merge_config_selectorIjSI_EEEEvv
	.globl	_ZN7rocprim17ROCPRIM_400000_NS6detail44device_merge_sort_compile_time_verifier_archINS1_11comp_targetILNS1_3genE0ELNS1_11target_archE4294967295ELNS1_3gpuE0ELNS1_3repE0EEES8_NS1_28merge_sort_block_sort_configILj256ELj4ELNS0_20block_sort_algorithmE0EEENS0_14default_configENS1_37merge_sort_block_sort_config_selectorIjN6thrust23THRUST_200600_302600_NS5tupleIffNSF_9null_typeESH_SH_SH_SH_SH_SH_SH_EEEENS1_38merge_sort_block_merge_config_selectorIjSI_EEEEvv
	.p2align	8
	.type	_ZN7rocprim17ROCPRIM_400000_NS6detail44device_merge_sort_compile_time_verifier_archINS1_11comp_targetILNS1_3genE0ELNS1_11target_archE4294967295ELNS1_3gpuE0ELNS1_3repE0EEES8_NS1_28merge_sort_block_sort_configILj256ELj4ELNS0_20block_sort_algorithmE0EEENS0_14default_configENS1_37merge_sort_block_sort_config_selectorIjN6thrust23THRUST_200600_302600_NS5tupleIffNSF_9null_typeESH_SH_SH_SH_SH_SH_SH_EEEENS1_38merge_sort_block_merge_config_selectorIjSI_EEEEvv,@function
_ZN7rocprim17ROCPRIM_400000_NS6detail44device_merge_sort_compile_time_verifier_archINS1_11comp_targetILNS1_3genE0ELNS1_11target_archE4294967295ELNS1_3gpuE0ELNS1_3repE0EEES8_NS1_28merge_sort_block_sort_configILj256ELj4ELNS0_20block_sort_algorithmE0EEENS0_14default_configENS1_37merge_sort_block_sort_config_selectorIjN6thrust23THRUST_200600_302600_NS5tupleIffNSF_9null_typeESH_SH_SH_SH_SH_SH_SH_EEEENS1_38merge_sort_block_merge_config_selectorIjSI_EEEEvv: ; @_ZN7rocprim17ROCPRIM_400000_NS6detail44device_merge_sort_compile_time_verifier_archINS1_11comp_targetILNS1_3genE0ELNS1_11target_archE4294967295ELNS1_3gpuE0ELNS1_3repE0EEES8_NS1_28merge_sort_block_sort_configILj256ELj4ELNS0_20block_sort_algorithmE0EEENS0_14default_configENS1_37merge_sort_block_sort_config_selectorIjN6thrust23THRUST_200600_302600_NS5tupleIffNSF_9null_typeESH_SH_SH_SH_SH_SH_SH_EEEENS1_38merge_sort_block_merge_config_selectorIjSI_EEEEvv
; %bb.0:
	s_endpgm
	.section	.rodata,"a",@progbits
	.p2align	6, 0x0
	.amdhsa_kernel _ZN7rocprim17ROCPRIM_400000_NS6detail44device_merge_sort_compile_time_verifier_archINS1_11comp_targetILNS1_3genE0ELNS1_11target_archE4294967295ELNS1_3gpuE0ELNS1_3repE0EEES8_NS1_28merge_sort_block_sort_configILj256ELj4ELNS0_20block_sort_algorithmE0EEENS0_14default_configENS1_37merge_sort_block_sort_config_selectorIjN6thrust23THRUST_200600_302600_NS5tupleIffNSF_9null_typeESH_SH_SH_SH_SH_SH_SH_EEEENS1_38merge_sort_block_merge_config_selectorIjSI_EEEEvv
		.amdhsa_group_segment_fixed_size 0
		.amdhsa_private_segment_fixed_size 0
		.amdhsa_kernarg_size 0
		.amdhsa_user_sgpr_count 4
		.amdhsa_user_sgpr_private_segment_buffer 1
		.amdhsa_user_sgpr_dispatch_ptr 0
		.amdhsa_user_sgpr_queue_ptr 0
		.amdhsa_user_sgpr_kernarg_segment_ptr 0
		.amdhsa_user_sgpr_dispatch_id 0
		.amdhsa_user_sgpr_flat_scratch_init 0
		.amdhsa_user_sgpr_private_segment_size 0
		.amdhsa_wavefront_size32 1
		.amdhsa_uses_dynamic_stack 0
		.amdhsa_system_sgpr_private_segment_wavefront_offset 0
		.amdhsa_system_sgpr_workgroup_id_x 1
		.amdhsa_system_sgpr_workgroup_id_y 0
		.amdhsa_system_sgpr_workgroup_id_z 0
		.amdhsa_system_sgpr_workgroup_info 0
		.amdhsa_system_vgpr_workitem_id 0
		.amdhsa_next_free_vgpr 1
		.amdhsa_next_free_sgpr 1
		.amdhsa_reserve_vcc 0
		.amdhsa_reserve_flat_scratch 0
		.amdhsa_float_round_mode_32 0
		.amdhsa_float_round_mode_16_64 0
		.amdhsa_float_denorm_mode_32 3
		.amdhsa_float_denorm_mode_16_64 3
		.amdhsa_dx10_clamp 1
		.amdhsa_ieee_mode 1
		.amdhsa_fp16_overflow 0
		.amdhsa_workgroup_processor_mode 1
		.amdhsa_memory_ordered 1
		.amdhsa_forward_progress 1
		.amdhsa_shared_vgpr_count 0
		.amdhsa_exception_fp_ieee_invalid_op 0
		.amdhsa_exception_fp_denorm_src 0
		.amdhsa_exception_fp_ieee_div_zero 0
		.amdhsa_exception_fp_ieee_overflow 0
		.amdhsa_exception_fp_ieee_underflow 0
		.amdhsa_exception_fp_ieee_inexact 0
		.amdhsa_exception_int_div_zero 0
	.end_amdhsa_kernel
	.section	.text._ZN7rocprim17ROCPRIM_400000_NS6detail44device_merge_sort_compile_time_verifier_archINS1_11comp_targetILNS1_3genE0ELNS1_11target_archE4294967295ELNS1_3gpuE0ELNS1_3repE0EEES8_NS1_28merge_sort_block_sort_configILj256ELj4ELNS0_20block_sort_algorithmE0EEENS0_14default_configENS1_37merge_sort_block_sort_config_selectorIjN6thrust23THRUST_200600_302600_NS5tupleIffNSF_9null_typeESH_SH_SH_SH_SH_SH_SH_EEEENS1_38merge_sort_block_merge_config_selectorIjSI_EEEEvv,"axG",@progbits,_ZN7rocprim17ROCPRIM_400000_NS6detail44device_merge_sort_compile_time_verifier_archINS1_11comp_targetILNS1_3genE0ELNS1_11target_archE4294967295ELNS1_3gpuE0ELNS1_3repE0EEES8_NS1_28merge_sort_block_sort_configILj256ELj4ELNS0_20block_sort_algorithmE0EEENS0_14default_configENS1_37merge_sort_block_sort_config_selectorIjN6thrust23THRUST_200600_302600_NS5tupleIffNSF_9null_typeESH_SH_SH_SH_SH_SH_SH_EEEENS1_38merge_sort_block_merge_config_selectorIjSI_EEEEvv,comdat
.Lfunc_end16:
	.size	_ZN7rocprim17ROCPRIM_400000_NS6detail44device_merge_sort_compile_time_verifier_archINS1_11comp_targetILNS1_3genE0ELNS1_11target_archE4294967295ELNS1_3gpuE0ELNS1_3repE0EEES8_NS1_28merge_sort_block_sort_configILj256ELj4ELNS0_20block_sort_algorithmE0EEENS0_14default_configENS1_37merge_sort_block_sort_config_selectorIjN6thrust23THRUST_200600_302600_NS5tupleIffNSF_9null_typeESH_SH_SH_SH_SH_SH_SH_EEEENS1_38merge_sort_block_merge_config_selectorIjSI_EEEEvv, .Lfunc_end16-_ZN7rocprim17ROCPRIM_400000_NS6detail44device_merge_sort_compile_time_verifier_archINS1_11comp_targetILNS1_3genE0ELNS1_11target_archE4294967295ELNS1_3gpuE0ELNS1_3repE0EEES8_NS1_28merge_sort_block_sort_configILj256ELj4ELNS0_20block_sort_algorithmE0EEENS0_14default_configENS1_37merge_sort_block_sort_config_selectorIjN6thrust23THRUST_200600_302600_NS5tupleIffNSF_9null_typeESH_SH_SH_SH_SH_SH_SH_EEEENS1_38merge_sort_block_merge_config_selectorIjSI_EEEEvv
                                        ; -- End function
	.set _ZN7rocprim17ROCPRIM_400000_NS6detail44device_merge_sort_compile_time_verifier_archINS1_11comp_targetILNS1_3genE0ELNS1_11target_archE4294967295ELNS1_3gpuE0ELNS1_3repE0EEES8_NS1_28merge_sort_block_sort_configILj256ELj4ELNS0_20block_sort_algorithmE0EEENS0_14default_configENS1_37merge_sort_block_sort_config_selectorIjN6thrust23THRUST_200600_302600_NS5tupleIffNSF_9null_typeESH_SH_SH_SH_SH_SH_SH_EEEENS1_38merge_sort_block_merge_config_selectorIjSI_EEEEvv.num_vgpr, 0
	.set _ZN7rocprim17ROCPRIM_400000_NS6detail44device_merge_sort_compile_time_verifier_archINS1_11comp_targetILNS1_3genE0ELNS1_11target_archE4294967295ELNS1_3gpuE0ELNS1_3repE0EEES8_NS1_28merge_sort_block_sort_configILj256ELj4ELNS0_20block_sort_algorithmE0EEENS0_14default_configENS1_37merge_sort_block_sort_config_selectorIjN6thrust23THRUST_200600_302600_NS5tupleIffNSF_9null_typeESH_SH_SH_SH_SH_SH_SH_EEEENS1_38merge_sort_block_merge_config_selectorIjSI_EEEEvv.num_agpr, 0
	.set _ZN7rocprim17ROCPRIM_400000_NS6detail44device_merge_sort_compile_time_verifier_archINS1_11comp_targetILNS1_3genE0ELNS1_11target_archE4294967295ELNS1_3gpuE0ELNS1_3repE0EEES8_NS1_28merge_sort_block_sort_configILj256ELj4ELNS0_20block_sort_algorithmE0EEENS0_14default_configENS1_37merge_sort_block_sort_config_selectorIjN6thrust23THRUST_200600_302600_NS5tupleIffNSF_9null_typeESH_SH_SH_SH_SH_SH_SH_EEEENS1_38merge_sort_block_merge_config_selectorIjSI_EEEEvv.numbered_sgpr, 0
	.set _ZN7rocprim17ROCPRIM_400000_NS6detail44device_merge_sort_compile_time_verifier_archINS1_11comp_targetILNS1_3genE0ELNS1_11target_archE4294967295ELNS1_3gpuE0ELNS1_3repE0EEES8_NS1_28merge_sort_block_sort_configILj256ELj4ELNS0_20block_sort_algorithmE0EEENS0_14default_configENS1_37merge_sort_block_sort_config_selectorIjN6thrust23THRUST_200600_302600_NS5tupleIffNSF_9null_typeESH_SH_SH_SH_SH_SH_SH_EEEENS1_38merge_sort_block_merge_config_selectorIjSI_EEEEvv.num_named_barrier, 0
	.set _ZN7rocprim17ROCPRIM_400000_NS6detail44device_merge_sort_compile_time_verifier_archINS1_11comp_targetILNS1_3genE0ELNS1_11target_archE4294967295ELNS1_3gpuE0ELNS1_3repE0EEES8_NS1_28merge_sort_block_sort_configILj256ELj4ELNS0_20block_sort_algorithmE0EEENS0_14default_configENS1_37merge_sort_block_sort_config_selectorIjN6thrust23THRUST_200600_302600_NS5tupleIffNSF_9null_typeESH_SH_SH_SH_SH_SH_SH_EEEENS1_38merge_sort_block_merge_config_selectorIjSI_EEEEvv.private_seg_size, 0
	.set _ZN7rocprim17ROCPRIM_400000_NS6detail44device_merge_sort_compile_time_verifier_archINS1_11comp_targetILNS1_3genE0ELNS1_11target_archE4294967295ELNS1_3gpuE0ELNS1_3repE0EEES8_NS1_28merge_sort_block_sort_configILj256ELj4ELNS0_20block_sort_algorithmE0EEENS0_14default_configENS1_37merge_sort_block_sort_config_selectorIjN6thrust23THRUST_200600_302600_NS5tupleIffNSF_9null_typeESH_SH_SH_SH_SH_SH_SH_EEEENS1_38merge_sort_block_merge_config_selectorIjSI_EEEEvv.uses_vcc, 0
	.set _ZN7rocprim17ROCPRIM_400000_NS6detail44device_merge_sort_compile_time_verifier_archINS1_11comp_targetILNS1_3genE0ELNS1_11target_archE4294967295ELNS1_3gpuE0ELNS1_3repE0EEES8_NS1_28merge_sort_block_sort_configILj256ELj4ELNS0_20block_sort_algorithmE0EEENS0_14default_configENS1_37merge_sort_block_sort_config_selectorIjN6thrust23THRUST_200600_302600_NS5tupleIffNSF_9null_typeESH_SH_SH_SH_SH_SH_SH_EEEENS1_38merge_sort_block_merge_config_selectorIjSI_EEEEvv.uses_flat_scratch, 0
	.set _ZN7rocprim17ROCPRIM_400000_NS6detail44device_merge_sort_compile_time_verifier_archINS1_11comp_targetILNS1_3genE0ELNS1_11target_archE4294967295ELNS1_3gpuE0ELNS1_3repE0EEES8_NS1_28merge_sort_block_sort_configILj256ELj4ELNS0_20block_sort_algorithmE0EEENS0_14default_configENS1_37merge_sort_block_sort_config_selectorIjN6thrust23THRUST_200600_302600_NS5tupleIffNSF_9null_typeESH_SH_SH_SH_SH_SH_SH_EEEENS1_38merge_sort_block_merge_config_selectorIjSI_EEEEvv.has_dyn_sized_stack, 0
	.set _ZN7rocprim17ROCPRIM_400000_NS6detail44device_merge_sort_compile_time_verifier_archINS1_11comp_targetILNS1_3genE0ELNS1_11target_archE4294967295ELNS1_3gpuE0ELNS1_3repE0EEES8_NS1_28merge_sort_block_sort_configILj256ELj4ELNS0_20block_sort_algorithmE0EEENS0_14default_configENS1_37merge_sort_block_sort_config_selectorIjN6thrust23THRUST_200600_302600_NS5tupleIffNSF_9null_typeESH_SH_SH_SH_SH_SH_SH_EEEENS1_38merge_sort_block_merge_config_selectorIjSI_EEEEvv.has_recursion, 0
	.set _ZN7rocprim17ROCPRIM_400000_NS6detail44device_merge_sort_compile_time_verifier_archINS1_11comp_targetILNS1_3genE0ELNS1_11target_archE4294967295ELNS1_3gpuE0ELNS1_3repE0EEES8_NS1_28merge_sort_block_sort_configILj256ELj4ELNS0_20block_sort_algorithmE0EEENS0_14default_configENS1_37merge_sort_block_sort_config_selectorIjN6thrust23THRUST_200600_302600_NS5tupleIffNSF_9null_typeESH_SH_SH_SH_SH_SH_SH_EEEENS1_38merge_sort_block_merge_config_selectorIjSI_EEEEvv.has_indirect_call, 0
	.section	.AMDGPU.csdata,"",@progbits
; Kernel info:
; codeLenInByte = 4
; TotalNumSgprs: 0
; NumVgprs: 0
; ScratchSize: 0
; MemoryBound: 0
; FloatMode: 240
; IeeeMode: 1
; LDSByteSize: 0 bytes/workgroup (compile time only)
; SGPRBlocks: 0
; VGPRBlocks: 0
; NumSGPRsForWavesPerEU: 1
; NumVGPRsForWavesPerEU: 1
; Occupancy: 16
; WaveLimiterHint : 0
; COMPUTE_PGM_RSRC2:SCRATCH_EN: 0
; COMPUTE_PGM_RSRC2:USER_SGPR: 4
; COMPUTE_PGM_RSRC2:TRAP_HANDLER: 0
; COMPUTE_PGM_RSRC2:TGID_X_EN: 1
; COMPUTE_PGM_RSRC2:TGID_Y_EN: 0
; COMPUTE_PGM_RSRC2:TGID_Z_EN: 0
; COMPUTE_PGM_RSRC2:TIDIG_COMP_CNT: 0
	.section	.text._ZN7rocprim17ROCPRIM_400000_NS6detail44device_merge_sort_compile_time_verifier_archINS1_11comp_targetILNS1_3genE5ELNS1_11target_archE942ELNS1_3gpuE9ELNS1_3repE0EEES8_NS1_28merge_sort_block_sort_configILj256ELj4ELNS0_20block_sort_algorithmE0EEENS0_14default_configENS1_37merge_sort_block_sort_config_selectorIjN6thrust23THRUST_200600_302600_NS5tupleIffNSF_9null_typeESH_SH_SH_SH_SH_SH_SH_EEEENS1_38merge_sort_block_merge_config_selectorIjSI_EEEEvv,"axG",@progbits,_ZN7rocprim17ROCPRIM_400000_NS6detail44device_merge_sort_compile_time_verifier_archINS1_11comp_targetILNS1_3genE5ELNS1_11target_archE942ELNS1_3gpuE9ELNS1_3repE0EEES8_NS1_28merge_sort_block_sort_configILj256ELj4ELNS0_20block_sort_algorithmE0EEENS0_14default_configENS1_37merge_sort_block_sort_config_selectorIjN6thrust23THRUST_200600_302600_NS5tupleIffNSF_9null_typeESH_SH_SH_SH_SH_SH_SH_EEEENS1_38merge_sort_block_merge_config_selectorIjSI_EEEEvv,comdat
	.protected	_ZN7rocprim17ROCPRIM_400000_NS6detail44device_merge_sort_compile_time_verifier_archINS1_11comp_targetILNS1_3genE5ELNS1_11target_archE942ELNS1_3gpuE9ELNS1_3repE0EEES8_NS1_28merge_sort_block_sort_configILj256ELj4ELNS0_20block_sort_algorithmE0EEENS0_14default_configENS1_37merge_sort_block_sort_config_selectorIjN6thrust23THRUST_200600_302600_NS5tupleIffNSF_9null_typeESH_SH_SH_SH_SH_SH_SH_EEEENS1_38merge_sort_block_merge_config_selectorIjSI_EEEEvv ; -- Begin function _ZN7rocprim17ROCPRIM_400000_NS6detail44device_merge_sort_compile_time_verifier_archINS1_11comp_targetILNS1_3genE5ELNS1_11target_archE942ELNS1_3gpuE9ELNS1_3repE0EEES8_NS1_28merge_sort_block_sort_configILj256ELj4ELNS0_20block_sort_algorithmE0EEENS0_14default_configENS1_37merge_sort_block_sort_config_selectorIjN6thrust23THRUST_200600_302600_NS5tupleIffNSF_9null_typeESH_SH_SH_SH_SH_SH_SH_EEEENS1_38merge_sort_block_merge_config_selectorIjSI_EEEEvv
	.globl	_ZN7rocprim17ROCPRIM_400000_NS6detail44device_merge_sort_compile_time_verifier_archINS1_11comp_targetILNS1_3genE5ELNS1_11target_archE942ELNS1_3gpuE9ELNS1_3repE0EEES8_NS1_28merge_sort_block_sort_configILj256ELj4ELNS0_20block_sort_algorithmE0EEENS0_14default_configENS1_37merge_sort_block_sort_config_selectorIjN6thrust23THRUST_200600_302600_NS5tupleIffNSF_9null_typeESH_SH_SH_SH_SH_SH_SH_EEEENS1_38merge_sort_block_merge_config_selectorIjSI_EEEEvv
	.p2align	8
	.type	_ZN7rocprim17ROCPRIM_400000_NS6detail44device_merge_sort_compile_time_verifier_archINS1_11comp_targetILNS1_3genE5ELNS1_11target_archE942ELNS1_3gpuE9ELNS1_3repE0EEES8_NS1_28merge_sort_block_sort_configILj256ELj4ELNS0_20block_sort_algorithmE0EEENS0_14default_configENS1_37merge_sort_block_sort_config_selectorIjN6thrust23THRUST_200600_302600_NS5tupleIffNSF_9null_typeESH_SH_SH_SH_SH_SH_SH_EEEENS1_38merge_sort_block_merge_config_selectorIjSI_EEEEvv,@function
_ZN7rocprim17ROCPRIM_400000_NS6detail44device_merge_sort_compile_time_verifier_archINS1_11comp_targetILNS1_3genE5ELNS1_11target_archE942ELNS1_3gpuE9ELNS1_3repE0EEES8_NS1_28merge_sort_block_sort_configILj256ELj4ELNS0_20block_sort_algorithmE0EEENS0_14default_configENS1_37merge_sort_block_sort_config_selectorIjN6thrust23THRUST_200600_302600_NS5tupleIffNSF_9null_typeESH_SH_SH_SH_SH_SH_SH_EEEENS1_38merge_sort_block_merge_config_selectorIjSI_EEEEvv: ; @_ZN7rocprim17ROCPRIM_400000_NS6detail44device_merge_sort_compile_time_verifier_archINS1_11comp_targetILNS1_3genE5ELNS1_11target_archE942ELNS1_3gpuE9ELNS1_3repE0EEES8_NS1_28merge_sort_block_sort_configILj256ELj4ELNS0_20block_sort_algorithmE0EEENS0_14default_configENS1_37merge_sort_block_sort_config_selectorIjN6thrust23THRUST_200600_302600_NS5tupleIffNSF_9null_typeESH_SH_SH_SH_SH_SH_SH_EEEENS1_38merge_sort_block_merge_config_selectorIjSI_EEEEvv
; %bb.0:
	s_endpgm
	.section	.rodata,"a",@progbits
	.p2align	6, 0x0
	.amdhsa_kernel _ZN7rocprim17ROCPRIM_400000_NS6detail44device_merge_sort_compile_time_verifier_archINS1_11comp_targetILNS1_3genE5ELNS1_11target_archE942ELNS1_3gpuE9ELNS1_3repE0EEES8_NS1_28merge_sort_block_sort_configILj256ELj4ELNS0_20block_sort_algorithmE0EEENS0_14default_configENS1_37merge_sort_block_sort_config_selectorIjN6thrust23THRUST_200600_302600_NS5tupleIffNSF_9null_typeESH_SH_SH_SH_SH_SH_SH_EEEENS1_38merge_sort_block_merge_config_selectorIjSI_EEEEvv
		.amdhsa_group_segment_fixed_size 0
		.amdhsa_private_segment_fixed_size 0
		.amdhsa_kernarg_size 0
		.amdhsa_user_sgpr_count 4
		.amdhsa_user_sgpr_private_segment_buffer 1
		.amdhsa_user_sgpr_dispatch_ptr 0
		.amdhsa_user_sgpr_queue_ptr 0
		.amdhsa_user_sgpr_kernarg_segment_ptr 0
		.amdhsa_user_sgpr_dispatch_id 0
		.amdhsa_user_sgpr_flat_scratch_init 0
		.amdhsa_user_sgpr_private_segment_size 0
		.amdhsa_wavefront_size32 1
		.amdhsa_uses_dynamic_stack 0
		.amdhsa_system_sgpr_private_segment_wavefront_offset 0
		.amdhsa_system_sgpr_workgroup_id_x 1
		.amdhsa_system_sgpr_workgroup_id_y 0
		.amdhsa_system_sgpr_workgroup_id_z 0
		.amdhsa_system_sgpr_workgroup_info 0
		.amdhsa_system_vgpr_workitem_id 0
		.amdhsa_next_free_vgpr 1
		.amdhsa_next_free_sgpr 1
		.amdhsa_reserve_vcc 0
		.amdhsa_reserve_flat_scratch 0
		.amdhsa_float_round_mode_32 0
		.amdhsa_float_round_mode_16_64 0
		.amdhsa_float_denorm_mode_32 3
		.amdhsa_float_denorm_mode_16_64 3
		.amdhsa_dx10_clamp 1
		.amdhsa_ieee_mode 1
		.amdhsa_fp16_overflow 0
		.amdhsa_workgroup_processor_mode 1
		.amdhsa_memory_ordered 1
		.amdhsa_forward_progress 1
		.amdhsa_shared_vgpr_count 0
		.amdhsa_exception_fp_ieee_invalid_op 0
		.amdhsa_exception_fp_denorm_src 0
		.amdhsa_exception_fp_ieee_div_zero 0
		.amdhsa_exception_fp_ieee_overflow 0
		.amdhsa_exception_fp_ieee_underflow 0
		.amdhsa_exception_fp_ieee_inexact 0
		.amdhsa_exception_int_div_zero 0
	.end_amdhsa_kernel
	.section	.text._ZN7rocprim17ROCPRIM_400000_NS6detail44device_merge_sort_compile_time_verifier_archINS1_11comp_targetILNS1_3genE5ELNS1_11target_archE942ELNS1_3gpuE9ELNS1_3repE0EEES8_NS1_28merge_sort_block_sort_configILj256ELj4ELNS0_20block_sort_algorithmE0EEENS0_14default_configENS1_37merge_sort_block_sort_config_selectorIjN6thrust23THRUST_200600_302600_NS5tupleIffNSF_9null_typeESH_SH_SH_SH_SH_SH_SH_EEEENS1_38merge_sort_block_merge_config_selectorIjSI_EEEEvv,"axG",@progbits,_ZN7rocprim17ROCPRIM_400000_NS6detail44device_merge_sort_compile_time_verifier_archINS1_11comp_targetILNS1_3genE5ELNS1_11target_archE942ELNS1_3gpuE9ELNS1_3repE0EEES8_NS1_28merge_sort_block_sort_configILj256ELj4ELNS0_20block_sort_algorithmE0EEENS0_14default_configENS1_37merge_sort_block_sort_config_selectorIjN6thrust23THRUST_200600_302600_NS5tupleIffNSF_9null_typeESH_SH_SH_SH_SH_SH_SH_EEEENS1_38merge_sort_block_merge_config_selectorIjSI_EEEEvv,comdat
.Lfunc_end17:
	.size	_ZN7rocprim17ROCPRIM_400000_NS6detail44device_merge_sort_compile_time_verifier_archINS1_11comp_targetILNS1_3genE5ELNS1_11target_archE942ELNS1_3gpuE9ELNS1_3repE0EEES8_NS1_28merge_sort_block_sort_configILj256ELj4ELNS0_20block_sort_algorithmE0EEENS0_14default_configENS1_37merge_sort_block_sort_config_selectorIjN6thrust23THRUST_200600_302600_NS5tupleIffNSF_9null_typeESH_SH_SH_SH_SH_SH_SH_EEEENS1_38merge_sort_block_merge_config_selectorIjSI_EEEEvv, .Lfunc_end17-_ZN7rocprim17ROCPRIM_400000_NS6detail44device_merge_sort_compile_time_verifier_archINS1_11comp_targetILNS1_3genE5ELNS1_11target_archE942ELNS1_3gpuE9ELNS1_3repE0EEES8_NS1_28merge_sort_block_sort_configILj256ELj4ELNS0_20block_sort_algorithmE0EEENS0_14default_configENS1_37merge_sort_block_sort_config_selectorIjN6thrust23THRUST_200600_302600_NS5tupleIffNSF_9null_typeESH_SH_SH_SH_SH_SH_SH_EEEENS1_38merge_sort_block_merge_config_selectorIjSI_EEEEvv
                                        ; -- End function
	.set _ZN7rocprim17ROCPRIM_400000_NS6detail44device_merge_sort_compile_time_verifier_archINS1_11comp_targetILNS1_3genE5ELNS1_11target_archE942ELNS1_3gpuE9ELNS1_3repE0EEES8_NS1_28merge_sort_block_sort_configILj256ELj4ELNS0_20block_sort_algorithmE0EEENS0_14default_configENS1_37merge_sort_block_sort_config_selectorIjN6thrust23THRUST_200600_302600_NS5tupleIffNSF_9null_typeESH_SH_SH_SH_SH_SH_SH_EEEENS1_38merge_sort_block_merge_config_selectorIjSI_EEEEvv.num_vgpr, 0
	.set _ZN7rocprim17ROCPRIM_400000_NS6detail44device_merge_sort_compile_time_verifier_archINS1_11comp_targetILNS1_3genE5ELNS1_11target_archE942ELNS1_3gpuE9ELNS1_3repE0EEES8_NS1_28merge_sort_block_sort_configILj256ELj4ELNS0_20block_sort_algorithmE0EEENS0_14default_configENS1_37merge_sort_block_sort_config_selectorIjN6thrust23THRUST_200600_302600_NS5tupleIffNSF_9null_typeESH_SH_SH_SH_SH_SH_SH_EEEENS1_38merge_sort_block_merge_config_selectorIjSI_EEEEvv.num_agpr, 0
	.set _ZN7rocprim17ROCPRIM_400000_NS6detail44device_merge_sort_compile_time_verifier_archINS1_11comp_targetILNS1_3genE5ELNS1_11target_archE942ELNS1_3gpuE9ELNS1_3repE0EEES8_NS1_28merge_sort_block_sort_configILj256ELj4ELNS0_20block_sort_algorithmE0EEENS0_14default_configENS1_37merge_sort_block_sort_config_selectorIjN6thrust23THRUST_200600_302600_NS5tupleIffNSF_9null_typeESH_SH_SH_SH_SH_SH_SH_EEEENS1_38merge_sort_block_merge_config_selectorIjSI_EEEEvv.numbered_sgpr, 0
	.set _ZN7rocprim17ROCPRIM_400000_NS6detail44device_merge_sort_compile_time_verifier_archINS1_11comp_targetILNS1_3genE5ELNS1_11target_archE942ELNS1_3gpuE9ELNS1_3repE0EEES8_NS1_28merge_sort_block_sort_configILj256ELj4ELNS0_20block_sort_algorithmE0EEENS0_14default_configENS1_37merge_sort_block_sort_config_selectorIjN6thrust23THRUST_200600_302600_NS5tupleIffNSF_9null_typeESH_SH_SH_SH_SH_SH_SH_EEEENS1_38merge_sort_block_merge_config_selectorIjSI_EEEEvv.num_named_barrier, 0
	.set _ZN7rocprim17ROCPRIM_400000_NS6detail44device_merge_sort_compile_time_verifier_archINS1_11comp_targetILNS1_3genE5ELNS1_11target_archE942ELNS1_3gpuE9ELNS1_3repE0EEES8_NS1_28merge_sort_block_sort_configILj256ELj4ELNS0_20block_sort_algorithmE0EEENS0_14default_configENS1_37merge_sort_block_sort_config_selectorIjN6thrust23THRUST_200600_302600_NS5tupleIffNSF_9null_typeESH_SH_SH_SH_SH_SH_SH_EEEENS1_38merge_sort_block_merge_config_selectorIjSI_EEEEvv.private_seg_size, 0
	.set _ZN7rocprim17ROCPRIM_400000_NS6detail44device_merge_sort_compile_time_verifier_archINS1_11comp_targetILNS1_3genE5ELNS1_11target_archE942ELNS1_3gpuE9ELNS1_3repE0EEES8_NS1_28merge_sort_block_sort_configILj256ELj4ELNS0_20block_sort_algorithmE0EEENS0_14default_configENS1_37merge_sort_block_sort_config_selectorIjN6thrust23THRUST_200600_302600_NS5tupleIffNSF_9null_typeESH_SH_SH_SH_SH_SH_SH_EEEENS1_38merge_sort_block_merge_config_selectorIjSI_EEEEvv.uses_vcc, 0
	.set _ZN7rocprim17ROCPRIM_400000_NS6detail44device_merge_sort_compile_time_verifier_archINS1_11comp_targetILNS1_3genE5ELNS1_11target_archE942ELNS1_3gpuE9ELNS1_3repE0EEES8_NS1_28merge_sort_block_sort_configILj256ELj4ELNS0_20block_sort_algorithmE0EEENS0_14default_configENS1_37merge_sort_block_sort_config_selectorIjN6thrust23THRUST_200600_302600_NS5tupleIffNSF_9null_typeESH_SH_SH_SH_SH_SH_SH_EEEENS1_38merge_sort_block_merge_config_selectorIjSI_EEEEvv.uses_flat_scratch, 0
	.set _ZN7rocprim17ROCPRIM_400000_NS6detail44device_merge_sort_compile_time_verifier_archINS1_11comp_targetILNS1_3genE5ELNS1_11target_archE942ELNS1_3gpuE9ELNS1_3repE0EEES8_NS1_28merge_sort_block_sort_configILj256ELj4ELNS0_20block_sort_algorithmE0EEENS0_14default_configENS1_37merge_sort_block_sort_config_selectorIjN6thrust23THRUST_200600_302600_NS5tupleIffNSF_9null_typeESH_SH_SH_SH_SH_SH_SH_EEEENS1_38merge_sort_block_merge_config_selectorIjSI_EEEEvv.has_dyn_sized_stack, 0
	.set _ZN7rocprim17ROCPRIM_400000_NS6detail44device_merge_sort_compile_time_verifier_archINS1_11comp_targetILNS1_3genE5ELNS1_11target_archE942ELNS1_3gpuE9ELNS1_3repE0EEES8_NS1_28merge_sort_block_sort_configILj256ELj4ELNS0_20block_sort_algorithmE0EEENS0_14default_configENS1_37merge_sort_block_sort_config_selectorIjN6thrust23THRUST_200600_302600_NS5tupleIffNSF_9null_typeESH_SH_SH_SH_SH_SH_SH_EEEENS1_38merge_sort_block_merge_config_selectorIjSI_EEEEvv.has_recursion, 0
	.set _ZN7rocprim17ROCPRIM_400000_NS6detail44device_merge_sort_compile_time_verifier_archINS1_11comp_targetILNS1_3genE5ELNS1_11target_archE942ELNS1_3gpuE9ELNS1_3repE0EEES8_NS1_28merge_sort_block_sort_configILj256ELj4ELNS0_20block_sort_algorithmE0EEENS0_14default_configENS1_37merge_sort_block_sort_config_selectorIjN6thrust23THRUST_200600_302600_NS5tupleIffNSF_9null_typeESH_SH_SH_SH_SH_SH_SH_EEEENS1_38merge_sort_block_merge_config_selectorIjSI_EEEEvv.has_indirect_call, 0
	.section	.AMDGPU.csdata,"",@progbits
; Kernel info:
; codeLenInByte = 4
; TotalNumSgprs: 0
; NumVgprs: 0
; ScratchSize: 0
; MemoryBound: 0
; FloatMode: 240
; IeeeMode: 1
; LDSByteSize: 0 bytes/workgroup (compile time only)
; SGPRBlocks: 0
; VGPRBlocks: 0
; NumSGPRsForWavesPerEU: 1
; NumVGPRsForWavesPerEU: 1
; Occupancy: 16
; WaveLimiterHint : 0
; COMPUTE_PGM_RSRC2:SCRATCH_EN: 0
; COMPUTE_PGM_RSRC2:USER_SGPR: 4
; COMPUTE_PGM_RSRC2:TRAP_HANDLER: 0
; COMPUTE_PGM_RSRC2:TGID_X_EN: 1
; COMPUTE_PGM_RSRC2:TGID_Y_EN: 0
; COMPUTE_PGM_RSRC2:TGID_Z_EN: 0
; COMPUTE_PGM_RSRC2:TIDIG_COMP_CNT: 0
	.section	.text._ZN7rocprim17ROCPRIM_400000_NS6detail44device_merge_sort_compile_time_verifier_archINS1_11comp_targetILNS1_3genE4ELNS1_11target_archE910ELNS1_3gpuE8ELNS1_3repE0EEES8_NS1_28merge_sort_block_sort_configILj256ELj4ELNS0_20block_sort_algorithmE0EEENS0_14default_configENS1_37merge_sort_block_sort_config_selectorIjN6thrust23THRUST_200600_302600_NS5tupleIffNSF_9null_typeESH_SH_SH_SH_SH_SH_SH_EEEENS1_38merge_sort_block_merge_config_selectorIjSI_EEEEvv,"axG",@progbits,_ZN7rocprim17ROCPRIM_400000_NS6detail44device_merge_sort_compile_time_verifier_archINS1_11comp_targetILNS1_3genE4ELNS1_11target_archE910ELNS1_3gpuE8ELNS1_3repE0EEES8_NS1_28merge_sort_block_sort_configILj256ELj4ELNS0_20block_sort_algorithmE0EEENS0_14default_configENS1_37merge_sort_block_sort_config_selectorIjN6thrust23THRUST_200600_302600_NS5tupleIffNSF_9null_typeESH_SH_SH_SH_SH_SH_SH_EEEENS1_38merge_sort_block_merge_config_selectorIjSI_EEEEvv,comdat
	.protected	_ZN7rocprim17ROCPRIM_400000_NS6detail44device_merge_sort_compile_time_verifier_archINS1_11comp_targetILNS1_3genE4ELNS1_11target_archE910ELNS1_3gpuE8ELNS1_3repE0EEES8_NS1_28merge_sort_block_sort_configILj256ELj4ELNS0_20block_sort_algorithmE0EEENS0_14default_configENS1_37merge_sort_block_sort_config_selectorIjN6thrust23THRUST_200600_302600_NS5tupleIffNSF_9null_typeESH_SH_SH_SH_SH_SH_SH_EEEENS1_38merge_sort_block_merge_config_selectorIjSI_EEEEvv ; -- Begin function _ZN7rocprim17ROCPRIM_400000_NS6detail44device_merge_sort_compile_time_verifier_archINS1_11comp_targetILNS1_3genE4ELNS1_11target_archE910ELNS1_3gpuE8ELNS1_3repE0EEES8_NS1_28merge_sort_block_sort_configILj256ELj4ELNS0_20block_sort_algorithmE0EEENS0_14default_configENS1_37merge_sort_block_sort_config_selectorIjN6thrust23THRUST_200600_302600_NS5tupleIffNSF_9null_typeESH_SH_SH_SH_SH_SH_SH_EEEENS1_38merge_sort_block_merge_config_selectorIjSI_EEEEvv
	.globl	_ZN7rocprim17ROCPRIM_400000_NS6detail44device_merge_sort_compile_time_verifier_archINS1_11comp_targetILNS1_3genE4ELNS1_11target_archE910ELNS1_3gpuE8ELNS1_3repE0EEES8_NS1_28merge_sort_block_sort_configILj256ELj4ELNS0_20block_sort_algorithmE0EEENS0_14default_configENS1_37merge_sort_block_sort_config_selectorIjN6thrust23THRUST_200600_302600_NS5tupleIffNSF_9null_typeESH_SH_SH_SH_SH_SH_SH_EEEENS1_38merge_sort_block_merge_config_selectorIjSI_EEEEvv
	.p2align	8
	.type	_ZN7rocprim17ROCPRIM_400000_NS6detail44device_merge_sort_compile_time_verifier_archINS1_11comp_targetILNS1_3genE4ELNS1_11target_archE910ELNS1_3gpuE8ELNS1_3repE0EEES8_NS1_28merge_sort_block_sort_configILj256ELj4ELNS0_20block_sort_algorithmE0EEENS0_14default_configENS1_37merge_sort_block_sort_config_selectorIjN6thrust23THRUST_200600_302600_NS5tupleIffNSF_9null_typeESH_SH_SH_SH_SH_SH_SH_EEEENS1_38merge_sort_block_merge_config_selectorIjSI_EEEEvv,@function
_ZN7rocprim17ROCPRIM_400000_NS6detail44device_merge_sort_compile_time_verifier_archINS1_11comp_targetILNS1_3genE4ELNS1_11target_archE910ELNS1_3gpuE8ELNS1_3repE0EEES8_NS1_28merge_sort_block_sort_configILj256ELj4ELNS0_20block_sort_algorithmE0EEENS0_14default_configENS1_37merge_sort_block_sort_config_selectorIjN6thrust23THRUST_200600_302600_NS5tupleIffNSF_9null_typeESH_SH_SH_SH_SH_SH_SH_EEEENS1_38merge_sort_block_merge_config_selectorIjSI_EEEEvv: ; @_ZN7rocprim17ROCPRIM_400000_NS6detail44device_merge_sort_compile_time_verifier_archINS1_11comp_targetILNS1_3genE4ELNS1_11target_archE910ELNS1_3gpuE8ELNS1_3repE0EEES8_NS1_28merge_sort_block_sort_configILj256ELj4ELNS0_20block_sort_algorithmE0EEENS0_14default_configENS1_37merge_sort_block_sort_config_selectorIjN6thrust23THRUST_200600_302600_NS5tupleIffNSF_9null_typeESH_SH_SH_SH_SH_SH_SH_EEEENS1_38merge_sort_block_merge_config_selectorIjSI_EEEEvv
; %bb.0:
	s_endpgm
	.section	.rodata,"a",@progbits
	.p2align	6, 0x0
	.amdhsa_kernel _ZN7rocprim17ROCPRIM_400000_NS6detail44device_merge_sort_compile_time_verifier_archINS1_11comp_targetILNS1_3genE4ELNS1_11target_archE910ELNS1_3gpuE8ELNS1_3repE0EEES8_NS1_28merge_sort_block_sort_configILj256ELj4ELNS0_20block_sort_algorithmE0EEENS0_14default_configENS1_37merge_sort_block_sort_config_selectorIjN6thrust23THRUST_200600_302600_NS5tupleIffNSF_9null_typeESH_SH_SH_SH_SH_SH_SH_EEEENS1_38merge_sort_block_merge_config_selectorIjSI_EEEEvv
		.amdhsa_group_segment_fixed_size 0
		.amdhsa_private_segment_fixed_size 0
		.amdhsa_kernarg_size 0
		.amdhsa_user_sgpr_count 4
		.amdhsa_user_sgpr_private_segment_buffer 1
		.amdhsa_user_sgpr_dispatch_ptr 0
		.amdhsa_user_sgpr_queue_ptr 0
		.amdhsa_user_sgpr_kernarg_segment_ptr 0
		.amdhsa_user_sgpr_dispatch_id 0
		.amdhsa_user_sgpr_flat_scratch_init 0
		.amdhsa_user_sgpr_private_segment_size 0
		.amdhsa_wavefront_size32 1
		.amdhsa_uses_dynamic_stack 0
		.amdhsa_system_sgpr_private_segment_wavefront_offset 0
		.amdhsa_system_sgpr_workgroup_id_x 1
		.amdhsa_system_sgpr_workgroup_id_y 0
		.amdhsa_system_sgpr_workgroup_id_z 0
		.amdhsa_system_sgpr_workgroup_info 0
		.amdhsa_system_vgpr_workitem_id 0
		.amdhsa_next_free_vgpr 1
		.amdhsa_next_free_sgpr 1
		.amdhsa_reserve_vcc 0
		.amdhsa_reserve_flat_scratch 0
		.amdhsa_float_round_mode_32 0
		.amdhsa_float_round_mode_16_64 0
		.amdhsa_float_denorm_mode_32 3
		.amdhsa_float_denorm_mode_16_64 3
		.amdhsa_dx10_clamp 1
		.amdhsa_ieee_mode 1
		.amdhsa_fp16_overflow 0
		.amdhsa_workgroup_processor_mode 1
		.amdhsa_memory_ordered 1
		.amdhsa_forward_progress 1
		.amdhsa_shared_vgpr_count 0
		.amdhsa_exception_fp_ieee_invalid_op 0
		.amdhsa_exception_fp_denorm_src 0
		.amdhsa_exception_fp_ieee_div_zero 0
		.amdhsa_exception_fp_ieee_overflow 0
		.amdhsa_exception_fp_ieee_underflow 0
		.amdhsa_exception_fp_ieee_inexact 0
		.amdhsa_exception_int_div_zero 0
	.end_amdhsa_kernel
	.section	.text._ZN7rocprim17ROCPRIM_400000_NS6detail44device_merge_sort_compile_time_verifier_archINS1_11comp_targetILNS1_3genE4ELNS1_11target_archE910ELNS1_3gpuE8ELNS1_3repE0EEES8_NS1_28merge_sort_block_sort_configILj256ELj4ELNS0_20block_sort_algorithmE0EEENS0_14default_configENS1_37merge_sort_block_sort_config_selectorIjN6thrust23THRUST_200600_302600_NS5tupleIffNSF_9null_typeESH_SH_SH_SH_SH_SH_SH_EEEENS1_38merge_sort_block_merge_config_selectorIjSI_EEEEvv,"axG",@progbits,_ZN7rocprim17ROCPRIM_400000_NS6detail44device_merge_sort_compile_time_verifier_archINS1_11comp_targetILNS1_3genE4ELNS1_11target_archE910ELNS1_3gpuE8ELNS1_3repE0EEES8_NS1_28merge_sort_block_sort_configILj256ELj4ELNS0_20block_sort_algorithmE0EEENS0_14default_configENS1_37merge_sort_block_sort_config_selectorIjN6thrust23THRUST_200600_302600_NS5tupleIffNSF_9null_typeESH_SH_SH_SH_SH_SH_SH_EEEENS1_38merge_sort_block_merge_config_selectorIjSI_EEEEvv,comdat
.Lfunc_end18:
	.size	_ZN7rocprim17ROCPRIM_400000_NS6detail44device_merge_sort_compile_time_verifier_archINS1_11comp_targetILNS1_3genE4ELNS1_11target_archE910ELNS1_3gpuE8ELNS1_3repE0EEES8_NS1_28merge_sort_block_sort_configILj256ELj4ELNS0_20block_sort_algorithmE0EEENS0_14default_configENS1_37merge_sort_block_sort_config_selectorIjN6thrust23THRUST_200600_302600_NS5tupleIffNSF_9null_typeESH_SH_SH_SH_SH_SH_SH_EEEENS1_38merge_sort_block_merge_config_selectorIjSI_EEEEvv, .Lfunc_end18-_ZN7rocprim17ROCPRIM_400000_NS6detail44device_merge_sort_compile_time_verifier_archINS1_11comp_targetILNS1_3genE4ELNS1_11target_archE910ELNS1_3gpuE8ELNS1_3repE0EEES8_NS1_28merge_sort_block_sort_configILj256ELj4ELNS0_20block_sort_algorithmE0EEENS0_14default_configENS1_37merge_sort_block_sort_config_selectorIjN6thrust23THRUST_200600_302600_NS5tupleIffNSF_9null_typeESH_SH_SH_SH_SH_SH_SH_EEEENS1_38merge_sort_block_merge_config_selectorIjSI_EEEEvv
                                        ; -- End function
	.set _ZN7rocprim17ROCPRIM_400000_NS6detail44device_merge_sort_compile_time_verifier_archINS1_11comp_targetILNS1_3genE4ELNS1_11target_archE910ELNS1_3gpuE8ELNS1_3repE0EEES8_NS1_28merge_sort_block_sort_configILj256ELj4ELNS0_20block_sort_algorithmE0EEENS0_14default_configENS1_37merge_sort_block_sort_config_selectorIjN6thrust23THRUST_200600_302600_NS5tupleIffNSF_9null_typeESH_SH_SH_SH_SH_SH_SH_EEEENS1_38merge_sort_block_merge_config_selectorIjSI_EEEEvv.num_vgpr, 0
	.set _ZN7rocprim17ROCPRIM_400000_NS6detail44device_merge_sort_compile_time_verifier_archINS1_11comp_targetILNS1_3genE4ELNS1_11target_archE910ELNS1_3gpuE8ELNS1_3repE0EEES8_NS1_28merge_sort_block_sort_configILj256ELj4ELNS0_20block_sort_algorithmE0EEENS0_14default_configENS1_37merge_sort_block_sort_config_selectorIjN6thrust23THRUST_200600_302600_NS5tupleIffNSF_9null_typeESH_SH_SH_SH_SH_SH_SH_EEEENS1_38merge_sort_block_merge_config_selectorIjSI_EEEEvv.num_agpr, 0
	.set _ZN7rocprim17ROCPRIM_400000_NS6detail44device_merge_sort_compile_time_verifier_archINS1_11comp_targetILNS1_3genE4ELNS1_11target_archE910ELNS1_3gpuE8ELNS1_3repE0EEES8_NS1_28merge_sort_block_sort_configILj256ELj4ELNS0_20block_sort_algorithmE0EEENS0_14default_configENS1_37merge_sort_block_sort_config_selectorIjN6thrust23THRUST_200600_302600_NS5tupleIffNSF_9null_typeESH_SH_SH_SH_SH_SH_SH_EEEENS1_38merge_sort_block_merge_config_selectorIjSI_EEEEvv.numbered_sgpr, 0
	.set _ZN7rocprim17ROCPRIM_400000_NS6detail44device_merge_sort_compile_time_verifier_archINS1_11comp_targetILNS1_3genE4ELNS1_11target_archE910ELNS1_3gpuE8ELNS1_3repE0EEES8_NS1_28merge_sort_block_sort_configILj256ELj4ELNS0_20block_sort_algorithmE0EEENS0_14default_configENS1_37merge_sort_block_sort_config_selectorIjN6thrust23THRUST_200600_302600_NS5tupleIffNSF_9null_typeESH_SH_SH_SH_SH_SH_SH_EEEENS1_38merge_sort_block_merge_config_selectorIjSI_EEEEvv.num_named_barrier, 0
	.set _ZN7rocprim17ROCPRIM_400000_NS6detail44device_merge_sort_compile_time_verifier_archINS1_11comp_targetILNS1_3genE4ELNS1_11target_archE910ELNS1_3gpuE8ELNS1_3repE0EEES8_NS1_28merge_sort_block_sort_configILj256ELj4ELNS0_20block_sort_algorithmE0EEENS0_14default_configENS1_37merge_sort_block_sort_config_selectorIjN6thrust23THRUST_200600_302600_NS5tupleIffNSF_9null_typeESH_SH_SH_SH_SH_SH_SH_EEEENS1_38merge_sort_block_merge_config_selectorIjSI_EEEEvv.private_seg_size, 0
	.set _ZN7rocprim17ROCPRIM_400000_NS6detail44device_merge_sort_compile_time_verifier_archINS1_11comp_targetILNS1_3genE4ELNS1_11target_archE910ELNS1_3gpuE8ELNS1_3repE0EEES8_NS1_28merge_sort_block_sort_configILj256ELj4ELNS0_20block_sort_algorithmE0EEENS0_14default_configENS1_37merge_sort_block_sort_config_selectorIjN6thrust23THRUST_200600_302600_NS5tupleIffNSF_9null_typeESH_SH_SH_SH_SH_SH_SH_EEEENS1_38merge_sort_block_merge_config_selectorIjSI_EEEEvv.uses_vcc, 0
	.set _ZN7rocprim17ROCPRIM_400000_NS6detail44device_merge_sort_compile_time_verifier_archINS1_11comp_targetILNS1_3genE4ELNS1_11target_archE910ELNS1_3gpuE8ELNS1_3repE0EEES8_NS1_28merge_sort_block_sort_configILj256ELj4ELNS0_20block_sort_algorithmE0EEENS0_14default_configENS1_37merge_sort_block_sort_config_selectorIjN6thrust23THRUST_200600_302600_NS5tupleIffNSF_9null_typeESH_SH_SH_SH_SH_SH_SH_EEEENS1_38merge_sort_block_merge_config_selectorIjSI_EEEEvv.uses_flat_scratch, 0
	.set _ZN7rocprim17ROCPRIM_400000_NS6detail44device_merge_sort_compile_time_verifier_archINS1_11comp_targetILNS1_3genE4ELNS1_11target_archE910ELNS1_3gpuE8ELNS1_3repE0EEES8_NS1_28merge_sort_block_sort_configILj256ELj4ELNS0_20block_sort_algorithmE0EEENS0_14default_configENS1_37merge_sort_block_sort_config_selectorIjN6thrust23THRUST_200600_302600_NS5tupleIffNSF_9null_typeESH_SH_SH_SH_SH_SH_SH_EEEENS1_38merge_sort_block_merge_config_selectorIjSI_EEEEvv.has_dyn_sized_stack, 0
	.set _ZN7rocprim17ROCPRIM_400000_NS6detail44device_merge_sort_compile_time_verifier_archINS1_11comp_targetILNS1_3genE4ELNS1_11target_archE910ELNS1_3gpuE8ELNS1_3repE0EEES8_NS1_28merge_sort_block_sort_configILj256ELj4ELNS0_20block_sort_algorithmE0EEENS0_14default_configENS1_37merge_sort_block_sort_config_selectorIjN6thrust23THRUST_200600_302600_NS5tupleIffNSF_9null_typeESH_SH_SH_SH_SH_SH_SH_EEEENS1_38merge_sort_block_merge_config_selectorIjSI_EEEEvv.has_recursion, 0
	.set _ZN7rocprim17ROCPRIM_400000_NS6detail44device_merge_sort_compile_time_verifier_archINS1_11comp_targetILNS1_3genE4ELNS1_11target_archE910ELNS1_3gpuE8ELNS1_3repE0EEES8_NS1_28merge_sort_block_sort_configILj256ELj4ELNS0_20block_sort_algorithmE0EEENS0_14default_configENS1_37merge_sort_block_sort_config_selectorIjN6thrust23THRUST_200600_302600_NS5tupleIffNSF_9null_typeESH_SH_SH_SH_SH_SH_SH_EEEENS1_38merge_sort_block_merge_config_selectorIjSI_EEEEvv.has_indirect_call, 0
	.section	.AMDGPU.csdata,"",@progbits
; Kernel info:
; codeLenInByte = 4
; TotalNumSgprs: 0
; NumVgprs: 0
; ScratchSize: 0
; MemoryBound: 0
; FloatMode: 240
; IeeeMode: 1
; LDSByteSize: 0 bytes/workgroup (compile time only)
; SGPRBlocks: 0
; VGPRBlocks: 0
; NumSGPRsForWavesPerEU: 1
; NumVGPRsForWavesPerEU: 1
; Occupancy: 16
; WaveLimiterHint : 0
; COMPUTE_PGM_RSRC2:SCRATCH_EN: 0
; COMPUTE_PGM_RSRC2:USER_SGPR: 4
; COMPUTE_PGM_RSRC2:TRAP_HANDLER: 0
; COMPUTE_PGM_RSRC2:TGID_X_EN: 1
; COMPUTE_PGM_RSRC2:TGID_Y_EN: 0
; COMPUTE_PGM_RSRC2:TGID_Z_EN: 0
; COMPUTE_PGM_RSRC2:TIDIG_COMP_CNT: 0
	.section	.text._ZN7rocprim17ROCPRIM_400000_NS6detail44device_merge_sort_compile_time_verifier_archINS1_11comp_targetILNS1_3genE3ELNS1_11target_archE908ELNS1_3gpuE7ELNS1_3repE0EEES8_NS1_28merge_sort_block_sort_configILj256ELj4ELNS0_20block_sort_algorithmE0EEENS0_14default_configENS1_37merge_sort_block_sort_config_selectorIjN6thrust23THRUST_200600_302600_NS5tupleIffNSF_9null_typeESH_SH_SH_SH_SH_SH_SH_EEEENS1_38merge_sort_block_merge_config_selectorIjSI_EEEEvv,"axG",@progbits,_ZN7rocprim17ROCPRIM_400000_NS6detail44device_merge_sort_compile_time_verifier_archINS1_11comp_targetILNS1_3genE3ELNS1_11target_archE908ELNS1_3gpuE7ELNS1_3repE0EEES8_NS1_28merge_sort_block_sort_configILj256ELj4ELNS0_20block_sort_algorithmE0EEENS0_14default_configENS1_37merge_sort_block_sort_config_selectorIjN6thrust23THRUST_200600_302600_NS5tupleIffNSF_9null_typeESH_SH_SH_SH_SH_SH_SH_EEEENS1_38merge_sort_block_merge_config_selectorIjSI_EEEEvv,comdat
	.protected	_ZN7rocprim17ROCPRIM_400000_NS6detail44device_merge_sort_compile_time_verifier_archINS1_11comp_targetILNS1_3genE3ELNS1_11target_archE908ELNS1_3gpuE7ELNS1_3repE0EEES8_NS1_28merge_sort_block_sort_configILj256ELj4ELNS0_20block_sort_algorithmE0EEENS0_14default_configENS1_37merge_sort_block_sort_config_selectorIjN6thrust23THRUST_200600_302600_NS5tupleIffNSF_9null_typeESH_SH_SH_SH_SH_SH_SH_EEEENS1_38merge_sort_block_merge_config_selectorIjSI_EEEEvv ; -- Begin function _ZN7rocprim17ROCPRIM_400000_NS6detail44device_merge_sort_compile_time_verifier_archINS1_11comp_targetILNS1_3genE3ELNS1_11target_archE908ELNS1_3gpuE7ELNS1_3repE0EEES8_NS1_28merge_sort_block_sort_configILj256ELj4ELNS0_20block_sort_algorithmE0EEENS0_14default_configENS1_37merge_sort_block_sort_config_selectorIjN6thrust23THRUST_200600_302600_NS5tupleIffNSF_9null_typeESH_SH_SH_SH_SH_SH_SH_EEEENS1_38merge_sort_block_merge_config_selectorIjSI_EEEEvv
	.globl	_ZN7rocprim17ROCPRIM_400000_NS6detail44device_merge_sort_compile_time_verifier_archINS1_11comp_targetILNS1_3genE3ELNS1_11target_archE908ELNS1_3gpuE7ELNS1_3repE0EEES8_NS1_28merge_sort_block_sort_configILj256ELj4ELNS0_20block_sort_algorithmE0EEENS0_14default_configENS1_37merge_sort_block_sort_config_selectorIjN6thrust23THRUST_200600_302600_NS5tupleIffNSF_9null_typeESH_SH_SH_SH_SH_SH_SH_EEEENS1_38merge_sort_block_merge_config_selectorIjSI_EEEEvv
	.p2align	8
	.type	_ZN7rocprim17ROCPRIM_400000_NS6detail44device_merge_sort_compile_time_verifier_archINS1_11comp_targetILNS1_3genE3ELNS1_11target_archE908ELNS1_3gpuE7ELNS1_3repE0EEES8_NS1_28merge_sort_block_sort_configILj256ELj4ELNS0_20block_sort_algorithmE0EEENS0_14default_configENS1_37merge_sort_block_sort_config_selectorIjN6thrust23THRUST_200600_302600_NS5tupleIffNSF_9null_typeESH_SH_SH_SH_SH_SH_SH_EEEENS1_38merge_sort_block_merge_config_selectorIjSI_EEEEvv,@function
_ZN7rocprim17ROCPRIM_400000_NS6detail44device_merge_sort_compile_time_verifier_archINS1_11comp_targetILNS1_3genE3ELNS1_11target_archE908ELNS1_3gpuE7ELNS1_3repE0EEES8_NS1_28merge_sort_block_sort_configILj256ELj4ELNS0_20block_sort_algorithmE0EEENS0_14default_configENS1_37merge_sort_block_sort_config_selectorIjN6thrust23THRUST_200600_302600_NS5tupleIffNSF_9null_typeESH_SH_SH_SH_SH_SH_SH_EEEENS1_38merge_sort_block_merge_config_selectorIjSI_EEEEvv: ; @_ZN7rocprim17ROCPRIM_400000_NS6detail44device_merge_sort_compile_time_verifier_archINS1_11comp_targetILNS1_3genE3ELNS1_11target_archE908ELNS1_3gpuE7ELNS1_3repE0EEES8_NS1_28merge_sort_block_sort_configILj256ELj4ELNS0_20block_sort_algorithmE0EEENS0_14default_configENS1_37merge_sort_block_sort_config_selectorIjN6thrust23THRUST_200600_302600_NS5tupleIffNSF_9null_typeESH_SH_SH_SH_SH_SH_SH_EEEENS1_38merge_sort_block_merge_config_selectorIjSI_EEEEvv
; %bb.0:
	s_endpgm
	.section	.rodata,"a",@progbits
	.p2align	6, 0x0
	.amdhsa_kernel _ZN7rocprim17ROCPRIM_400000_NS6detail44device_merge_sort_compile_time_verifier_archINS1_11comp_targetILNS1_3genE3ELNS1_11target_archE908ELNS1_3gpuE7ELNS1_3repE0EEES8_NS1_28merge_sort_block_sort_configILj256ELj4ELNS0_20block_sort_algorithmE0EEENS0_14default_configENS1_37merge_sort_block_sort_config_selectorIjN6thrust23THRUST_200600_302600_NS5tupleIffNSF_9null_typeESH_SH_SH_SH_SH_SH_SH_EEEENS1_38merge_sort_block_merge_config_selectorIjSI_EEEEvv
		.amdhsa_group_segment_fixed_size 0
		.amdhsa_private_segment_fixed_size 0
		.amdhsa_kernarg_size 0
		.amdhsa_user_sgpr_count 4
		.amdhsa_user_sgpr_private_segment_buffer 1
		.amdhsa_user_sgpr_dispatch_ptr 0
		.amdhsa_user_sgpr_queue_ptr 0
		.amdhsa_user_sgpr_kernarg_segment_ptr 0
		.amdhsa_user_sgpr_dispatch_id 0
		.amdhsa_user_sgpr_flat_scratch_init 0
		.amdhsa_user_sgpr_private_segment_size 0
		.amdhsa_wavefront_size32 1
		.amdhsa_uses_dynamic_stack 0
		.amdhsa_system_sgpr_private_segment_wavefront_offset 0
		.amdhsa_system_sgpr_workgroup_id_x 1
		.amdhsa_system_sgpr_workgroup_id_y 0
		.amdhsa_system_sgpr_workgroup_id_z 0
		.amdhsa_system_sgpr_workgroup_info 0
		.amdhsa_system_vgpr_workitem_id 0
		.amdhsa_next_free_vgpr 1
		.amdhsa_next_free_sgpr 1
		.amdhsa_reserve_vcc 0
		.amdhsa_reserve_flat_scratch 0
		.amdhsa_float_round_mode_32 0
		.amdhsa_float_round_mode_16_64 0
		.amdhsa_float_denorm_mode_32 3
		.amdhsa_float_denorm_mode_16_64 3
		.amdhsa_dx10_clamp 1
		.amdhsa_ieee_mode 1
		.amdhsa_fp16_overflow 0
		.amdhsa_workgroup_processor_mode 1
		.amdhsa_memory_ordered 1
		.amdhsa_forward_progress 1
		.amdhsa_shared_vgpr_count 0
		.amdhsa_exception_fp_ieee_invalid_op 0
		.amdhsa_exception_fp_denorm_src 0
		.amdhsa_exception_fp_ieee_div_zero 0
		.amdhsa_exception_fp_ieee_overflow 0
		.amdhsa_exception_fp_ieee_underflow 0
		.amdhsa_exception_fp_ieee_inexact 0
		.amdhsa_exception_int_div_zero 0
	.end_amdhsa_kernel
	.section	.text._ZN7rocprim17ROCPRIM_400000_NS6detail44device_merge_sort_compile_time_verifier_archINS1_11comp_targetILNS1_3genE3ELNS1_11target_archE908ELNS1_3gpuE7ELNS1_3repE0EEES8_NS1_28merge_sort_block_sort_configILj256ELj4ELNS0_20block_sort_algorithmE0EEENS0_14default_configENS1_37merge_sort_block_sort_config_selectorIjN6thrust23THRUST_200600_302600_NS5tupleIffNSF_9null_typeESH_SH_SH_SH_SH_SH_SH_EEEENS1_38merge_sort_block_merge_config_selectorIjSI_EEEEvv,"axG",@progbits,_ZN7rocprim17ROCPRIM_400000_NS6detail44device_merge_sort_compile_time_verifier_archINS1_11comp_targetILNS1_3genE3ELNS1_11target_archE908ELNS1_3gpuE7ELNS1_3repE0EEES8_NS1_28merge_sort_block_sort_configILj256ELj4ELNS0_20block_sort_algorithmE0EEENS0_14default_configENS1_37merge_sort_block_sort_config_selectorIjN6thrust23THRUST_200600_302600_NS5tupleIffNSF_9null_typeESH_SH_SH_SH_SH_SH_SH_EEEENS1_38merge_sort_block_merge_config_selectorIjSI_EEEEvv,comdat
.Lfunc_end19:
	.size	_ZN7rocprim17ROCPRIM_400000_NS6detail44device_merge_sort_compile_time_verifier_archINS1_11comp_targetILNS1_3genE3ELNS1_11target_archE908ELNS1_3gpuE7ELNS1_3repE0EEES8_NS1_28merge_sort_block_sort_configILj256ELj4ELNS0_20block_sort_algorithmE0EEENS0_14default_configENS1_37merge_sort_block_sort_config_selectorIjN6thrust23THRUST_200600_302600_NS5tupleIffNSF_9null_typeESH_SH_SH_SH_SH_SH_SH_EEEENS1_38merge_sort_block_merge_config_selectorIjSI_EEEEvv, .Lfunc_end19-_ZN7rocprim17ROCPRIM_400000_NS6detail44device_merge_sort_compile_time_verifier_archINS1_11comp_targetILNS1_3genE3ELNS1_11target_archE908ELNS1_3gpuE7ELNS1_3repE0EEES8_NS1_28merge_sort_block_sort_configILj256ELj4ELNS0_20block_sort_algorithmE0EEENS0_14default_configENS1_37merge_sort_block_sort_config_selectorIjN6thrust23THRUST_200600_302600_NS5tupleIffNSF_9null_typeESH_SH_SH_SH_SH_SH_SH_EEEENS1_38merge_sort_block_merge_config_selectorIjSI_EEEEvv
                                        ; -- End function
	.set _ZN7rocprim17ROCPRIM_400000_NS6detail44device_merge_sort_compile_time_verifier_archINS1_11comp_targetILNS1_3genE3ELNS1_11target_archE908ELNS1_3gpuE7ELNS1_3repE0EEES8_NS1_28merge_sort_block_sort_configILj256ELj4ELNS0_20block_sort_algorithmE0EEENS0_14default_configENS1_37merge_sort_block_sort_config_selectorIjN6thrust23THRUST_200600_302600_NS5tupleIffNSF_9null_typeESH_SH_SH_SH_SH_SH_SH_EEEENS1_38merge_sort_block_merge_config_selectorIjSI_EEEEvv.num_vgpr, 0
	.set _ZN7rocprim17ROCPRIM_400000_NS6detail44device_merge_sort_compile_time_verifier_archINS1_11comp_targetILNS1_3genE3ELNS1_11target_archE908ELNS1_3gpuE7ELNS1_3repE0EEES8_NS1_28merge_sort_block_sort_configILj256ELj4ELNS0_20block_sort_algorithmE0EEENS0_14default_configENS1_37merge_sort_block_sort_config_selectorIjN6thrust23THRUST_200600_302600_NS5tupleIffNSF_9null_typeESH_SH_SH_SH_SH_SH_SH_EEEENS1_38merge_sort_block_merge_config_selectorIjSI_EEEEvv.num_agpr, 0
	.set _ZN7rocprim17ROCPRIM_400000_NS6detail44device_merge_sort_compile_time_verifier_archINS1_11comp_targetILNS1_3genE3ELNS1_11target_archE908ELNS1_3gpuE7ELNS1_3repE0EEES8_NS1_28merge_sort_block_sort_configILj256ELj4ELNS0_20block_sort_algorithmE0EEENS0_14default_configENS1_37merge_sort_block_sort_config_selectorIjN6thrust23THRUST_200600_302600_NS5tupleIffNSF_9null_typeESH_SH_SH_SH_SH_SH_SH_EEEENS1_38merge_sort_block_merge_config_selectorIjSI_EEEEvv.numbered_sgpr, 0
	.set _ZN7rocprim17ROCPRIM_400000_NS6detail44device_merge_sort_compile_time_verifier_archINS1_11comp_targetILNS1_3genE3ELNS1_11target_archE908ELNS1_3gpuE7ELNS1_3repE0EEES8_NS1_28merge_sort_block_sort_configILj256ELj4ELNS0_20block_sort_algorithmE0EEENS0_14default_configENS1_37merge_sort_block_sort_config_selectorIjN6thrust23THRUST_200600_302600_NS5tupleIffNSF_9null_typeESH_SH_SH_SH_SH_SH_SH_EEEENS1_38merge_sort_block_merge_config_selectorIjSI_EEEEvv.num_named_barrier, 0
	.set _ZN7rocprim17ROCPRIM_400000_NS6detail44device_merge_sort_compile_time_verifier_archINS1_11comp_targetILNS1_3genE3ELNS1_11target_archE908ELNS1_3gpuE7ELNS1_3repE0EEES8_NS1_28merge_sort_block_sort_configILj256ELj4ELNS0_20block_sort_algorithmE0EEENS0_14default_configENS1_37merge_sort_block_sort_config_selectorIjN6thrust23THRUST_200600_302600_NS5tupleIffNSF_9null_typeESH_SH_SH_SH_SH_SH_SH_EEEENS1_38merge_sort_block_merge_config_selectorIjSI_EEEEvv.private_seg_size, 0
	.set _ZN7rocprim17ROCPRIM_400000_NS6detail44device_merge_sort_compile_time_verifier_archINS1_11comp_targetILNS1_3genE3ELNS1_11target_archE908ELNS1_3gpuE7ELNS1_3repE0EEES8_NS1_28merge_sort_block_sort_configILj256ELj4ELNS0_20block_sort_algorithmE0EEENS0_14default_configENS1_37merge_sort_block_sort_config_selectorIjN6thrust23THRUST_200600_302600_NS5tupleIffNSF_9null_typeESH_SH_SH_SH_SH_SH_SH_EEEENS1_38merge_sort_block_merge_config_selectorIjSI_EEEEvv.uses_vcc, 0
	.set _ZN7rocprim17ROCPRIM_400000_NS6detail44device_merge_sort_compile_time_verifier_archINS1_11comp_targetILNS1_3genE3ELNS1_11target_archE908ELNS1_3gpuE7ELNS1_3repE0EEES8_NS1_28merge_sort_block_sort_configILj256ELj4ELNS0_20block_sort_algorithmE0EEENS0_14default_configENS1_37merge_sort_block_sort_config_selectorIjN6thrust23THRUST_200600_302600_NS5tupleIffNSF_9null_typeESH_SH_SH_SH_SH_SH_SH_EEEENS1_38merge_sort_block_merge_config_selectorIjSI_EEEEvv.uses_flat_scratch, 0
	.set _ZN7rocprim17ROCPRIM_400000_NS6detail44device_merge_sort_compile_time_verifier_archINS1_11comp_targetILNS1_3genE3ELNS1_11target_archE908ELNS1_3gpuE7ELNS1_3repE0EEES8_NS1_28merge_sort_block_sort_configILj256ELj4ELNS0_20block_sort_algorithmE0EEENS0_14default_configENS1_37merge_sort_block_sort_config_selectorIjN6thrust23THRUST_200600_302600_NS5tupleIffNSF_9null_typeESH_SH_SH_SH_SH_SH_SH_EEEENS1_38merge_sort_block_merge_config_selectorIjSI_EEEEvv.has_dyn_sized_stack, 0
	.set _ZN7rocprim17ROCPRIM_400000_NS6detail44device_merge_sort_compile_time_verifier_archINS1_11comp_targetILNS1_3genE3ELNS1_11target_archE908ELNS1_3gpuE7ELNS1_3repE0EEES8_NS1_28merge_sort_block_sort_configILj256ELj4ELNS0_20block_sort_algorithmE0EEENS0_14default_configENS1_37merge_sort_block_sort_config_selectorIjN6thrust23THRUST_200600_302600_NS5tupleIffNSF_9null_typeESH_SH_SH_SH_SH_SH_SH_EEEENS1_38merge_sort_block_merge_config_selectorIjSI_EEEEvv.has_recursion, 0
	.set _ZN7rocprim17ROCPRIM_400000_NS6detail44device_merge_sort_compile_time_verifier_archINS1_11comp_targetILNS1_3genE3ELNS1_11target_archE908ELNS1_3gpuE7ELNS1_3repE0EEES8_NS1_28merge_sort_block_sort_configILj256ELj4ELNS0_20block_sort_algorithmE0EEENS0_14default_configENS1_37merge_sort_block_sort_config_selectorIjN6thrust23THRUST_200600_302600_NS5tupleIffNSF_9null_typeESH_SH_SH_SH_SH_SH_SH_EEEENS1_38merge_sort_block_merge_config_selectorIjSI_EEEEvv.has_indirect_call, 0
	.section	.AMDGPU.csdata,"",@progbits
; Kernel info:
; codeLenInByte = 4
; TotalNumSgprs: 0
; NumVgprs: 0
; ScratchSize: 0
; MemoryBound: 0
; FloatMode: 240
; IeeeMode: 1
; LDSByteSize: 0 bytes/workgroup (compile time only)
; SGPRBlocks: 0
; VGPRBlocks: 0
; NumSGPRsForWavesPerEU: 1
; NumVGPRsForWavesPerEU: 1
; Occupancy: 16
; WaveLimiterHint : 0
; COMPUTE_PGM_RSRC2:SCRATCH_EN: 0
; COMPUTE_PGM_RSRC2:USER_SGPR: 4
; COMPUTE_PGM_RSRC2:TRAP_HANDLER: 0
; COMPUTE_PGM_RSRC2:TGID_X_EN: 1
; COMPUTE_PGM_RSRC2:TGID_Y_EN: 0
; COMPUTE_PGM_RSRC2:TGID_Z_EN: 0
; COMPUTE_PGM_RSRC2:TIDIG_COMP_CNT: 0
	.section	.text._ZN7rocprim17ROCPRIM_400000_NS6detail44device_merge_sort_compile_time_verifier_archINS1_11comp_targetILNS1_3genE2ELNS1_11target_archE906ELNS1_3gpuE6ELNS1_3repE0EEES8_NS1_28merge_sort_block_sort_configILj256ELj4ELNS0_20block_sort_algorithmE0EEENS0_14default_configENS1_37merge_sort_block_sort_config_selectorIjN6thrust23THRUST_200600_302600_NS5tupleIffNSF_9null_typeESH_SH_SH_SH_SH_SH_SH_EEEENS1_38merge_sort_block_merge_config_selectorIjSI_EEEEvv,"axG",@progbits,_ZN7rocprim17ROCPRIM_400000_NS6detail44device_merge_sort_compile_time_verifier_archINS1_11comp_targetILNS1_3genE2ELNS1_11target_archE906ELNS1_3gpuE6ELNS1_3repE0EEES8_NS1_28merge_sort_block_sort_configILj256ELj4ELNS0_20block_sort_algorithmE0EEENS0_14default_configENS1_37merge_sort_block_sort_config_selectorIjN6thrust23THRUST_200600_302600_NS5tupleIffNSF_9null_typeESH_SH_SH_SH_SH_SH_SH_EEEENS1_38merge_sort_block_merge_config_selectorIjSI_EEEEvv,comdat
	.protected	_ZN7rocprim17ROCPRIM_400000_NS6detail44device_merge_sort_compile_time_verifier_archINS1_11comp_targetILNS1_3genE2ELNS1_11target_archE906ELNS1_3gpuE6ELNS1_3repE0EEES8_NS1_28merge_sort_block_sort_configILj256ELj4ELNS0_20block_sort_algorithmE0EEENS0_14default_configENS1_37merge_sort_block_sort_config_selectorIjN6thrust23THRUST_200600_302600_NS5tupleIffNSF_9null_typeESH_SH_SH_SH_SH_SH_SH_EEEENS1_38merge_sort_block_merge_config_selectorIjSI_EEEEvv ; -- Begin function _ZN7rocprim17ROCPRIM_400000_NS6detail44device_merge_sort_compile_time_verifier_archINS1_11comp_targetILNS1_3genE2ELNS1_11target_archE906ELNS1_3gpuE6ELNS1_3repE0EEES8_NS1_28merge_sort_block_sort_configILj256ELj4ELNS0_20block_sort_algorithmE0EEENS0_14default_configENS1_37merge_sort_block_sort_config_selectorIjN6thrust23THRUST_200600_302600_NS5tupleIffNSF_9null_typeESH_SH_SH_SH_SH_SH_SH_EEEENS1_38merge_sort_block_merge_config_selectorIjSI_EEEEvv
	.globl	_ZN7rocprim17ROCPRIM_400000_NS6detail44device_merge_sort_compile_time_verifier_archINS1_11comp_targetILNS1_3genE2ELNS1_11target_archE906ELNS1_3gpuE6ELNS1_3repE0EEES8_NS1_28merge_sort_block_sort_configILj256ELj4ELNS0_20block_sort_algorithmE0EEENS0_14default_configENS1_37merge_sort_block_sort_config_selectorIjN6thrust23THRUST_200600_302600_NS5tupleIffNSF_9null_typeESH_SH_SH_SH_SH_SH_SH_EEEENS1_38merge_sort_block_merge_config_selectorIjSI_EEEEvv
	.p2align	8
	.type	_ZN7rocprim17ROCPRIM_400000_NS6detail44device_merge_sort_compile_time_verifier_archINS1_11comp_targetILNS1_3genE2ELNS1_11target_archE906ELNS1_3gpuE6ELNS1_3repE0EEES8_NS1_28merge_sort_block_sort_configILj256ELj4ELNS0_20block_sort_algorithmE0EEENS0_14default_configENS1_37merge_sort_block_sort_config_selectorIjN6thrust23THRUST_200600_302600_NS5tupleIffNSF_9null_typeESH_SH_SH_SH_SH_SH_SH_EEEENS1_38merge_sort_block_merge_config_selectorIjSI_EEEEvv,@function
_ZN7rocprim17ROCPRIM_400000_NS6detail44device_merge_sort_compile_time_verifier_archINS1_11comp_targetILNS1_3genE2ELNS1_11target_archE906ELNS1_3gpuE6ELNS1_3repE0EEES8_NS1_28merge_sort_block_sort_configILj256ELj4ELNS0_20block_sort_algorithmE0EEENS0_14default_configENS1_37merge_sort_block_sort_config_selectorIjN6thrust23THRUST_200600_302600_NS5tupleIffNSF_9null_typeESH_SH_SH_SH_SH_SH_SH_EEEENS1_38merge_sort_block_merge_config_selectorIjSI_EEEEvv: ; @_ZN7rocprim17ROCPRIM_400000_NS6detail44device_merge_sort_compile_time_verifier_archINS1_11comp_targetILNS1_3genE2ELNS1_11target_archE906ELNS1_3gpuE6ELNS1_3repE0EEES8_NS1_28merge_sort_block_sort_configILj256ELj4ELNS0_20block_sort_algorithmE0EEENS0_14default_configENS1_37merge_sort_block_sort_config_selectorIjN6thrust23THRUST_200600_302600_NS5tupleIffNSF_9null_typeESH_SH_SH_SH_SH_SH_SH_EEEENS1_38merge_sort_block_merge_config_selectorIjSI_EEEEvv
; %bb.0:
	s_endpgm
	.section	.rodata,"a",@progbits
	.p2align	6, 0x0
	.amdhsa_kernel _ZN7rocprim17ROCPRIM_400000_NS6detail44device_merge_sort_compile_time_verifier_archINS1_11comp_targetILNS1_3genE2ELNS1_11target_archE906ELNS1_3gpuE6ELNS1_3repE0EEES8_NS1_28merge_sort_block_sort_configILj256ELj4ELNS0_20block_sort_algorithmE0EEENS0_14default_configENS1_37merge_sort_block_sort_config_selectorIjN6thrust23THRUST_200600_302600_NS5tupleIffNSF_9null_typeESH_SH_SH_SH_SH_SH_SH_EEEENS1_38merge_sort_block_merge_config_selectorIjSI_EEEEvv
		.amdhsa_group_segment_fixed_size 0
		.amdhsa_private_segment_fixed_size 0
		.amdhsa_kernarg_size 0
		.amdhsa_user_sgpr_count 4
		.amdhsa_user_sgpr_private_segment_buffer 1
		.amdhsa_user_sgpr_dispatch_ptr 0
		.amdhsa_user_sgpr_queue_ptr 0
		.amdhsa_user_sgpr_kernarg_segment_ptr 0
		.amdhsa_user_sgpr_dispatch_id 0
		.amdhsa_user_sgpr_flat_scratch_init 0
		.amdhsa_user_sgpr_private_segment_size 0
		.amdhsa_wavefront_size32 1
		.amdhsa_uses_dynamic_stack 0
		.amdhsa_system_sgpr_private_segment_wavefront_offset 0
		.amdhsa_system_sgpr_workgroup_id_x 1
		.amdhsa_system_sgpr_workgroup_id_y 0
		.amdhsa_system_sgpr_workgroup_id_z 0
		.amdhsa_system_sgpr_workgroup_info 0
		.amdhsa_system_vgpr_workitem_id 0
		.amdhsa_next_free_vgpr 1
		.amdhsa_next_free_sgpr 1
		.amdhsa_reserve_vcc 0
		.amdhsa_reserve_flat_scratch 0
		.amdhsa_float_round_mode_32 0
		.amdhsa_float_round_mode_16_64 0
		.amdhsa_float_denorm_mode_32 3
		.amdhsa_float_denorm_mode_16_64 3
		.amdhsa_dx10_clamp 1
		.amdhsa_ieee_mode 1
		.amdhsa_fp16_overflow 0
		.amdhsa_workgroup_processor_mode 1
		.amdhsa_memory_ordered 1
		.amdhsa_forward_progress 1
		.amdhsa_shared_vgpr_count 0
		.amdhsa_exception_fp_ieee_invalid_op 0
		.amdhsa_exception_fp_denorm_src 0
		.amdhsa_exception_fp_ieee_div_zero 0
		.amdhsa_exception_fp_ieee_overflow 0
		.amdhsa_exception_fp_ieee_underflow 0
		.amdhsa_exception_fp_ieee_inexact 0
		.amdhsa_exception_int_div_zero 0
	.end_amdhsa_kernel
	.section	.text._ZN7rocprim17ROCPRIM_400000_NS6detail44device_merge_sort_compile_time_verifier_archINS1_11comp_targetILNS1_3genE2ELNS1_11target_archE906ELNS1_3gpuE6ELNS1_3repE0EEES8_NS1_28merge_sort_block_sort_configILj256ELj4ELNS0_20block_sort_algorithmE0EEENS0_14default_configENS1_37merge_sort_block_sort_config_selectorIjN6thrust23THRUST_200600_302600_NS5tupleIffNSF_9null_typeESH_SH_SH_SH_SH_SH_SH_EEEENS1_38merge_sort_block_merge_config_selectorIjSI_EEEEvv,"axG",@progbits,_ZN7rocprim17ROCPRIM_400000_NS6detail44device_merge_sort_compile_time_verifier_archINS1_11comp_targetILNS1_3genE2ELNS1_11target_archE906ELNS1_3gpuE6ELNS1_3repE0EEES8_NS1_28merge_sort_block_sort_configILj256ELj4ELNS0_20block_sort_algorithmE0EEENS0_14default_configENS1_37merge_sort_block_sort_config_selectorIjN6thrust23THRUST_200600_302600_NS5tupleIffNSF_9null_typeESH_SH_SH_SH_SH_SH_SH_EEEENS1_38merge_sort_block_merge_config_selectorIjSI_EEEEvv,comdat
.Lfunc_end20:
	.size	_ZN7rocprim17ROCPRIM_400000_NS6detail44device_merge_sort_compile_time_verifier_archINS1_11comp_targetILNS1_3genE2ELNS1_11target_archE906ELNS1_3gpuE6ELNS1_3repE0EEES8_NS1_28merge_sort_block_sort_configILj256ELj4ELNS0_20block_sort_algorithmE0EEENS0_14default_configENS1_37merge_sort_block_sort_config_selectorIjN6thrust23THRUST_200600_302600_NS5tupleIffNSF_9null_typeESH_SH_SH_SH_SH_SH_SH_EEEENS1_38merge_sort_block_merge_config_selectorIjSI_EEEEvv, .Lfunc_end20-_ZN7rocprim17ROCPRIM_400000_NS6detail44device_merge_sort_compile_time_verifier_archINS1_11comp_targetILNS1_3genE2ELNS1_11target_archE906ELNS1_3gpuE6ELNS1_3repE0EEES8_NS1_28merge_sort_block_sort_configILj256ELj4ELNS0_20block_sort_algorithmE0EEENS0_14default_configENS1_37merge_sort_block_sort_config_selectorIjN6thrust23THRUST_200600_302600_NS5tupleIffNSF_9null_typeESH_SH_SH_SH_SH_SH_SH_EEEENS1_38merge_sort_block_merge_config_selectorIjSI_EEEEvv
                                        ; -- End function
	.set _ZN7rocprim17ROCPRIM_400000_NS6detail44device_merge_sort_compile_time_verifier_archINS1_11comp_targetILNS1_3genE2ELNS1_11target_archE906ELNS1_3gpuE6ELNS1_3repE0EEES8_NS1_28merge_sort_block_sort_configILj256ELj4ELNS0_20block_sort_algorithmE0EEENS0_14default_configENS1_37merge_sort_block_sort_config_selectorIjN6thrust23THRUST_200600_302600_NS5tupleIffNSF_9null_typeESH_SH_SH_SH_SH_SH_SH_EEEENS1_38merge_sort_block_merge_config_selectorIjSI_EEEEvv.num_vgpr, 0
	.set _ZN7rocprim17ROCPRIM_400000_NS6detail44device_merge_sort_compile_time_verifier_archINS1_11comp_targetILNS1_3genE2ELNS1_11target_archE906ELNS1_3gpuE6ELNS1_3repE0EEES8_NS1_28merge_sort_block_sort_configILj256ELj4ELNS0_20block_sort_algorithmE0EEENS0_14default_configENS1_37merge_sort_block_sort_config_selectorIjN6thrust23THRUST_200600_302600_NS5tupleIffNSF_9null_typeESH_SH_SH_SH_SH_SH_SH_EEEENS1_38merge_sort_block_merge_config_selectorIjSI_EEEEvv.num_agpr, 0
	.set _ZN7rocprim17ROCPRIM_400000_NS6detail44device_merge_sort_compile_time_verifier_archINS1_11comp_targetILNS1_3genE2ELNS1_11target_archE906ELNS1_3gpuE6ELNS1_3repE0EEES8_NS1_28merge_sort_block_sort_configILj256ELj4ELNS0_20block_sort_algorithmE0EEENS0_14default_configENS1_37merge_sort_block_sort_config_selectorIjN6thrust23THRUST_200600_302600_NS5tupleIffNSF_9null_typeESH_SH_SH_SH_SH_SH_SH_EEEENS1_38merge_sort_block_merge_config_selectorIjSI_EEEEvv.numbered_sgpr, 0
	.set _ZN7rocprim17ROCPRIM_400000_NS6detail44device_merge_sort_compile_time_verifier_archINS1_11comp_targetILNS1_3genE2ELNS1_11target_archE906ELNS1_3gpuE6ELNS1_3repE0EEES8_NS1_28merge_sort_block_sort_configILj256ELj4ELNS0_20block_sort_algorithmE0EEENS0_14default_configENS1_37merge_sort_block_sort_config_selectorIjN6thrust23THRUST_200600_302600_NS5tupleIffNSF_9null_typeESH_SH_SH_SH_SH_SH_SH_EEEENS1_38merge_sort_block_merge_config_selectorIjSI_EEEEvv.num_named_barrier, 0
	.set _ZN7rocprim17ROCPRIM_400000_NS6detail44device_merge_sort_compile_time_verifier_archINS1_11comp_targetILNS1_3genE2ELNS1_11target_archE906ELNS1_3gpuE6ELNS1_3repE0EEES8_NS1_28merge_sort_block_sort_configILj256ELj4ELNS0_20block_sort_algorithmE0EEENS0_14default_configENS1_37merge_sort_block_sort_config_selectorIjN6thrust23THRUST_200600_302600_NS5tupleIffNSF_9null_typeESH_SH_SH_SH_SH_SH_SH_EEEENS1_38merge_sort_block_merge_config_selectorIjSI_EEEEvv.private_seg_size, 0
	.set _ZN7rocprim17ROCPRIM_400000_NS6detail44device_merge_sort_compile_time_verifier_archINS1_11comp_targetILNS1_3genE2ELNS1_11target_archE906ELNS1_3gpuE6ELNS1_3repE0EEES8_NS1_28merge_sort_block_sort_configILj256ELj4ELNS0_20block_sort_algorithmE0EEENS0_14default_configENS1_37merge_sort_block_sort_config_selectorIjN6thrust23THRUST_200600_302600_NS5tupleIffNSF_9null_typeESH_SH_SH_SH_SH_SH_SH_EEEENS1_38merge_sort_block_merge_config_selectorIjSI_EEEEvv.uses_vcc, 0
	.set _ZN7rocprim17ROCPRIM_400000_NS6detail44device_merge_sort_compile_time_verifier_archINS1_11comp_targetILNS1_3genE2ELNS1_11target_archE906ELNS1_3gpuE6ELNS1_3repE0EEES8_NS1_28merge_sort_block_sort_configILj256ELj4ELNS0_20block_sort_algorithmE0EEENS0_14default_configENS1_37merge_sort_block_sort_config_selectorIjN6thrust23THRUST_200600_302600_NS5tupleIffNSF_9null_typeESH_SH_SH_SH_SH_SH_SH_EEEENS1_38merge_sort_block_merge_config_selectorIjSI_EEEEvv.uses_flat_scratch, 0
	.set _ZN7rocprim17ROCPRIM_400000_NS6detail44device_merge_sort_compile_time_verifier_archINS1_11comp_targetILNS1_3genE2ELNS1_11target_archE906ELNS1_3gpuE6ELNS1_3repE0EEES8_NS1_28merge_sort_block_sort_configILj256ELj4ELNS0_20block_sort_algorithmE0EEENS0_14default_configENS1_37merge_sort_block_sort_config_selectorIjN6thrust23THRUST_200600_302600_NS5tupleIffNSF_9null_typeESH_SH_SH_SH_SH_SH_SH_EEEENS1_38merge_sort_block_merge_config_selectorIjSI_EEEEvv.has_dyn_sized_stack, 0
	.set _ZN7rocprim17ROCPRIM_400000_NS6detail44device_merge_sort_compile_time_verifier_archINS1_11comp_targetILNS1_3genE2ELNS1_11target_archE906ELNS1_3gpuE6ELNS1_3repE0EEES8_NS1_28merge_sort_block_sort_configILj256ELj4ELNS0_20block_sort_algorithmE0EEENS0_14default_configENS1_37merge_sort_block_sort_config_selectorIjN6thrust23THRUST_200600_302600_NS5tupleIffNSF_9null_typeESH_SH_SH_SH_SH_SH_SH_EEEENS1_38merge_sort_block_merge_config_selectorIjSI_EEEEvv.has_recursion, 0
	.set _ZN7rocprim17ROCPRIM_400000_NS6detail44device_merge_sort_compile_time_verifier_archINS1_11comp_targetILNS1_3genE2ELNS1_11target_archE906ELNS1_3gpuE6ELNS1_3repE0EEES8_NS1_28merge_sort_block_sort_configILj256ELj4ELNS0_20block_sort_algorithmE0EEENS0_14default_configENS1_37merge_sort_block_sort_config_selectorIjN6thrust23THRUST_200600_302600_NS5tupleIffNSF_9null_typeESH_SH_SH_SH_SH_SH_SH_EEEENS1_38merge_sort_block_merge_config_selectorIjSI_EEEEvv.has_indirect_call, 0
	.section	.AMDGPU.csdata,"",@progbits
; Kernel info:
; codeLenInByte = 4
; TotalNumSgprs: 0
; NumVgprs: 0
; ScratchSize: 0
; MemoryBound: 0
; FloatMode: 240
; IeeeMode: 1
; LDSByteSize: 0 bytes/workgroup (compile time only)
; SGPRBlocks: 0
; VGPRBlocks: 0
; NumSGPRsForWavesPerEU: 1
; NumVGPRsForWavesPerEU: 1
; Occupancy: 16
; WaveLimiterHint : 0
; COMPUTE_PGM_RSRC2:SCRATCH_EN: 0
; COMPUTE_PGM_RSRC2:USER_SGPR: 4
; COMPUTE_PGM_RSRC2:TRAP_HANDLER: 0
; COMPUTE_PGM_RSRC2:TGID_X_EN: 1
; COMPUTE_PGM_RSRC2:TGID_Y_EN: 0
; COMPUTE_PGM_RSRC2:TGID_Z_EN: 0
; COMPUTE_PGM_RSRC2:TIDIG_COMP_CNT: 0
	.section	.text._ZN7rocprim17ROCPRIM_400000_NS6detail44device_merge_sort_compile_time_verifier_archINS1_11comp_targetILNS1_3genE10ELNS1_11target_archE1201ELNS1_3gpuE5ELNS1_3repE0EEES8_NS1_28merge_sort_block_sort_configILj256ELj4ELNS0_20block_sort_algorithmE0EEENS0_14default_configENS1_37merge_sort_block_sort_config_selectorIjN6thrust23THRUST_200600_302600_NS5tupleIffNSF_9null_typeESH_SH_SH_SH_SH_SH_SH_EEEENS1_38merge_sort_block_merge_config_selectorIjSI_EEEEvv,"axG",@progbits,_ZN7rocprim17ROCPRIM_400000_NS6detail44device_merge_sort_compile_time_verifier_archINS1_11comp_targetILNS1_3genE10ELNS1_11target_archE1201ELNS1_3gpuE5ELNS1_3repE0EEES8_NS1_28merge_sort_block_sort_configILj256ELj4ELNS0_20block_sort_algorithmE0EEENS0_14default_configENS1_37merge_sort_block_sort_config_selectorIjN6thrust23THRUST_200600_302600_NS5tupleIffNSF_9null_typeESH_SH_SH_SH_SH_SH_SH_EEEENS1_38merge_sort_block_merge_config_selectorIjSI_EEEEvv,comdat
	.protected	_ZN7rocprim17ROCPRIM_400000_NS6detail44device_merge_sort_compile_time_verifier_archINS1_11comp_targetILNS1_3genE10ELNS1_11target_archE1201ELNS1_3gpuE5ELNS1_3repE0EEES8_NS1_28merge_sort_block_sort_configILj256ELj4ELNS0_20block_sort_algorithmE0EEENS0_14default_configENS1_37merge_sort_block_sort_config_selectorIjN6thrust23THRUST_200600_302600_NS5tupleIffNSF_9null_typeESH_SH_SH_SH_SH_SH_SH_EEEENS1_38merge_sort_block_merge_config_selectorIjSI_EEEEvv ; -- Begin function _ZN7rocprim17ROCPRIM_400000_NS6detail44device_merge_sort_compile_time_verifier_archINS1_11comp_targetILNS1_3genE10ELNS1_11target_archE1201ELNS1_3gpuE5ELNS1_3repE0EEES8_NS1_28merge_sort_block_sort_configILj256ELj4ELNS0_20block_sort_algorithmE0EEENS0_14default_configENS1_37merge_sort_block_sort_config_selectorIjN6thrust23THRUST_200600_302600_NS5tupleIffNSF_9null_typeESH_SH_SH_SH_SH_SH_SH_EEEENS1_38merge_sort_block_merge_config_selectorIjSI_EEEEvv
	.globl	_ZN7rocprim17ROCPRIM_400000_NS6detail44device_merge_sort_compile_time_verifier_archINS1_11comp_targetILNS1_3genE10ELNS1_11target_archE1201ELNS1_3gpuE5ELNS1_3repE0EEES8_NS1_28merge_sort_block_sort_configILj256ELj4ELNS0_20block_sort_algorithmE0EEENS0_14default_configENS1_37merge_sort_block_sort_config_selectorIjN6thrust23THRUST_200600_302600_NS5tupleIffNSF_9null_typeESH_SH_SH_SH_SH_SH_SH_EEEENS1_38merge_sort_block_merge_config_selectorIjSI_EEEEvv
	.p2align	8
	.type	_ZN7rocprim17ROCPRIM_400000_NS6detail44device_merge_sort_compile_time_verifier_archINS1_11comp_targetILNS1_3genE10ELNS1_11target_archE1201ELNS1_3gpuE5ELNS1_3repE0EEES8_NS1_28merge_sort_block_sort_configILj256ELj4ELNS0_20block_sort_algorithmE0EEENS0_14default_configENS1_37merge_sort_block_sort_config_selectorIjN6thrust23THRUST_200600_302600_NS5tupleIffNSF_9null_typeESH_SH_SH_SH_SH_SH_SH_EEEENS1_38merge_sort_block_merge_config_selectorIjSI_EEEEvv,@function
_ZN7rocprim17ROCPRIM_400000_NS6detail44device_merge_sort_compile_time_verifier_archINS1_11comp_targetILNS1_3genE10ELNS1_11target_archE1201ELNS1_3gpuE5ELNS1_3repE0EEES8_NS1_28merge_sort_block_sort_configILj256ELj4ELNS0_20block_sort_algorithmE0EEENS0_14default_configENS1_37merge_sort_block_sort_config_selectorIjN6thrust23THRUST_200600_302600_NS5tupleIffNSF_9null_typeESH_SH_SH_SH_SH_SH_SH_EEEENS1_38merge_sort_block_merge_config_selectorIjSI_EEEEvv: ; @_ZN7rocprim17ROCPRIM_400000_NS6detail44device_merge_sort_compile_time_verifier_archINS1_11comp_targetILNS1_3genE10ELNS1_11target_archE1201ELNS1_3gpuE5ELNS1_3repE0EEES8_NS1_28merge_sort_block_sort_configILj256ELj4ELNS0_20block_sort_algorithmE0EEENS0_14default_configENS1_37merge_sort_block_sort_config_selectorIjN6thrust23THRUST_200600_302600_NS5tupleIffNSF_9null_typeESH_SH_SH_SH_SH_SH_SH_EEEENS1_38merge_sort_block_merge_config_selectorIjSI_EEEEvv
; %bb.0:
	s_endpgm
	.section	.rodata,"a",@progbits
	.p2align	6, 0x0
	.amdhsa_kernel _ZN7rocprim17ROCPRIM_400000_NS6detail44device_merge_sort_compile_time_verifier_archINS1_11comp_targetILNS1_3genE10ELNS1_11target_archE1201ELNS1_3gpuE5ELNS1_3repE0EEES8_NS1_28merge_sort_block_sort_configILj256ELj4ELNS0_20block_sort_algorithmE0EEENS0_14default_configENS1_37merge_sort_block_sort_config_selectorIjN6thrust23THRUST_200600_302600_NS5tupleIffNSF_9null_typeESH_SH_SH_SH_SH_SH_SH_EEEENS1_38merge_sort_block_merge_config_selectorIjSI_EEEEvv
		.amdhsa_group_segment_fixed_size 0
		.amdhsa_private_segment_fixed_size 0
		.amdhsa_kernarg_size 0
		.amdhsa_user_sgpr_count 4
		.amdhsa_user_sgpr_private_segment_buffer 1
		.amdhsa_user_sgpr_dispatch_ptr 0
		.amdhsa_user_sgpr_queue_ptr 0
		.amdhsa_user_sgpr_kernarg_segment_ptr 0
		.amdhsa_user_sgpr_dispatch_id 0
		.amdhsa_user_sgpr_flat_scratch_init 0
		.amdhsa_user_sgpr_private_segment_size 0
		.amdhsa_wavefront_size32 1
		.amdhsa_uses_dynamic_stack 0
		.amdhsa_system_sgpr_private_segment_wavefront_offset 0
		.amdhsa_system_sgpr_workgroup_id_x 1
		.amdhsa_system_sgpr_workgroup_id_y 0
		.amdhsa_system_sgpr_workgroup_id_z 0
		.amdhsa_system_sgpr_workgroup_info 0
		.amdhsa_system_vgpr_workitem_id 0
		.amdhsa_next_free_vgpr 1
		.amdhsa_next_free_sgpr 1
		.amdhsa_reserve_vcc 0
		.amdhsa_reserve_flat_scratch 0
		.amdhsa_float_round_mode_32 0
		.amdhsa_float_round_mode_16_64 0
		.amdhsa_float_denorm_mode_32 3
		.amdhsa_float_denorm_mode_16_64 3
		.amdhsa_dx10_clamp 1
		.amdhsa_ieee_mode 1
		.amdhsa_fp16_overflow 0
		.amdhsa_workgroup_processor_mode 1
		.amdhsa_memory_ordered 1
		.amdhsa_forward_progress 1
		.amdhsa_shared_vgpr_count 0
		.amdhsa_exception_fp_ieee_invalid_op 0
		.amdhsa_exception_fp_denorm_src 0
		.amdhsa_exception_fp_ieee_div_zero 0
		.amdhsa_exception_fp_ieee_overflow 0
		.amdhsa_exception_fp_ieee_underflow 0
		.amdhsa_exception_fp_ieee_inexact 0
		.amdhsa_exception_int_div_zero 0
	.end_amdhsa_kernel
	.section	.text._ZN7rocprim17ROCPRIM_400000_NS6detail44device_merge_sort_compile_time_verifier_archINS1_11comp_targetILNS1_3genE10ELNS1_11target_archE1201ELNS1_3gpuE5ELNS1_3repE0EEES8_NS1_28merge_sort_block_sort_configILj256ELj4ELNS0_20block_sort_algorithmE0EEENS0_14default_configENS1_37merge_sort_block_sort_config_selectorIjN6thrust23THRUST_200600_302600_NS5tupleIffNSF_9null_typeESH_SH_SH_SH_SH_SH_SH_EEEENS1_38merge_sort_block_merge_config_selectorIjSI_EEEEvv,"axG",@progbits,_ZN7rocprim17ROCPRIM_400000_NS6detail44device_merge_sort_compile_time_verifier_archINS1_11comp_targetILNS1_3genE10ELNS1_11target_archE1201ELNS1_3gpuE5ELNS1_3repE0EEES8_NS1_28merge_sort_block_sort_configILj256ELj4ELNS0_20block_sort_algorithmE0EEENS0_14default_configENS1_37merge_sort_block_sort_config_selectorIjN6thrust23THRUST_200600_302600_NS5tupleIffNSF_9null_typeESH_SH_SH_SH_SH_SH_SH_EEEENS1_38merge_sort_block_merge_config_selectorIjSI_EEEEvv,comdat
.Lfunc_end21:
	.size	_ZN7rocprim17ROCPRIM_400000_NS6detail44device_merge_sort_compile_time_verifier_archINS1_11comp_targetILNS1_3genE10ELNS1_11target_archE1201ELNS1_3gpuE5ELNS1_3repE0EEES8_NS1_28merge_sort_block_sort_configILj256ELj4ELNS0_20block_sort_algorithmE0EEENS0_14default_configENS1_37merge_sort_block_sort_config_selectorIjN6thrust23THRUST_200600_302600_NS5tupleIffNSF_9null_typeESH_SH_SH_SH_SH_SH_SH_EEEENS1_38merge_sort_block_merge_config_selectorIjSI_EEEEvv, .Lfunc_end21-_ZN7rocprim17ROCPRIM_400000_NS6detail44device_merge_sort_compile_time_verifier_archINS1_11comp_targetILNS1_3genE10ELNS1_11target_archE1201ELNS1_3gpuE5ELNS1_3repE0EEES8_NS1_28merge_sort_block_sort_configILj256ELj4ELNS0_20block_sort_algorithmE0EEENS0_14default_configENS1_37merge_sort_block_sort_config_selectorIjN6thrust23THRUST_200600_302600_NS5tupleIffNSF_9null_typeESH_SH_SH_SH_SH_SH_SH_EEEENS1_38merge_sort_block_merge_config_selectorIjSI_EEEEvv
                                        ; -- End function
	.set _ZN7rocprim17ROCPRIM_400000_NS6detail44device_merge_sort_compile_time_verifier_archINS1_11comp_targetILNS1_3genE10ELNS1_11target_archE1201ELNS1_3gpuE5ELNS1_3repE0EEES8_NS1_28merge_sort_block_sort_configILj256ELj4ELNS0_20block_sort_algorithmE0EEENS0_14default_configENS1_37merge_sort_block_sort_config_selectorIjN6thrust23THRUST_200600_302600_NS5tupleIffNSF_9null_typeESH_SH_SH_SH_SH_SH_SH_EEEENS1_38merge_sort_block_merge_config_selectorIjSI_EEEEvv.num_vgpr, 0
	.set _ZN7rocprim17ROCPRIM_400000_NS6detail44device_merge_sort_compile_time_verifier_archINS1_11comp_targetILNS1_3genE10ELNS1_11target_archE1201ELNS1_3gpuE5ELNS1_3repE0EEES8_NS1_28merge_sort_block_sort_configILj256ELj4ELNS0_20block_sort_algorithmE0EEENS0_14default_configENS1_37merge_sort_block_sort_config_selectorIjN6thrust23THRUST_200600_302600_NS5tupleIffNSF_9null_typeESH_SH_SH_SH_SH_SH_SH_EEEENS1_38merge_sort_block_merge_config_selectorIjSI_EEEEvv.num_agpr, 0
	.set _ZN7rocprim17ROCPRIM_400000_NS6detail44device_merge_sort_compile_time_verifier_archINS1_11comp_targetILNS1_3genE10ELNS1_11target_archE1201ELNS1_3gpuE5ELNS1_3repE0EEES8_NS1_28merge_sort_block_sort_configILj256ELj4ELNS0_20block_sort_algorithmE0EEENS0_14default_configENS1_37merge_sort_block_sort_config_selectorIjN6thrust23THRUST_200600_302600_NS5tupleIffNSF_9null_typeESH_SH_SH_SH_SH_SH_SH_EEEENS1_38merge_sort_block_merge_config_selectorIjSI_EEEEvv.numbered_sgpr, 0
	.set _ZN7rocprim17ROCPRIM_400000_NS6detail44device_merge_sort_compile_time_verifier_archINS1_11comp_targetILNS1_3genE10ELNS1_11target_archE1201ELNS1_3gpuE5ELNS1_3repE0EEES8_NS1_28merge_sort_block_sort_configILj256ELj4ELNS0_20block_sort_algorithmE0EEENS0_14default_configENS1_37merge_sort_block_sort_config_selectorIjN6thrust23THRUST_200600_302600_NS5tupleIffNSF_9null_typeESH_SH_SH_SH_SH_SH_SH_EEEENS1_38merge_sort_block_merge_config_selectorIjSI_EEEEvv.num_named_barrier, 0
	.set _ZN7rocprim17ROCPRIM_400000_NS6detail44device_merge_sort_compile_time_verifier_archINS1_11comp_targetILNS1_3genE10ELNS1_11target_archE1201ELNS1_3gpuE5ELNS1_3repE0EEES8_NS1_28merge_sort_block_sort_configILj256ELj4ELNS0_20block_sort_algorithmE0EEENS0_14default_configENS1_37merge_sort_block_sort_config_selectorIjN6thrust23THRUST_200600_302600_NS5tupleIffNSF_9null_typeESH_SH_SH_SH_SH_SH_SH_EEEENS1_38merge_sort_block_merge_config_selectorIjSI_EEEEvv.private_seg_size, 0
	.set _ZN7rocprim17ROCPRIM_400000_NS6detail44device_merge_sort_compile_time_verifier_archINS1_11comp_targetILNS1_3genE10ELNS1_11target_archE1201ELNS1_3gpuE5ELNS1_3repE0EEES8_NS1_28merge_sort_block_sort_configILj256ELj4ELNS0_20block_sort_algorithmE0EEENS0_14default_configENS1_37merge_sort_block_sort_config_selectorIjN6thrust23THRUST_200600_302600_NS5tupleIffNSF_9null_typeESH_SH_SH_SH_SH_SH_SH_EEEENS1_38merge_sort_block_merge_config_selectorIjSI_EEEEvv.uses_vcc, 0
	.set _ZN7rocprim17ROCPRIM_400000_NS6detail44device_merge_sort_compile_time_verifier_archINS1_11comp_targetILNS1_3genE10ELNS1_11target_archE1201ELNS1_3gpuE5ELNS1_3repE0EEES8_NS1_28merge_sort_block_sort_configILj256ELj4ELNS0_20block_sort_algorithmE0EEENS0_14default_configENS1_37merge_sort_block_sort_config_selectorIjN6thrust23THRUST_200600_302600_NS5tupleIffNSF_9null_typeESH_SH_SH_SH_SH_SH_SH_EEEENS1_38merge_sort_block_merge_config_selectorIjSI_EEEEvv.uses_flat_scratch, 0
	.set _ZN7rocprim17ROCPRIM_400000_NS6detail44device_merge_sort_compile_time_verifier_archINS1_11comp_targetILNS1_3genE10ELNS1_11target_archE1201ELNS1_3gpuE5ELNS1_3repE0EEES8_NS1_28merge_sort_block_sort_configILj256ELj4ELNS0_20block_sort_algorithmE0EEENS0_14default_configENS1_37merge_sort_block_sort_config_selectorIjN6thrust23THRUST_200600_302600_NS5tupleIffNSF_9null_typeESH_SH_SH_SH_SH_SH_SH_EEEENS1_38merge_sort_block_merge_config_selectorIjSI_EEEEvv.has_dyn_sized_stack, 0
	.set _ZN7rocprim17ROCPRIM_400000_NS6detail44device_merge_sort_compile_time_verifier_archINS1_11comp_targetILNS1_3genE10ELNS1_11target_archE1201ELNS1_3gpuE5ELNS1_3repE0EEES8_NS1_28merge_sort_block_sort_configILj256ELj4ELNS0_20block_sort_algorithmE0EEENS0_14default_configENS1_37merge_sort_block_sort_config_selectorIjN6thrust23THRUST_200600_302600_NS5tupleIffNSF_9null_typeESH_SH_SH_SH_SH_SH_SH_EEEENS1_38merge_sort_block_merge_config_selectorIjSI_EEEEvv.has_recursion, 0
	.set _ZN7rocprim17ROCPRIM_400000_NS6detail44device_merge_sort_compile_time_verifier_archINS1_11comp_targetILNS1_3genE10ELNS1_11target_archE1201ELNS1_3gpuE5ELNS1_3repE0EEES8_NS1_28merge_sort_block_sort_configILj256ELj4ELNS0_20block_sort_algorithmE0EEENS0_14default_configENS1_37merge_sort_block_sort_config_selectorIjN6thrust23THRUST_200600_302600_NS5tupleIffNSF_9null_typeESH_SH_SH_SH_SH_SH_SH_EEEENS1_38merge_sort_block_merge_config_selectorIjSI_EEEEvv.has_indirect_call, 0
	.section	.AMDGPU.csdata,"",@progbits
; Kernel info:
; codeLenInByte = 4
; TotalNumSgprs: 0
; NumVgprs: 0
; ScratchSize: 0
; MemoryBound: 0
; FloatMode: 240
; IeeeMode: 1
; LDSByteSize: 0 bytes/workgroup (compile time only)
; SGPRBlocks: 0
; VGPRBlocks: 0
; NumSGPRsForWavesPerEU: 1
; NumVGPRsForWavesPerEU: 1
; Occupancy: 16
; WaveLimiterHint : 0
; COMPUTE_PGM_RSRC2:SCRATCH_EN: 0
; COMPUTE_PGM_RSRC2:USER_SGPR: 4
; COMPUTE_PGM_RSRC2:TRAP_HANDLER: 0
; COMPUTE_PGM_RSRC2:TGID_X_EN: 1
; COMPUTE_PGM_RSRC2:TGID_Y_EN: 0
; COMPUTE_PGM_RSRC2:TGID_Z_EN: 0
; COMPUTE_PGM_RSRC2:TIDIG_COMP_CNT: 0
	.section	.text._ZN7rocprim17ROCPRIM_400000_NS6detail44device_merge_sort_compile_time_verifier_archINS1_11comp_targetILNS1_3genE10ELNS1_11target_archE1200ELNS1_3gpuE4ELNS1_3repE0EEENS3_ILS4_10ELS5_1201ELS6_5ELS7_0EEENS1_28merge_sort_block_sort_configILj256ELj4ELNS0_20block_sort_algorithmE0EEENS0_14default_configENS1_37merge_sort_block_sort_config_selectorIjN6thrust23THRUST_200600_302600_NS5tupleIffNSG_9null_typeESI_SI_SI_SI_SI_SI_SI_EEEENS1_38merge_sort_block_merge_config_selectorIjSJ_EEEEvv,"axG",@progbits,_ZN7rocprim17ROCPRIM_400000_NS6detail44device_merge_sort_compile_time_verifier_archINS1_11comp_targetILNS1_3genE10ELNS1_11target_archE1200ELNS1_3gpuE4ELNS1_3repE0EEENS3_ILS4_10ELS5_1201ELS6_5ELS7_0EEENS1_28merge_sort_block_sort_configILj256ELj4ELNS0_20block_sort_algorithmE0EEENS0_14default_configENS1_37merge_sort_block_sort_config_selectorIjN6thrust23THRUST_200600_302600_NS5tupleIffNSG_9null_typeESI_SI_SI_SI_SI_SI_SI_EEEENS1_38merge_sort_block_merge_config_selectorIjSJ_EEEEvv,comdat
	.protected	_ZN7rocprim17ROCPRIM_400000_NS6detail44device_merge_sort_compile_time_verifier_archINS1_11comp_targetILNS1_3genE10ELNS1_11target_archE1200ELNS1_3gpuE4ELNS1_3repE0EEENS3_ILS4_10ELS5_1201ELS6_5ELS7_0EEENS1_28merge_sort_block_sort_configILj256ELj4ELNS0_20block_sort_algorithmE0EEENS0_14default_configENS1_37merge_sort_block_sort_config_selectorIjN6thrust23THRUST_200600_302600_NS5tupleIffNSG_9null_typeESI_SI_SI_SI_SI_SI_SI_EEEENS1_38merge_sort_block_merge_config_selectorIjSJ_EEEEvv ; -- Begin function _ZN7rocprim17ROCPRIM_400000_NS6detail44device_merge_sort_compile_time_verifier_archINS1_11comp_targetILNS1_3genE10ELNS1_11target_archE1200ELNS1_3gpuE4ELNS1_3repE0EEENS3_ILS4_10ELS5_1201ELS6_5ELS7_0EEENS1_28merge_sort_block_sort_configILj256ELj4ELNS0_20block_sort_algorithmE0EEENS0_14default_configENS1_37merge_sort_block_sort_config_selectorIjN6thrust23THRUST_200600_302600_NS5tupleIffNSG_9null_typeESI_SI_SI_SI_SI_SI_SI_EEEENS1_38merge_sort_block_merge_config_selectorIjSJ_EEEEvv
	.globl	_ZN7rocprim17ROCPRIM_400000_NS6detail44device_merge_sort_compile_time_verifier_archINS1_11comp_targetILNS1_3genE10ELNS1_11target_archE1200ELNS1_3gpuE4ELNS1_3repE0EEENS3_ILS4_10ELS5_1201ELS6_5ELS7_0EEENS1_28merge_sort_block_sort_configILj256ELj4ELNS0_20block_sort_algorithmE0EEENS0_14default_configENS1_37merge_sort_block_sort_config_selectorIjN6thrust23THRUST_200600_302600_NS5tupleIffNSG_9null_typeESI_SI_SI_SI_SI_SI_SI_EEEENS1_38merge_sort_block_merge_config_selectorIjSJ_EEEEvv
	.p2align	8
	.type	_ZN7rocprim17ROCPRIM_400000_NS6detail44device_merge_sort_compile_time_verifier_archINS1_11comp_targetILNS1_3genE10ELNS1_11target_archE1200ELNS1_3gpuE4ELNS1_3repE0EEENS3_ILS4_10ELS5_1201ELS6_5ELS7_0EEENS1_28merge_sort_block_sort_configILj256ELj4ELNS0_20block_sort_algorithmE0EEENS0_14default_configENS1_37merge_sort_block_sort_config_selectorIjN6thrust23THRUST_200600_302600_NS5tupleIffNSG_9null_typeESI_SI_SI_SI_SI_SI_SI_EEEENS1_38merge_sort_block_merge_config_selectorIjSJ_EEEEvv,@function
_ZN7rocprim17ROCPRIM_400000_NS6detail44device_merge_sort_compile_time_verifier_archINS1_11comp_targetILNS1_3genE10ELNS1_11target_archE1200ELNS1_3gpuE4ELNS1_3repE0EEENS3_ILS4_10ELS5_1201ELS6_5ELS7_0EEENS1_28merge_sort_block_sort_configILj256ELj4ELNS0_20block_sort_algorithmE0EEENS0_14default_configENS1_37merge_sort_block_sort_config_selectorIjN6thrust23THRUST_200600_302600_NS5tupleIffNSG_9null_typeESI_SI_SI_SI_SI_SI_SI_EEEENS1_38merge_sort_block_merge_config_selectorIjSJ_EEEEvv: ; @_ZN7rocprim17ROCPRIM_400000_NS6detail44device_merge_sort_compile_time_verifier_archINS1_11comp_targetILNS1_3genE10ELNS1_11target_archE1200ELNS1_3gpuE4ELNS1_3repE0EEENS3_ILS4_10ELS5_1201ELS6_5ELS7_0EEENS1_28merge_sort_block_sort_configILj256ELj4ELNS0_20block_sort_algorithmE0EEENS0_14default_configENS1_37merge_sort_block_sort_config_selectorIjN6thrust23THRUST_200600_302600_NS5tupleIffNSG_9null_typeESI_SI_SI_SI_SI_SI_SI_EEEENS1_38merge_sort_block_merge_config_selectorIjSJ_EEEEvv
; %bb.0:
	s_endpgm
	.section	.rodata,"a",@progbits
	.p2align	6, 0x0
	.amdhsa_kernel _ZN7rocprim17ROCPRIM_400000_NS6detail44device_merge_sort_compile_time_verifier_archINS1_11comp_targetILNS1_3genE10ELNS1_11target_archE1200ELNS1_3gpuE4ELNS1_3repE0EEENS3_ILS4_10ELS5_1201ELS6_5ELS7_0EEENS1_28merge_sort_block_sort_configILj256ELj4ELNS0_20block_sort_algorithmE0EEENS0_14default_configENS1_37merge_sort_block_sort_config_selectorIjN6thrust23THRUST_200600_302600_NS5tupleIffNSG_9null_typeESI_SI_SI_SI_SI_SI_SI_EEEENS1_38merge_sort_block_merge_config_selectorIjSJ_EEEEvv
		.amdhsa_group_segment_fixed_size 0
		.amdhsa_private_segment_fixed_size 0
		.amdhsa_kernarg_size 0
		.amdhsa_user_sgpr_count 4
		.amdhsa_user_sgpr_private_segment_buffer 1
		.amdhsa_user_sgpr_dispatch_ptr 0
		.amdhsa_user_sgpr_queue_ptr 0
		.amdhsa_user_sgpr_kernarg_segment_ptr 0
		.amdhsa_user_sgpr_dispatch_id 0
		.amdhsa_user_sgpr_flat_scratch_init 0
		.amdhsa_user_sgpr_private_segment_size 0
		.amdhsa_wavefront_size32 1
		.amdhsa_uses_dynamic_stack 0
		.amdhsa_system_sgpr_private_segment_wavefront_offset 0
		.amdhsa_system_sgpr_workgroup_id_x 1
		.amdhsa_system_sgpr_workgroup_id_y 0
		.amdhsa_system_sgpr_workgroup_id_z 0
		.amdhsa_system_sgpr_workgroup_info 0
		.amdhsa_system_vgpr_workitem_id 0
		.amdhsa_next_free_vgpr 1
		.amdhsa_next_free_sgpr 1
		.amdhsa_reserve_vcc 0
		.amdhsa_reserve_flat_scratch 0
		.amdhsa_float_round_mode_32 0
		.amdhsa_float_round_mode_16_64 0
		.amdhsa_float_denorm_mode_32 3
		.amdhsa_float_denorm_mode_16_64 3
		.amdhsa_dx10_clamp 1
		.amdhsa_ieee_mode 1
		.amdhsa_fp16_overflow 0
		.amdhsa_workgroup_processor_mode 1
		.amdhsa_memory_ordered 1
		.amdhsa_forward_progress 1
		.amdhsa_shared_vgpr_count 0
		.amdhsa_exception_fp_ieee_invalid_op 0
		.amdhsa_exception_fp_denorm_src 0
		.amdhsa_exception_fp_ieee_div_zero 0
		.amdhsa_exception_fp_ieee_overflow 0
		.amdhsa_exception_fp_ieee_underflow 0
		.amdhsa_exception_fp_ieee_inexact 0
		.amdhsa_exception_int_div_zero 0
	.end_amdhsa_kernel
	.section	.text._ZN7rocprim17ROCPRIM_400000_NS6detail44device_merge_sort_compile_time_verifier_archINS1_11comp_targetILNS1_3genE10ELNS1_11target_archE1200ELNS1_3gpuE4ELNS1_3repE0EEENS3_ILS4_10ELS5_1201ELS6_5ELS7_0EEENS1_28merge_sort_block_sort_configILj256ELj4ELNS0_20block_sort_algorithmE0EEENS0_14default_configENS1_37merge_sort_block_sort_config_selectorIjN6thrust23THRUST_200600_302600_NS5tupleIffNSG_9null_typeESI_SI_SI_SI_SI_SI_SI_EEEENS1_38merge_sort_block_merge_config_selectorIjSJ_EEEEvv,"axG",@progbits,_ZN7rocprim17ROCPRIM_400000_NS6detail44device_merge_sort_compile_time_verifier_archINS1_11comp_targetILNS1_3genE10ELNS1_11target_archE1200ELNS1_3gpuE4ELNS1_3repE0EEENS3_ILS4_10ELS5_1201ELS6_5ELS7_0EEENS1_28merge_sort_block_sort_configILj256ELj4ELNS0_20block_sort_algorithmE0EEENS0_14default_configENS1_37merge_sort_block_sort_config_selectorIjN6thrust23THRUST_200600_302600_NS5tupleIffNSG_9null_typeESI_SI_SI_SI_SI_SI_SI_EEEENS1_38merge_sort_block_merge_config_selectorIjSJ_EEEEvv,comdat
.Lfunc_end22:
	.size	_ZN7rocprim17ROCPRIM_400000_NS6detail44device_merge_sort_compile_time_verifier_archINS1_11comp_targetILNS1_3genE10ELNS1_11target_archE1200ELNS1_3gpuE4ELNS1_3repE0EEENS3_ILS4_10ELS5_1201ELS6_5ELS7_0EEENS1_28merge_sort_block_sort_configILj256ELj4ELNS0_20block_sort_algorithmE0EEENS0_14default_configENS1_37merge_sort_block_sort_config_selectorIjN6thrust23THRUST_200600_302600_NS5tupleIffNSG_9null_typeESI_SI_SI_SI_SI_SI_SI_EEEENS1_38merge_sort_block_merge_config_selectorIjSJ_EEEEvv, .Lfunc_end22-_ZN7rocprim17ROCPRIM_400000_NS6detail44device_merge_sort_compile_time_verifier_archINS1_11comp_targetILNS1_3genE10ELNS1_11target_archE1200ELNS1_3gpuE4ELNS1_3repE0EEENS3_ILS4_10ELS5_1201ELS6_5ELS7_0EEENS1_28merge_sort_block_sort_configILj256ELj4ELNS0_20block_sort_algorithmE0EEENS0_14default_configENS1_37merge_sort_block_sort_config_selectorIjN6thrust23THRUST_200600_302600_NS5tupleIffNSG_9null_typeESI_SI_SI_SI_SI_SI_SI_EEEENS1_38merge_sort_block_merge_config_selectorIjSJ_EEEEvv
                                        ; -- End function
	.set _ZN7rocprim17ROCPRIM_400000_NS6detail44device_merge_sort_compile_time_verifier_archINS1_11comp_targetILNS1_3genE10ELNS1_11target_archE1200ELNS1_3gpuE4ELNS1_3repE0EEENS3_ILS4_10ELS5_1201ELS6_5ELS7_0EEENS1_28merge_sort_block_sort_configILj256ELj4ELNS0_20block_sort_algorithmE0EEENS0_14default_configENS1_37merge_sort_block_sort_config_selectorIjN6thrust23THRUST_200600_302600_NS5tupleIffNSG_9null_typeESI_SI_SI_SI_SI_SI_SI_EEEENS1_38merge_sort_block_merge_config_selectorIjSJ_EEEEvv.num_vgpr, 0
	.set _ZN7rocprim17ROCPRIM_400000_NS6detail44device_merge_sort_compile_time_verifier_archINS1_11comp_targetILNS1_3genE10ELNS1_11target_archE1200ELNS1_3gpuE4ELNS1_3repE0EEENS3_ILS4_10ELS5_1201ELS6_5ELS7_0EEENS1_28merge_sort_block_sort_configILj256ELj4ELNS0_20block_sort_algorithmE0EEENS0_14default_configENS1_37merge_sort_block_sort_config_selectorIjN6thrust23THRUST_200600_302600_NS5tupleIffNSG_9null_typeESI_SI_SI_SI_SI_SI_SI_EEEENS1_38merge_sort_block_merge_config_selectorIjSJ_EEEEvv.num_agpr, 0
	.set _ZN7rocprim17ROCPRIM_400000_NS6detail44device_merge_sort_compile_time_verifier_archINS1_11comp_targetILNS1_3genE10ELNS1_11target_archE1200ELNS1_3gpuE4ELNS1_3repE0EEENS3_ILS4_10ELS5_1201ELS6_5ELS7_0EEENS1_28merge_sort_block_sort_configILj256ELj4ELNS0_20block_sort_algorithmE0EEENS0_14default_configENS1_37merge_sort_block_sort_config_selectorIjN6thrust23THRUST_200600_302600_NS5tupleIffNSG_9null_typeESI_SI_SI_SI_SI_SI_SI_EEEENS1_38merge_sort_block_merge_config_selectorIjSJ_EEEEvv.numbered_sgpr, 0
	.set _ZN7rocprim17ROCPRIM_400000_NS6detail44device_merge_sort_compile_time_verifier_archINS1_11comp_targetILNS1_3genE10ELNS1_11target_archE1200ELNS1_3gpuE4ELNS1_3repE0EEENS3_ILS4_10ELS5_1201ELS6_5ELS7_0EEENS1_28merge_sort_block_sort_configILj256ELj4ELNS0_20block_sort_algorithmE0EEENS0_14default_configENS1_37merge_sort_block_sort_config_selectorIjN6thrust23THRUST_200600_302600_NS5tupleIffNSG_9null_typeESI_SI_SI_SI_SI_SI_SI_EEEENS1_38merge_sort_block_merge_config_selectorIjSJ_EEEEvv.num_named_barrier, 0
	.set _ZN7rocprim17ROCPRIM_400000_NS6detail44device_merge_sort_compile_time_verifier_archINS1_11comp_targetILNS1_3genE10ELNS1_11target_archE1200ELNS1_3gpuE4ELNS1_3repE0EEENS3_ILS4_10ELS5_1201ELS6_5ELS7_0EEENS1_28merge_sort_block_sort_configILj256ELj4ELNS0_20block_sort_algorithmE0EEENS0_14default_configENS1_37merge_sort_block_sort_config_selectorIjN6thrust23THRUST_200600_302600_NS5tupleIffNSG_9null_typeESI_SI_SI_SI_SI_SI_SI_EEEENS1_38merge_sort_block_merge_config_selectorIjSJ_EEEEvv.private_seg_size, 0
	.set _ZN7rocprim17ROCPRIM_400000_NS6detail44device_merge_sort_compile_time_verifier_archINS1_11comp_targetILNS1_3genE10ELNS1_11target_archE1200ELNS1_3gpuE4ELNS1_3repE0EEENS3_ILS4_10ELS5_1201ELS6_5ELS7_0EEENS1_28merge_sort_block_sort_configILj256ELj4ELNS0_20block_sort_algorithmE0EEENS0_14default_configENS1_37merge_sort_block_sort_config_selectorIjN6thrust23THRUST_200600_302600_NS5tupleIffNSG_9null_typeESI_SI_SI_SI_SI_SI_SI_EEEENS1_38merge_sort_block_merge_config_selectorIjSJ_EEEEvv.uses_vcc, 0
	.set _ZN7rocprim17ROCPRIM_400000_NS6detail44device_merge_sort_compile_time_verifier_archINS1_11comp_targetILNS1_3genE10ELNS1_11target_archE1200ELNS1_3gpuE4ELNS1_3repE0EEENS3_ILS4_10ELS5_1201ELS6_5ELS7_0EEENS1_28merge_sort_block_sort_configILj256ELj4ELNS0_20block_sort_algorithmE0EEENS0_14default_configENS1_37merge_sort_block_sort_config_selectorIjN6thrust23THRUST_200600_302600_NS5tupleIffNSG_9null_typeESI_SI_SI_SI_SI_SI_SI_EEEENS1_38merge_sort_block_merge_config_selectorIjSJ_EEEEvv.uses_flat_scratch, 0
	.set _ZN7rocprim17ROCPRIM_400000_NS6detail44device_merge_sort_compile_time_verifier_archINS1_11comp_targetILNS1_3genE10ELNS1_11target_archE1200ELNS1_3gpuE4ELNS1_3repE0EEENS3_ILS4_10ELS5_1201ELS6_5ELS7_0EEENS1_28merge_sort_block_sort_configILj256ELj4ELNS0_20block_sort_algorithmE0EEENS0_14default_configENS1_37merge_sort_block_sort_config_selectorIjN6thrust23THRUST_200600_302600_NS5tupleIffNSG_9null_typeESI_SI_SI_SI_SI_SI_SI_EEEENS1_38merge_sort_block_merge_config_selectorIjSJ_EEEEvv.has_dyn_sized_stack, 0
	.set _ZN7rocprim17ROCPRIM_400000_NS6detail44device_merge_sort_compile_time_verifier_archINS1_11comp_targetILNS1_3genE10ELNS1_11target_archE1200ELNS1_3gpuE4ELNS1_3repE0EEENS3_ILS4_10ELS5_1201ELS6_5ELS7_0EEENS1_28merge_sort_block_sort_configILj256ELj4ELNS0_20block_sort_algorithmE0EEENS0_14default_configENS1_37merge_sort_block_sort_config_selectorIjN6thrust23THRUST_200600_302600_NS5tupleIffNSG_9null_typeESI_SI_SI_SI_SI_SI_SI_EEEENS1_38merge_sort_block_merge_config_selectorIjSJ_EEEEvv.has_recursion, 0
	.set _ZN7rocprim17ROCPRIM_400000_NS6detail44device_merge_sort_compile_time_verifier_archINS1_11comp_targetILNS1_3genE10ELNS1_11target_archE1200ELNS1_3gpuE4ELNS1_3repE0EEENS3_ILS4_10ELS5_1201ELS6_5ELS7_0EEENS1_28merge_sort_block_sort_configILj256ELj4ELNS0_20block_sort_algorithmE0EEENS0_14default_configENS1_37merge_sort_block_sort_config_selectorIjN6thrust23THRUST_200600_302600_NS5tupleIffNSG_9null_typeESI_SI_SI_SI_SI_SI_SI_EEEENS1_38merge_sort_block_merge_config_selectorIjSJ_EEEEvv.has_indirect_call, 0
	.section	.AMDGPU.csdata,"",@progbits
; Kernel info:
; codeLenInByte = 4
; TotalNumSgprs: 0
; NumVgprs: 0
; ScratchSize: 0
; MemoryBound: 0
; FloatMode: 240
; IeeeMode: 1
; LDSByteSize: 0 bytes/workgroup (compile time only)
; SGPRBlocks: 0
; VGPRBlocks: 0
; NumSGPRsForWavesPerEU: 1
; NumVGPRsForWavesPerEU: 1
; Occupancy: 16
; WaveLimiterHint : 0
; COMPUTE_PGM_RSRC2:SCRATCH_EN: 0
; COMPUTE_PGM_RSRC2:USER_SGPR: 4
; COMPUTE_PGM_RSRC2:TRAP_HANDLER: 0
; COMPUTE_PGM_RSRC2:TGID_X_EN: 1
; COMPUTE_PGM_RSRC2:TGID_Y_EN: 0
; COMPUTE_PGM_RSRC2:TGID_Z_EN: 0
; COMPUTE_PGM_RSRC2:TIDIG_COMP_CNT: 0
	.section	.text._ZN7rocprim17ROCPRIM_400000_NS6detail44device_merge_sort_compile_time_verifier_archINS1_11comp_targetILNS1_3genE9ELNS1_11target_archE1100ELNS1_3gpuE3ELNS1_3repE0EEES8_NS1_28merge_sort_block_sort_configILj256ELj4ELNS0_20block_sort_algorithmE0EEENS0_14default_configENS1_37merge_sort_block_sort_config_selectorIjN6thrust23THRUST_200600_302600_NS5tupleIffNSF_9null_typeESH_SH_SH_SH_SH_SH_SH_EEEENS1_38merge_sort_block_merge_config_selectorIjSI_EEEEvv,"axG",@progbits,_ZN7rocprim17ROCPRIM_400000_NS6detail44device_merge_sort_compile_time_verifier_archINS1_11comp_targetILNS1_3genE9ELNS1_11target_archE1100ELNS1_3gpuE3ELNS1_3repE0EEES8_NS1_28merge_sort_block_sort_configILj256ELj4ELNS0_20block_sort_algorithmE0EEENS0_14default_configENS1_37merge_sort_block_sort_config_selectorIjN6thrust23THRUST_200600_302600_NS5tupleIffNSF_9null_typeESH_SH_SH_SH_SH_SH_SH_EEEENS1_38merge_sort_block_merge_config_selectorIjSI_EEEEvv,comdat
	.protected	_ZN7rocprim17ROCPRIM_400000_NS6detail44device_merge_sort_compile_time_verifier_archINS1_11comp_targetILNS1_3genE9ELNS1_11target_archE1100ELNS1_3gpuE3ELNS1_3repE0EEES8_NS1_28merge_sort_block_sort_configILj256ELj4ELNS0_20block_sort_algorithmE0EEENS0_14default_configENS1_37merge_sort_block_sort_config_selectorIjN6thrust23THRUST_200600_302600_NS5tupleIffNSF_9null_typeESH_SH_SH_SH_SH_SH_SH_EEEENS1_38merge_sort_block_merge_config_selectorIjSI_EEEEvv ; -- Begin function _ZN7rocprim17ROCPRIM_400000_NS6detail44device_merge_sort_compile_time_verifier_archINS1_11comp_targetILNS1_3genE9ELNS1_11target_archE1100ELNS1_3gpuE3ELNS1_3repE0EEES8_NS1_28merge_sort_block_sort_configILj256ELj4ELNS0_20block_sort_algorithmE0EEENS0_14default_configENS1_37merge_sort_block_sort_config_selectorIjN6thrust23THRUST_200600_302600_NS5tupleIffNSF_9null_typeESH_SH_SH_SH_SH_SH_SH_EEEENS1_38merge_sort_block_merge_config_selectorIjSI_EEEEvv
	.globl	_ZN7rocprim17ROCPRIM_400000_NS6detail44device_merge_sort_compile_time_verifier_archINS1_11comp_targetILNS1_3genE9ELNS1_11target_archE1100ELNS1_3gpuE3ELNS1_3repE0EEES8_NS1_28merge_sort_block_sort_configILj256ELj4ELNS0_20block_sort_algorithmE0EEENS0_14default_configENS1_37merge_sort_block_sort_config_selectorIjN6thrust23THRUST_200600_302600_NS5tupleIffNSF_9null_typeESH_SH_SH_SH_SH_SH_SH_EEEENS1_38merge_sort_block_merge_config_selectorIjSI_EEEEvv
	.p2align	8
	.type	_ZN7rocprim17ROCPRIM_400000_NS6detail44device_merge_sort_compile_time_verifier_archINS1_11comp_targetILNS1_3genE9ELNS1_11target_archE1100ELNS1_3gpuE3ELNS1_3repE0EEES8_NS1_28merge_sort_block_sort_configILj256ELj4ELNS0_20block_sort_algorithmE0EEENS0_14default_configENS1_37merge_sort_block_sort_config_selectorIjN6thrust23THRUST_200600_302600_NS5tupleIffNSF_9null_typeESH_SH_SH_SH_SH_SH_SH_EEEENS1_38merge_sort_block_merge_config_selectorIjSI_EEEEvv,@function
_ZN7rocprim17ROCPRIM_400000_NS6detail44device_merge_sort_compile_time_verifier_archINS1_11comp_targetILNS1_3genE9ELNS1_11target_archE1100ELNS1_3gpuE3ELNS1_3repE0EEES8_NS1_28merge_sort_block_sort_configILj256ELj4ELNS0_20block_sort_algorithmE0EEENS0_14default_configENS1_37merge_sort_block_sort_config_selectorIjN6thrust23THRUST_200600_302600_NS5tupleIffNSF_9null_typeESH_SH_SH_SH_SH_SH_SH_EEEENS1_38merge_sort_block_merge_config_selectorIjSI_EEEEvv: ; @_ZN7rocprim17ROCPRIM_400000_NS6detail44device_merge_sort_compile_time_verifier_archINS1_11comp_targetILNS1_3genE9ELNS1_11target_archE1100ELNS1_3gpuE3ELNS1_3repE0EEES8_NS1_28merge_sort_block_sort_configILj256ELj4ELNS0_20block_sort_algorithmE0EEENS0_14default_configENS1_37merge_sort_block_sort_config_selectorIjN6thrust23THRUST_200600_302600_NS5tupleIffNSF_9null_typeESH_SH_SH_SH_SH_SH_SH_EEEENS1_38merge_sort_block_merge_config_selectorIjSI_EEEEvv
; %bb.0:
	s_endpgm
	.section	.rodata,"a",@progbits
	.p2align	6, 0x0
	.amdhsa_kernel _ZN7rocprim17ROCPRIM_400000_NS6detail44device_merge_sort_compile_time_verifier_archINS1_11comp_targetILNS1_3genE9ELNS1_11target_archE1100ELNS1_3gpuE3ELNS1_3repE0EEES8_NS1_28merge_sort_block_sort_configILj256ELj4ELNS0_20block_sort_algorithmE0EEENS0_14default_configENS1_37merge_sort_block_sort_config_selectorIjN6thrust23THRUST_200600_302600_NS5tupleIffNSF_9null_typeESH_SH_SH_SH_SH_SH_SH_EEEENS1_38merge_sort_block_merge_config_selectorIjSI_EEEEvv
		.amdhsa_group_segment_fixed_size 0
		.amdhsa_private_segment_fixed_size 0
		.amdhsa_kernarg_size 0
		.amdhsa_user_sgpr_count 4
		.amdhsa_user_sgpr_private_segment_buffer 1
		.amdhsa_user_sgpr_dispatch_ptr 0
		.amdhsa_user_sgpr_queue_ptr 0
		.amdhsa_user_sgpr_kernarg_segment_ptr 0
		.amdhsa_user_sgpr_dispatch_id 0
		.amdhsa_user_sgpr_flat_scratch_init 0
		.amdhsa_user_sgpr_private_segment_size 0
		.amdhsa_wavefront_size32 1
		.amdhsa_uses_dynamic_stack 0
		.amdhsa_system_sgpr_private_segment_wavefront_offset 0
		.amdhsa_system_sgpr_workgroup_id_x 1
		.amdhsa_system_sgpr_workgroup_id_y 0
		.amdhsa_system_sgpr_workgroup_id_z 0
		.amdhsa_system_sgpr_workgroup_info 0
		.amdhsa_system_vgpr_workitem_id 0
		.amdhsa_next_free_vgpr 1
		.amdhsa_next_free_sgpr 1
		.amdhsa_reserve_vcc 0
		.amdhsa_reserve_flat_scratch 0
		.amdhsa_float_round_mode_32 0
		.amdhsa_float_round_mode_16_64 0
		.amdhsa_float_denorm_mode_32 3
		.amdhsa_float_denorm_mode_16_64 3
		.amdhsa_dx10_clamp 1
		.amdhsa_ieee_mode 1
		.amdhsa_fp16_overflow 0
		.amdhsa_workgroup_processor_mode 1
		.amdhsa_memory_ordered 1
		.amdhsa_forward_progress 1
		.amdhsa_shared_vgpr_count 0
		.amdhsa_exception_fp_ieee_invalid_op 0
		.amdhsa_exception_fp_denorm_src 0
		.amdhsa_exception_fp_ieee_div_zero 0
		.amdhsa_exception_fp_ieee_overflow 0
		.amdhsa_exception_fp_ieee_underflow 0
		.amdhsa_exception_fp_ieee_inexact 0
		.amdhsa_exception_int_div_zero 0
	.end_amdhsa_kernel
	.section	.text._ZN7rocprim17ROCPRIM_400000_NS6detail44device_merge_sort_compile_time_verifier_archINS1_11comp_targetILNS1_3genE9ELNS1_11target_archE1100ELNS1_3gpuE3ELNS1_3repE0EEES8_NS1_28merge_sort_block_sort_configILj256ELj4ELNS0_20block_sort_algorithmE0EEENS0_14default_configENS1_37merge_sort_block_sort_config_selectorIjN6thrust23THRUST_200600_302600_NS5tupleIffNSF_9null_typeESH_SH_SH_SH_SH_SH_SH_EEEENS1_38merge_sort_block_merge_config_selectorIjSI_EEEEvv,"axG",@progbits,_ZN7rocprim17ROCPRIM_400000_NS6detail44device_merge_sort_compile_time_verifier_archINS1_11comp_targetILNS1_3genE9ELNS1_11target_archE1100ELNS1_3gpuE3ELNS1_3repE0EEES8_NS1_28merge_sort_block_sort_configILj256ELj4ELNS0_20block_sort_algorithmE0EEENS0_14default_configENS1_37merge_sort_block_sort_config_selectorIjN6thrust23THRUST_200600_302600_NS5tupleIffNSF_9null_typeESH_SH_SH_SH_SH_SH_SH_EEEENS1_38merge_sort_block_merge_config_selectorIjSI_EEEEvv,comdat
.Lfunc_end23:
	.size	_ZN7rocprim17ROCPRIM_400000_NS6detail44device_merge_sort_compile_time_verifier_archINS1_11comp_targetILNS1_3genE9ELNS1_11target_archE1100ELNS1_3gpuE3ELNS1_3repE0EEES8_NS1_28merge_sort_block_sort_configILj256ELj4ELNS0_20block_sort_algorithmE0EEENS0_14default_configENS1_37merge_sort_block_sort_config_selectorIjN6thrust23THRUST_200600_302600_NS5tupleIffNSF_9null_typeESH_SH_SH_SH_SH_SH_SH_EEEENS1_38merge_sort_block_merge_config_selectorIjSI_EEEEvv, .Lfunc_end23-_ZN7rocprim17ROCPRIM_400000_NS6detail44device_merge_sort_compile_time_verifier_archINS1_11comp_targetILNS1_3genE9ELNS1_11target_archE1100ELNS1_3gpuE3ELNS1_3repE0EEES8_NS1_28merge_sort_block_sort_configILj256ELj4ELNS0_20block_sort_algorithmE0EEENS0_14default_configENS1_37merge_sort_block_sort_config_selectorIjN6thrust23THRUST_200600_302600_NS5tupleIffNSF_9null_typeESH_SH_SH_SH_SH_SH_SH_EEEENS1_38merge_sort_block_merge_config_selectorIjSI_EEEEvv
                                        ; -- End function
	.set _ZN7rocprim17ROCPRIM_400000_NS6detail44device_merge_sort_compile_time_verifier_archINS1_11comp_targetILNS1_3genE9ELNS1_11target_archE1100ELNS1_3gpuE3ELNS1_3repE0EEES8_NS1_28merge_sort_block_sort_configILj256ELj4ELNS0_20block_sort_algorithmE0EEENS0_14default_configENS1_37merge_sort_block_sort_config_selectorIjN6thrust23THRUST_200600_302600_NS5tupleIffNSF_9null_typeESH_SH_SH_SH_SH_SH_SH_EEEENS1_38merge_sort_block_merge_config_selectorIjSI_EEEEvv.num_vgpr, 0
	.set _ZN7rocprim17ROCPRIM_400000_NS6detail44device_merge_sort_compile_time_verifier_archINS1_11comp_targetILNS1_3genE9ELNS1_11target_archE1100ELNS1_3gpuE3ELNS1_3repE0EEES8_NS1_28merge_sort_block_sort_configILj256ELj4ELNS0_20block_sort_algorithmE0EEENS0_14default_configENS1_37merge_sort_block_sort_config_selectorIjN6thrust23THRUST_200600_302600_NS5tupleIffNSF_9null_typeESH_SH_SH_SH_SH_SH_SH_EEEENS1_38merge_sort_block_merge_config_selectorIjSI_EEEEvv.num_agpr, 0
	.set _ZN7rocprim17ROCPRIM_400000_NS6detail44device_merge_sort_compile_time_verifier_archINS1_11comp_targetILNS1_3genE9ELNS1_11target_archE1100ELNS1_3gpuE3ELNS1_3repE0EEES8_NS1_28merge_sort_block_sort_configILj256ELj4ELNS0_20block_sort_algorithmE0EEENS0_14default_configENS1_37merge_sort_block_sort_config_selectorIjN6thrust23THRUST_200600_302600_NS5tupleIffNSF_9null_typeESH_SH_SH_SH_SH_SH_SH_EEEENS1_38merge_sort_block_merge_config_selectorIjSI_EEEEvv.numbered_sgpr, 0
	.set _ZN7rocprim17ROCPRIM_400000_NS6detail44device_merge_sort_compile_time_verifier_archINS1_11comp_targetILNS1_3genE9ELNS1_11target_archE1100ELNS1_3gpuE3ELNS1_3repE0EEES8_NS1_28merge_sort_block_sort_configILj256ELj4ELNS0_20block_sort_algorithmE0EEENS0_14default_configENS1_37merge_sort_block_sort_config_selectorIjN6thrust23THRUST_200600_302600_NS5tupleIffNSF_9null_typeESH_SH_SH_SH_SH_SH_SH_EEEENS1_38merge_sort_block_merge_config_selectorIjSI_EEEEvv.num_named_barrier, 0
	.set _ZN7rocprim17ROCPRIM_400000_NS6detail44device_merge_sort_compile_time_verifier_archINS1_11comp_targetILNS1_3genE9ELNS1_11target_archE1100ELNS1_3gpuE3ELNS1_3repE0EEES8_NS1_28merge_sort_block_sort_configILj256ELj4ELNS0_20block_sort_algorithmE0EEENS0_14default_configENS1_37merge_sort_block_sort_config_selectorIjN6thrust23THRUST_200600_302600_NS5tupleIffNSF_9null_typeESH_SH_SH_SH_SH_SH_SH_EEEENS1_38merge_sort_block_merge_config_selectorIjSI_EEEEvv.private_seg_size, 0
	.set _ZN7rocprim17ROCPRIM_400000_NS6detail44device_merge_sort_compile_time_verifier_archINS1_11comp_targetILNS1_3genE9ELNS1_11target_archE1100ELNS1_3gpuE3ELNS1_3repE0EEES8_NS1_28merge_sort_block_sort_configILj256ELj4ELNS0_20block_sort_algorithmE0EEENS0_14default_configENS1_37merge_sort_block_sort_config_selectorIjN6thrust23THRUST_200600_302600_NS5tupleIffNSF_9null_typeESH_SH_SH_SH_SH_SH_SH_EEEENS1_38merge_sort_block_merge_config_selectorIjSI_EEEEvv.uses_vcc, 0
	.set _ZN7rocprim17ROCPRIM_400000_NS6detail44device_merge_sort_compile_time_verifier_archINS1_11comp_targetILNS1_3genE9ELNS1_11target_archE1100ELNS1_3gpuE3ELNS1_3repE0EEES8_NS1_28merge_sort_block_sort_configILj256ELj4ELNS0_20block_sort_algorithmE0EEENS0_14default_configENS1_37merge_sort_block_sort_config_selectorIjN6thrust23THRUST_200600_302600_NS5tupleIffNSF_9null_typeESH_SH_SH_SH_SH_SH_SH_EEEENS1_38merge_sort_block_merge_config_selectorIjSI_EEEEvv.uses_flat_scratch, 0
	.set _ZN7rocprim17ROCPRIM_400000_NS6detail44device_merge_sort_compile_time_verifier_archINS1_11comp_targetILNS1_3genE9ELNS1_11target_archE1100ELNS1_3gpuE3ELNS1_3repE0EEES8_NS1_28merge_sort_block_sort_configILj256ELj4ELNS0_20block_sort_algorithmE0EEENS0_14default_configENS1_37merge_sort_block_sort_config_selectorIjN6thrust23THRUST_200600_302600_NS5tupleIffNSF_9null_typeESH_SH_SH_SH_SH_SH_SH_EEEENS1_38merge_sort_block_merge_config_selectorIjSI_EEEEvv.has_dyn_sized_stack, 0
	.set _ZN7rocprim17ROCPRIM_400000_NS6detail44device_merge_sort_compile_time_verifier_archINS1_11comp_targetILNS1_3genE9ELNS1_11target_archE1100ELNS1_3gpuE3ELNS1_3repE0EEES8_NS1_28merge_sort_block_sort_configILj256ELj4ELNS0_20block_sort_algorithmE0EEENS0_14default_configENS1_37merge_sort_block_sort_config_selectorIjN6thrust23THRUST_200600_302600_NS5tupleIffNSF_9null_typeESH_SH_SH_SH_SH_SH_SH_EEEENS1_38merge_sort_block_merge_config_selectorIjSI_EEEEvv.has_recursion, 0
	.set _ZN7rocprim17ROCPRIM_400000_NS6detail44device_merge_sort_compile_time_verifier_archINS1_11comp_targetILNS1_3genE9ELNS1_11target_archE1100ELNS1_3gpuE3ELNS1_3repE0EEES8_NS1_28merge_sort_block_sort_configILj256ELj4ELNS0_20block_sort_algorithmE0EEENS0_14default_configENS1_37merge_sort_block_sort_config_selectorIjN6thrust23THRUST_200600_302600_NS5tupleIffNSF_9null_typeESH_SH_SH_SH_SH_SH_SH_EEEENS1_38merge_sort_block_merge_config_selectorIjSI_EEEEvv.has_indirect_call, 0
	.section	.AMDGPU.csdata,"",@progbits
; Kernel info:
; codeLenInByte = 4
; TotalNumSgprs: 0
; NumVgprs: 0
; ScratchSize: 0
; MemoryBound: 0
; FloatMode: 240
; IeeeMode: 1
; LDSByteSize: 0 bytes/workgroup (compile time only)
; SGPRBlocks: 0
; VGPRBlocks: 0
; NumSGPRsForWavesPerEU: 1
; NumVGPRsForWavesPerEU: 1
; Occupancy: 16
; WaveLimiterHint : 0
; COMPUTE_PGM_RSRC2:SCRATCH_EN: 0
; COMPUTE_PGM_RSRC2:USER_SGPR: 4
; COMPUTE_PGM_RSRC2:TRAP_HANDLER: 0
; COMPUTE_PGM_RSRC2:TGID_X_EN: 1
; COMPUTE_PGM_RSRC2:TGID_Y_EN: 0
; COMPUTE_PGM_RSRC2:TGID_Z_EN: 0
; COMPUTE_PGM_RSRC2:TIDIG_COMP_CNT: 0
	.section	.text._ZN7rocprim17ROCPRIM_400000_NS6detail44device_merge_sort_compile_time_verifier_archINS1_11comp_targetILNS1_3genE8ELNS1_11target_archE1030ELNS1_3gpuE2ELNS1_3repE0EEES8_NS1_28merge_sort_block_sort_configILj256ELj4ELNS0_20block_sort_algorithmE0EEENS0_14default_configENS1_37merge_sort_block_sort_config_selectorIjN6thrust23THRUST_200600_302600_NS5tupleIffNSF_9null_typeESH_SH_SH_SH_SH_SH_SH_EEEENS1_38merge_sort_block_merge_config_selectorIjSI_EEEEvv,"axG",@progbits,_ZN7rocprim17ROCPRIM_400000_NS6detail44device_merge_sort_compile_time_verifier_archINS1_11comp_targetILNS1_3genE8ELNS1_11target_archE1030ELNS1_3gpuE2ELNS1_3repE0EEES8_NS1_28merge_sort_block_sort_configILj256ELj4ELNS0_20block_sort_algorithmE0EEENS0_14default_configENS1_37merge_sort_block_sort_config_selectorIjN6thrust23THRUST_200600_302600_NS5tupleIffNSF_9null_typeESH_SH_SH_SH_SH_SH_SH_EEEENS1_38merge_sort_block_merge_config_selectorIjSI_EEEEvv,comdat
	.protected	_ZN7rocprim17ROCPRIM_400000_NS6detail44device_merge_sort_compile_time_verifier_archINS1_11comp_targetILNS1_3genE8ELNS1_11target_archE1030ELNS1_3gpuE2ELNS1_3repE0EEES8_NS1_28merge_sort_block_sort_configILj256ELj4ELNS0_20block_sort_algorithmE0EEENS0_14default_configENS1_37merge_sort_block_sort_config_selectorIjN6thrust23THRUST_200600_302600_NS5tupleIffNSF_9null_typeESH_SH_SH_SH_SH_SH_SH_EEEENS1_38merge_sort_block_merge_config_selectorIjSI_EEEEvv ; -- Begin function _ZN7rocprim17ROCPRIM_400000_NS6detail44device_merge_sort_compile_time_verifier_archINS1_11comp_targetILNS1_3genE8ELNS1_11target_archE1030ELNS1_3gpuE2ELNS1_3repE0EEES8_NS1_28merge_sort_block_sort_configILj256ELj4ELNS0_20block_sort_algorithmE0EEENS0_14default_configENS1_37merge_sort_block_sort_config_selectorIjN6thrust23THRUST_200600_302600_NS5tupleIffNSF_9null_typeESH_SH_SH_SH_SH_SH_SH_EEEENS1_38merge_sort_block_merge_config_selectorIjSI_EEEEvv
	.globl	_ZN7rocprim17ROCPRIM_400000_NS6detail44device_merge_sort_compile_time_verifier_archINS1_11comp_targetILNS1_3genE8ELNS1_11target_archE1030ELNS1_3gpuE2ELNS1_3repE0EEES8_NS1_28merge_sort_block_sort_configILj256ELj4ELNS0_20block_sort_algorithmE0EEENS0_14default_configENS1_37merge_sort_block_sort_config_selectorIjN6thrust23THRUST_200600_302600_NS5tupleIffNSF_9null_typeESH_SH_SH_SH_SH_SH_SH_EEEENS1_38merge_sort_block_merge_config_selectorIjSI_EEEEvv
	.p2align	8
	.type	_ZN7rocprim17ROCPRIM_400000_NS6detail44device_merge_sort_compile_time_verifier_archINS1_11comp_targetILNS1_3genE8ELNS1_11target_archE1030ELNS1_3gpuE2ELNS1_3repE0EEES8_NS1_28merge_sort_block_sort_configILj256ELj4ELNS0_20block_sort_algorithmE0EEENS0_14default_configENS1_37merge_sort_block_sort_config_selectorIjN6thrust23THRUST_200600_302600_NS5tupleIffNSF_9null_typeESH_SH_SH_SH_SH_SH_SH_EEEENS1_38merge_sort_block_merge_config_selectorIjSI_EEEEvv,@function
_ZN7rocprim17ROCPRIM_400000_NS6detail44device_merge_sort_compile_time_verifier_archINS1_11comp_targetILNS1_3genE8ELNS1_11target_archE1030ELNS1_3gpuE2ELNS1_3repE0EEES8_NS1_28merge_sort_block_sort_configILj256ELj4ELNS0_20block_sort_algorithmE0EEENS0_14default_configENS1_37merge_sort_block_sort_config_selectorIjN6thrust23THRUST_200600_302600_NS5tupleIffNSF_9null_typeESH_SH_SH_SH_SH_SH_SH_EEEENS1_38merge_sort_block_merge_config_selectorIjSI_EEEEvv: ; @_ZN7rocprim17ROCPRIM_400000_NS6detail44device_merge_sort_compile_time_verifier_archINS1_11comp_targetILNS1_3genE8ELNS1_11target_archE1030ELNS1_3gpuE2ELNS1_3repE0EEES8_NS1_28merge_sort_block_sort_configILj256ELj4ELNS0_20block_sort_algorithmE0EEENS0_14default_configENS1_37merge_sort_block_sort_config_selectorIjN6thrust23THRUST_200600_302600_NS5tupleIffNSF_9null_typeESH_SH_SH_SH_SH_SH_SH_EEEENS1_38merge_sort_block_merge_config_selectorIjSI_EEEEvv
; %bb.0:
	s_endpgm
	.section	.rodata,"a",@progbits
	.p2align	6, 0x0
	.amdhsa_kernel _ZN7rocprim17ROCPRIM_400000_NS6detail44device_merge_sort_compile_time_verifier_archINS1_11comp_targetILNS1_3genE8ELNS1_11target_archE1030ELNS1_3gpuE2ELNS1_3repE0EEES8_NS1_28merge_sort_block_sort_configILj256ELj4ELNS0_20block_sort_algorithmE0EEENS0_14default_configENS1_37merge_sort_block_sort_config_selectorIjN6thrust23THRUST_200600_302600_NS5tupleIffNSF_9null_typeESH_SH_SH_SH_SH_SH_SH_EEEENS1_38merge_sort_block_merge_config_selectorIjSI_EEEEvv
		.amdhsa_group_segment_fixed_size 0
		.amdhsa_private_segment_fixed_size 0
		.amdhsa_kernarg_size 0
		.amdhsa_user_sgpr_count 4
		.amdhsa_user_sgpr_private_segment_buffer 1
		.amdhsa_user_sgpr_dispatch_ptr 0
		.amdhsa_user_sgpr_queue_ptr 0
		.amdhsa_user_sgpr_kernarg_segment_ptr 0
		.amdhsa_user_sgpr_dispatch_id 0
		.amdhsa_user_sgpr_flat_scratch_init 0
		.amdhsa_user_sgpr_private_segment_size 0
		.amdhsa_wavefront_size32 1
		.amdhsa_uses_dynamic_stack 0
		.amdhsa_system_sgpr_private_segment_wavefront_offset 0
		.amdhsa_system_sgpr_workgroup_id_x 1
		.amdhsa_system_sgpr_workgroup_id_y 0
		.amdhsa_system_sgpr_workgroup_id_z 0
		.amdhsa_system_sgpr_workgroup_info 0
		.amdhsa_system_vgpr_workitem_id 0
		.amdhsa_next_free_vgpr 1
		.amdhsa_next_free_sgpr 1
		.amdhsa_reserve_vcc 0
		.amdhsa_reserve_flat_scratch 0
		.amdhsa_float_round_mode_32 0
		.amdhsa_float_round_mode_16_64 0
		.amdhsa_float_denorm_mode_32 3
		.amdhsa_float_denorm_mode_16_64 3
		.amdhsa_dx10_clamp 1
		.amdhsa_ieee_mode 1
		.amdhsa_fp16_overflow 0
		.amdhsa_workgroup_processor_mode 1
		.amdhsa_memory_ordered 1
		.amdhsa_forward_progress 1
		.amdhsa_shared_vgpr_count 0
		.amdhsa_exception_fp_ieee_invalid_op 0
		.amdhsa_exception_fp_denorm_src 0
		.amdhsa_exception_fp_ieee_div_zero 0
		.amdhsa_exception_fp_ieee_overflow 0
		.amdhsa_exception_fp_ieee_underflow 0
		.amdhsa_exception_fp_ieee_inexact 0
		.amdhsa_exception_int_div_zero 0
	.end_amdhsa_kernel
	.section	.text._ZN7rocprim17ROCPRIM_400000_NS6detail44device_merge_sort_compile_time_verifier_archINS1_11comp_targetILNS1_3genE8ELNS1_11target_archE1030ELNS1_3gpuE2ELNS1_3repE0EEES8_NS1_28merge_sort_block_sort_configILj256ELj4ELNS0_20block_sort_algorithmE0EEENS0_14default_configENS1_37merge_sort_block_sort_config_selectorIjN6thrust23THRUST_200600_302600_NS5tupleIffNSF_9null_typeESH_SH_SH_SH_SH_SH_SH_EEEENS1_38merge_sort_block_merge_config_selectorIjSI_EEEEvv,"axG",@progbits,_ZN7rocprim17ROCPRIM_400000_NS6detail44device_merge_sort_compile_time_verifier_archINS1_11comp_targetILNS1_3genE8ELNS1_11target_archE1030ELNS1_3gpuE2ELNS1_3repE0EEES8_NS1_28merge_sort_block_sort_configILj256ELj4ELNS0_20block_sort_algorithmE0EEENS0_14default_configENS1_37merge_sort_block_sort_config_selectorIjN6thrust23THRUST_200600_302600_NS5tupleIffNSF_9null_typeESH_SH_SH_SH_SH_SH_SH_EEEENS1_38merge_sort_block_merge_config_selectorIjSI_EEEEvv,comdat
.Lfunc_end24:
	.size	_ZN7rocprim17ROCPRIM_400000_NS6detail44device_merge_sort_compile_time_verifier_archINS1_11comp_targetILNS1_3genE8ELNS1_11target_archE1030ELNS1_3gpuE2ELNS1_3repE0EEES8_NS1_28merge_sort_block_sort_configILj256ELj4ELNS0_20block_sort_algorithmE0EEENS0_14default_configENS1_37merge_sort_block_sort_config_selectorIjN6thrust23THRUST_200600_302600_NS5tupleIffNSF_9null_typeESH_SH_SH_SH_SH_SH_SH_EEEENS1_38merge_sort_block_merge_config_selectorIjSI_EEEEvv, .Lfunc_end24-_ZN7rocprim17ROCPRIM_400000_NS6detail44device_merge_sort_compile_time_verifier_archINS1_11comp_targetILNS1_3genE8ELNS1_11target_archE1030ELNS1_3gpuE2ELNS1_3repE0EEES8_NS1_28merge_sort_block_sort_configILj256ELj4ELNS0_20block_sort_algorithmE0EEENS0_14default_configENS1_37merge_sort_block_sort_config_selectorIjN6thrust23THRUST_200600_302600_NS5tupleIffNSF_9null_typeESH_SH_SH_SH_SH_SH_SH_EEEENS1_38merge_sort_block_merge_config_selectorIjSI_EEEEvv
                                        ; -- End function
	.set _ZN7rocprim17ROCPRIM_400000_NS6detail44device_merge_sort_compile_time_verifier_archINS1_11comp_targetILNS1_3genE8ELNS1_11target_archE1030ELNS1_3gpuE2ELNS1_3repE0EEES8_NS1_28merge_sort_block_sort_configILj256ELj4ELNS0_20block_sort_algorithmE0EEENS0_14default_configENS1_37merge_sort_block_sort_config_selectorIjN6thrust23THRUST_200600_302600_NS5tupleIffNSF_9null_typeESH_SH_SH_SH_SH_SH_SH_EEEENS1_38merge_sort_block_merge_config_selectorIjSI_EEEEvv.num_vgpr, 0
	.set _ZN7rocprim17ROCPRIM_400000_NS6detail44device_merge_sort_compile_time_verifier_archINS1_11comp_targetILNS1_3genE8ELNS1_11target_archE1030ELNS1_3gpuE2ELNS1_3repE0EEES8_NS1_28merge_sort_block_sort_configILj256ELj4ELNS0_20block_sort_algorithmE0EEENS0_14default_configENS1_37merge_sort_block_sort_config_selectorIjN6thrust23THRUST_200600_302600_NS5tupleIffNSF_9null_typeESH_SH_SH_SH_SH_SH_SH_EEEENS1_38merge_sort_block_merge_config_selectorIjSI_EEEEvv.num_agpr, 0
	.set _ZN7rocprim17ROCPRIM_400000_NS6detail44device_merge_sort_compile_time_verifier_archINS1_11comp_targetILNS1_3genE8ELNS1_11target_archE1030ELNS1_3gpuE2ELNS1_3repE0EEES8_NS1_28merge_sort_block_sort_configILj256ELj4ELNS0_20block_sort_algorithmE0EEENS0_14default_configENS1_37merge_sort_block_sort_config_selectorIjN6thrust23THRUST_200600_302600_NS5tupleIffNSF_9null_typeESH_SH_SH_SH_SH_SH_SH_EEEENS1_38merge_sort_block_merge_config_selectorIjSI_EEEEvv.numbered_sgpr, 0
	.set _ZN7rocprim17ROCPRIM_400000_NS6detail44device_merge_sort_compile_time_verifier_archINS1_11comp_targetILNS1_3genE8ELNS1_11target_archE1030ELNS1_3gpuE2ELNS1_3repE0EEES8_NS1_28merge_sort_block_sort_configILj256ELj4ELNS0_20block_sort_algorithmE0EEENS0_14default_configENS1_37merge_sort_block_sort_config_selectorIjN6thrust23THRUST_200600_302600_NS5tupleIffNSF_9null_typeESH_SH_SH_SH_SH_SH_SH_EEEENS1_38merge_sort_block_merge_config_selectorIjSI_EEEEvv.num_named_barrier, 0
	.set _ZN7rocprim17ROCPRIM_400000_NS6detail44device_merge_sort_compile_time_verifier_archINS1_11comp_targetILNS1_3genE8ELNS1_11target_archE1030ELNS1_3gpuE2ELNS1_3repE0EEES8_NS1_28merge_sort_block_sort_configILj256ELj4ELNS0_20block_sort_algorithmE0EEENS0_14default_configENS1_37merge_sort_block_sort_config_selectorIjN6thrust23THRUST_200600_302600_NS5tupleIffNSF_9null_typeESH_SH_SH_SH_SH_SH_SH_EEEENS1_38merge_sort_block_merge_config_selectorIjSI_EEEEvv.private_seg_size, 0
	.set _ZN7rocprim17ROCPRIM_400000_NS6detail44device_merge_sort_compile_time_verifier_archINS1_11comp_targetILNS1_3genE8ELNS1_11target_archE1030ELNS1_3gpuE2ELNS1_3repE0EEES8_NS1_28merge_sort_block_sort_configILj256ELj4ELNS0_20block_sort_algorithmE0EEENS0_14default_configENS1_37merge_sort_block_sort_config_selectorIjN6thrust23THRUST_200600_302600_NS5tupleIffNSF_9null_typeESH_SH_SH_SH_SH_SH_SH_EEEENS1_38merge_sort_block_merge_config_selectorIjSI_EEEEvv.uses_vcc, 0
	.set _ZN7rocprim17ROCPRIM_400000_NS6detail44device_merge_sort_compile_time_verifier_archINS1_11comp_targetILNS1_3genE8ELNS1_11target_archE1030ELNS1_3gpuE2ELNS1_3repE0EEES8_NS1_28merge_sort_block_sort_configILj256ELj4ELNS0_20block_sort_algorithmE0EEENS0_14default_configENS1_37merge_sort_block_sort_config_selectorIjN6thrust23THRUST_200600_302600_NS5tupleIffNSF_9null_typeESH_SH_SH_SH_SH_SH_SH_EEEENS1_38merge_sort_block_merge_config_selectorIjSI_EEEEvv.uses_flat_scratch, 0
	.set _ZN7rocprim17ROCPRIM_400000_NS6detail44device_merge_sort_compile_time_verifier_archINS1_11comp_targetILNS1_3genE8ELNS1_11target_archE1030ELNS1_3gpuE2ELNS1_3repE0EEES8_NS1_28merge_sort_block_sort_configILj256ELj4ELNS0_20block_sort_algorithmE0EEENS0_14default_configENS1_37merge_sort_block_sort_config_selectorIjN6thrust23THRUST_200600_302600_NS5tupleIffNSF_9null_typeESH_SH_SH_SH_SH_SH_SH_EEEENS1_38merge_sort_block_merge_config_selectorIjSI_EEEEvv.has_dyn_sized_stack, 0
	.set _ZN7rocprim17ROCPRIM_400000_NS6detail44device_merge_sort_compile_time_verifier_archINS1_11comp_targetILNS1_3genE8ELNS1_11target_archE1030ELNS1_3gpuE2ELNS1_3repE0EEES8_NS1_28merge_sort_block_sort_configILj256ELj4ELNS0_20block_sort_algorithmE0EEENS0_14default_configENS1_37merge_sort_block_sort_config_selectorIjN6thrust23THRUST_200600_302600_NS5tupleIffNSF_9null_typeESH_SH_SH_SH_SH_SH_SH_EEEENS1_38merge_sort_block_merge_config_selectorIjSI_EEEEvv.has_recursion, 0
	.set _ZN7rocprim17ROCPRIM_400000_NS6detail44device_merge_sort_compile_time_verifier_archINS1_11comp_targetILNS1_3genE8ELNS1_11target_archE1030ELNS1_3gpuE2ELNS1_3repE0EEES8_NS1_28merge_sort_block_sort_configILj256ELj4ELNS0_20block_sort_algorithmE0EEENS0_14default_configENS1_37merge_sort_block_sort_config_selectorIjN6thrust23THRUST_200600_302600_NS5tupleIffNSF_9null_typeESH_SH_SH_SH_SH_SH_SH_EEEENS1_38merge_sort_block_merge_config_selectorIjSI_EEEEvv.has_indirect_call, 0
	.section	.AMDGPU.csdata,"",@progbits
; Kernel info:
; codeLenInByte = 4
; TotalNumSgprs: 0
; NumVgprs: 0
; ScratchSize: 0
; MemoryBound: 0
; FloatMode: 240
; IeeeMode: 1
; LDSByteSize: 0 bytes/workgroup (compile time only)
; SGPRBlocks: 0
; VGPRBlocks: 0
; NumSGPRsForWavesPerEU: 1
; NumVGPRsForWavesPerEU: 1
; Occupancy: 16
; WaveLimiterHint : 0
; COMPUTE_PGM_RSRC2:SCRATCH_EN: 0
; COMPUTE_PGM_RSRC2:USER_SGPR: 4
; COMPUTE_PGM_RSRC2:TRAP_HANDLER: 0
; COMPUTE_PGM_RSRC2:TGID_X_EN: 1
; COMPUTE_PGM_RSRC2:TGID_Y_EN: 0
; COMPUTE_PGM_RSRC2:TGID_Z_EN: 0
; COMPUTE_PGM_RSRC2:TIDIG_COMP_CNT: 0
	.section	.text._ZN7rocprim17ROCPRIM_400000_NS6detail17trampoline_kernelINS0_14default_configENS1_38merge_sort_block_merge_config_selectorIjN6thrust23THRUST_200600_302600_NS5tupleIffNS6_9null_typeES8_S8_S8_S8_S8_S8_S8_EEEEZZNS1_27merge_sort_block_merge_implIS3_NS6_6detail15normal_iteratorINS6_10device_ptrIjEEEENSD_INSE_IS9_EEEEjNS1_19radix_merge_compareILb0ELb0EjNS0_19identity_decomposerEEEEE10hipError_tT0_T1_T2_jT3_P12ihipStream_tbPNSt15iterator_traitsISN_E10value_typeEPNST_ISO_E10value_typeEPSP_NS1_7vsmem_tEENKUlT_SN_SO_SP_E_clIPjSG_PS9_SI_EESM_S12_SN_SO_SP_EUlS12_E_NS1_11comp_targetILNS1_3genE0ELNS1_11target_archE4294967295ELNS1_3gpuE0ELNS1_3repE0EEENS1_48merge_mergepath_partition_config_static_selectorELNS0_4arch9wavefront6targetE0EEEvSO_,"axG",@progbits,_ZN7rocprim17ROCPRIM_400000_NS6detail17trampoline_kernelINS0_14default_configENS1_38merge_sort_block_merge_config_selectorIjN6thrust23THRUST_200600_302600_NS5tupleIffNS6_9null_typeES8_S8_S8_S8_S8_S8_S8_EEEEZZNS1_27merge_sort_block_merge_implIS3_NS6_6detail15normal_iteratorINS6_10device_ptrIjEEEENSD_INSE_IS9_EEEEjNS1_19radix_merge_compareILb0ELb0EjNS0_19identity_decomposerEEEEE10hipError_tT0_T1_T2_jT3_P12ihipStream_tbPNSt15iterator_traitsISN_E10value_typeEPNST_ISO_E10value_typeEPSP_NS1_7vsmem_tEENKUlT_SN_SO_SP_E_clIPjSG_PS9_SI_EESM_S12_SN_SO_SP_EUlS12_E_NS1_11comp_targetILNS1_3genE0ELNS1_11target_archE4294967295ELNS1_3gpuE0ELNS1_3repE0EEENS1_48merge_mergepath_partition_config_static_selectorELNS0_4arch9wavefront6targetE0EEEvSO_,comdat
	.protected	_ZN7rocprim17ROCPRIM_400000_NS6detail17trampoline_kernelINS0_14default_configENS1_38merge_sort_block_merge_config_selectorIjN6thrust23THRUST_200600_302600_NS5tupleIffNS6_9null_typeES8_S8_S8_S8_S8_S8_S8_EEEEZZNS1_27merge_sort_block_merge_implIS3_NS6_6detail15normal_iteratorINS6_10device_ptrIjEEEENSD_INSE_IS9_EEEEjNS1_19radix_merge_compareILb0ELb0EjNS0_19identity_decomposerEEEEE10hipError_tT0_T1_T2_jT3_P12ihipStream_tbPNSt15iterator_traitsISN_E10value_typeEPNST_ISO_E10value_typeEPSP_NS1_7vsmem_tEENKUlT_SN_SO_SP_E_clIPjSG_PS9_SI_EESM_S12_SN_SO_SP_EUlS12_E_NS1_11comp_targetILNS1_3genE0ELNS1_11target_archE4294967295ELNS1_3gpuE0ELNS1_3repE0EEENS1_48merge_mergepath_partition_config_static_selectorELNS0_4arch9wavefront6targetE0EEEvSO_ ; -- Begin function _ZN7rocprim17ROCPRIM_400000_NS6detail17trampoline_kernelINS0_14default_configENS1_38merge_sort_block_merge_config_selectorIjN6thrust23THRUST_200600_302600_NS5tupleIffNS6_9null_typeES8_S8_S8_S8_S8_S8_S8_EEEEZZNS1_27merge_sort_block_merge_implIS3_NS6_6detail15normal_iteratorINS6_10device_ptrIjEEEENSD_INSE_IS9_EEEEjNS1_19radix_merge_compareILb0ELb0EjNS0_19identity_decomposerEEEEE10hipError_tT0_T1_T2_jT3_P12ihipStream_tbPNSt15iterator_traitsISN_E10value_typeEPNST_ISO_E10value_typeEPSP_NS1_7vsmem_tEENKUlT_SN_SO_SP_E_clIPjSG_PS9_SI_EESM_S12_SN_SO_SP_EUlS12_E_NS1_11comp_targetILNS1_3genE0ELNS1_11target_archE4294967295ELNS1_3gpuE0ELNS1_3repE0EEENS1_48merge_mergepath_partition_config_static_selectorELNS0_4arch9wavefront6targetE0EEEvSO_
	.globl	_ZN7rocprim17ROCPRIM_400000_NS6detail17trampoline_kernelINS0_14default_configENS1_38merge_sort_block_merge_config_selectorIjN6thrust23THRUST_200600_302600_NS5tupleIffNS6_9null_typeES8_S8_S8_S8_S8_S8_S8_EEEEZZNS1_27merge_sort_block_merge_implIS3_NS6_6detail15normal_iteratorINS6_10device_ptrIjEEEENSD_INSE_IS9_EEEEjNS1_19radix_merge_compareILb0ELb0EjNS0_19identity_decomposerEEEEE10hipError_tT0_T1_T2_jT3_P12ihipStream_tbPNSt15iterator_traitsISN_E10value_typeEPNST_ISO_E10value_typeEPSP_NS1_7vsmem_tEENKUlT_SN_SO_SP_E_clIPjSG_PS9_SI_EESM_S12_SN_SO_SP_EUlS12_E_NS1_11comp_targetILNS1_3genE0ELNS1_11target_archE4294967295ELNS1_3gpuE0ELNS1_3repE0EEENS1_48merge_mergepath_partition_config_static_selectorELNS0_4arch9wavefront6targetE0EEEvSO_
	.p2align	8
	.type	_ZN7rocprim17ROCPRIM_400000_NS6detail17trampoline_kernelINS0_14default_configENS1_38merge_sort_block_merge_config_selectorIjN6thrust23THRUST_200600_302600_NS5tupleIffNS6_9null_typeES8_S8_S8_S8_S8_S8_S8_EEEEZZNS1_27merge_sort_block_merge_implIS3_NS6_6detail15normal_iteratorINS6_10device_ptrIjEEEENSD_INSE_IS9_EEEEjNS1_19radix_merge_compareILb0ELb0EjNS0_19identity_decomposerEEEEE10hipError_tT0_T1_T2_jT3_P12ihipStream_tbPNSt15iterator_traitsISN_E10value_typeEPNST_ISO_E10value_typeEPSP_NS1_7vsmem_tEENKUlT_SN_SO_SP_E_clIPjSG_PS9_SI_EESM_S12_SN_SO_SP_EUlS12_E_NS1_11comp_targetILNS1_3genE0ELNS1_11target_archE4294967295ELNS1_3gpuE0ELNS1_3repE0EEENS1_48merge_mergepath_partition_config_static_selectorELNS0_4arch9wavefront6targetE0EEEvSO_,@function
_ZN7rocprim17ROCPRIM_400000_NS6detail17trampoline_kernelINS0_14default_configENS1_38merge_sort_block_merge_config_selectorIjN6thrust23THRUST_200600_302600_NS5tupleIffNS6_9null_typeES8_S8_S8_S8_S8_S8_S8_EEEEZZNS1_27merge_sort_block_merge_implIS3_NS6_6detail15normal_iteratorINS6_10device_ptrIjEEEENSD_INSE_IS9_EEEEjNS1_19radix_merge_compareILb0ELb0EjNS0_19identity_decomposerEEEEE10hipError_tT0_T1_T2_jT3_P12ihipStream_tbPNSt15iterator_traitsISN_E10value_typeEPNST_ISO_E10value_typeEPSP_NS1_7vsmem_tEENKUlT_SN_SO_SP_E_clIPjSG_PS9_SI_EESM_S12_SN_SO_SP_EUlS12_E_NS1_11comp_targetILNS1_3genE0ELNS1_11target_archE4294967295ELNS1_3gpuE0ELNS1_3repE0EEENS1_48merge_mergepath_partition_config_static_selectorELNS0_4arch9wavefront6targetE0EEEvSO_: ; @_ZN7rocprim17ROCPRIM_400000_NS6detail17trampoline_kernelINS0_14default_configENS1_38merge_sort_block_merge_config_selectorIjN6thrust23THRUST_200600_302600_NS5tupleIffNS6_9null_typeES8_S8_S8_S8_S8_S8_S8_EEEEZZNS1_27merge_sort_block_merge_implIS3_NS6_6detail15normal_iteratorINS6_10device_ptrIjEEEENSD_INSE_IS9_EEEEjNS1_19radix_merge_compareILb0ELb0EjNS0_19identity_decomposerEEEEE10hipError_tT0_T1_T2_jT3_P12ihipStream_tbPNSt15iterator_traitsISN_E10value_typeEPNST_ISO_E10value_typeEPSP_NS1_7vsmem_tEENKUlT_SN_SO_SP_E_clIPjSG_PS9_SI_EESM_S12_SN_SO_SP_EUlS12_E_NS1_11comp_targetILNS1_3genE0ELNS1_11target_archE4294967295ELNS1_3gpuE0ELNS1_3repE0EEENS1_48merge_mergepath_partition_config_static_selectorELNS0_4arch9wavefront6targetE0EEEvSO_
; %bb.0:
	.section	.rodata,"a",@progbits
	.p2align	6, 0x0
	.amdhsa_kernel _ZN7rocprim17ROCPRIM_400000_NS6detail17trampoline_kernelINS0_14default_configENS1_38merge_sort_block_merge_config_selectorIjN6thrust23THRUST_200600_302600_NS5tupleIffNS6_9null_typeES8_S8_S8_S8_S8_S8_S8_EEEEZZNS1_27merge_sort_block_merge_implIS3_NS6_6detail15normal_iteratorINS6_10device_ptrIjEEEENSD_INSE_IS9_EEEEjNS1_19radix_merge_compareILb0ELb0EjNS0_19identity_decomposerEEEEE10hipError_tT0_T1_T2_jT3_P12ihipStream_tbPNSt15iterator_traitsISN_E10value_typeEPNST_ISO_E10value_typeEPSP_NS1_7vsmem_tEENKUlT_SN_SO_SP_E_clIPjSG_PS9_SI_EESM_S12_SN_SO_SP_EUlS12_E_NS1_11comp_targetILNS1_3genE0ELNS1_11target_archE4294967295ELNS1_3gpuE0ELNS1_3repE0EEENS1_48merge_mergepath_partition_config_static_selectorELNS0_4arch9wavefront6targetE0EEEvSO_
		.amdhsa_group_segment_fixed_size 0
		.amdhsa_private_segment_fixed_size 0
		.amdhsa_kernarg_size 40
		.amdhsa_user_sgpr_count 6
		.amdhsa_user_sgpr_private_segment_buffer 1
		.amdhsa_user_sgpr_dispatch_ptr 0
		.amdhsa_user_sgpr_queue_ptr 0
		.amdhsa_user_sgpr_kernarg_segment_ptr 1
		.amdhsa_user_sgpr_dispatch_id 0
		.amdhsa_user_sgpr_flat_scratch_init 0
		.amdhsa_user_sgpr_private_segment_size 0
		.amdhsa_wavefront_size32 1
		.amdhsa_uses_dynamic_stack 0
		.amdhsa_system_sgpr_private_segment_wavefront_offset 0
		.amdhsa_system_sgpr_workgroup_id_x 1
		.amdhsa_system_sgpr_workgroup_id_y 0
		.amdhsa_system_sgpr_workgroup_id_z 0
		.amdhsa_system_sgpr_workgroup_info 0
		.amdhsa_system_vgpr_workitem_id 0
		.amdhsa_next_free_vgpr 1
		.amdhsa_next_free_sgpr 1
		.amdhsa_reserve_vcc 0
		.amdhsa_reserve_flat_scratch 0
		.amdhsa_float_round_mode_32 0
		.amdhsa_float_round_mode_16_64 0
		.amdhsa_float_denorm_mode_32 3
		.amdhsa_float_denorm_mode_16_64 3
		.amdhsa_dx10_clamp 1
		.amdhsa_ieee_mode 1
		.amdhsa_fp16_overflow 0
		.amdhsa_workgroup_processor_mode 1
		.amdhsa_memory_ordered 1
		.amdhsa_forward_progress 1
		.amdhsa_shared_vgpr_count 0
		.amdhsa_exception_fp_ieee_invalid_op 0
		.amdhsa_exception_fp_denorm_src 0
		.amdhsa_exception_fp_ieee_div_zero 0
		.amdhsa_exception_fp_ieee_overflow 0
		.amdhsa_exception_fp_ieee_underflow 0
		.amdhsa_exception_fp_ieee_inexact 0
		.amdhsa_exception_int_div_zero 0
	.end_amdhsa_kernel
	.section	.text._ZN7rocprim17ROCPRIM_400000_NS6detail17trampoline_kernelINS0_14default_configENS1_38merge_sort_block_merge_config_selectorIjN6thrust23THRUST_200600_302600_NS5tupleIffNS6_9null_typeES8_S8_S8_S8_S8_S8_S8_EEEEZZNS1_27merge_sort_block_merge_implIS3_NS6_6detail15normal_iteratorINS6_10device_ptrIjEEEENSD_INSE_IS9_EEEEjNS1_19radix_merge_compareILb0ELb0EjNS0_19identity_decomposerEEEEE10hipError_tT0_T1_T2_jT3_P12ihipStream_tbPNSt15iterator_traitsISN_E10value_typeEPNST_ISO_E10value_typeEPSP_NS1_7vsmem_tEENKUlT_SN_SO_SP_E_clIPjSG_PS9_SI_EESM_S12_SN_SO_SP_EUlS12_E_NS1_11comp_targetILNS1_3genE0ELNS1_11target_archE4294967295ELNS1_3gpuE0ELNS1_3repE0EEENS1_48merge_mergepath_partition_config_static_selectorELNS0_4arch9wavefront6targetE0EEEvSO_,"axG",@progbits,_ZN7rocprim17ROCPRIM_400000_NS6detail17trampoline_kernelINS0_14default_configENS1_38merge_sort_block_merge_config_selectorIjN6thrust23THRUST_200600_302600_NS5tupleIffNS6_9null_typeES8_S8_S8_S8_S8_S8_S8_EEEEZZNS1_27merge_sort_block_merge_implIS3_NS6_6detail15normal_iteratorINS6_10device_ptrIjEEEENSD_INSE_IS9_EEEEjNS1_19radix_merge_compareILb0ELb0EjNS0_19identity_decomposerEEEEE10hipError_tT0_T1_T2_jT3_P12ihipStream_tbPNSt15iterator_traitsISN_E10value_typeEPNST_ISO_E10value_typeEPSP_NS1_7vsmem_tEENKUlT_SN_SO_SP_E_clIPjSG_PS9_SI_EESM_S12_SN_SO_SP_EUlS12_E_NS1_11comp_targetILNS1_3genE0ELNS1_11target_archE4294967295ELNS1_3gpuE0ELNS1_3repE0EEENS1_48merge_mergepath_partition_config_static_selectorELNS0_4arch9wavefront6targetE0EEEvSO_,comdat
.Lfunc_end25:
	.size	_ZN7rocprim17ROCPRIM_400000_NS6detail17trampoline_kernelINS0_14default_configENS1_38merge_sort_block_merge_config_selectorIjN6thrust23THRUST_200600_302600_NS5tupleIffNS6_9null_typeES8_S8_S8_S8_S8_S8_S8_EEEEZZNS1_27merge_sort_block_merge_implIS3_NS6_6detail15normal_iteratorINS6_10device_ptrIjEEEENSD_INSE_IS9_EEEEjNS1_19radix_merge_compareILb0ELb0EjNS0_19identity_decomposerEEEEE10hipError_tT0_T1_T2_jT3_P12ihipStream_tbPNSt15iterator_traitsISN_E10value_typeEPNST_ISO_E10value_typeEPSP_NS1_7vsmem_tEENKUlT_SN_SO_SP_E_clIPjSG_PS9_SI_EESM_S12_SN_SO_SP_EUlS12_E_NS1_11comp_targetILNS1_3genE0ELNS1_11target_archE4294967295ELNS1_3gpuE0ELNS1_3repE0EEENS1_48merge_mergepath_partition_config_static_selectorELNS0_4arch9wavefront6targetE0EEEvSO_, .Lfunc_end25-_ZN7rocprim17ROCPRIM_400000_NS6detail17trampoline_kernelINS0_14default_configENS1_38merge_sort_block_merge_config_selectorIjN6thrust23THRUST_200600_302600_NS5tupleIffNS6_9null_typeES8_S8_S8_S8_S8_S8_S8_EEEEZZNS1_27merge_sort_block_merge_implIS3_NS6_6detail15normal_iteratorINS6_10device_ptrIjEEEENSD_INSE_IS9_EEEEjNS1_19radix_merge_compareILb0ELb0EjNS0_19identity_decomposerEEEEE10hipError_tT0_T1_T2_jT3_P12ihipStream_tbPNSt15iterator_traitsISN_E10value_typeEPNST_ISO_E10value_typeEPSP_NS1_7vsmem_tEENKUlT_SN_SO_SP_E_clIPjSG_PS9_SI_EESM_S12_SN_SO_SP_EUlS12_E_NS1_11comp_targetILNS1_3genE0ELNS1_11target_archE4294967295ELNS1_3gpuE0ELNS1_3repE0EEENS1_48merge_mergepath_partition_config_static_selectorELNS0_4arch9wavefront6targetE0EEEvSO_
                                        ; -- End function
	.set _ZN7rocprim17ROCPRIM_400000_NS6detail17trampoline_kernelINS0_14default_configENS1_38merge_sort_block_merge_config_selectorIjN6thrust23THRUST_200600_302600_NS5tupleIffNS6_9null_typeES8_S8_S8_S8_S8_S8_S8_EEEEZZNS1_27merge_sort_block_merge_implIS3_NS6_6detail15normal_iteratorINS6_10device_ptrIjEEEENSD_INSE_IS9_EEEEjNS1_19radix_merge_compareILb0ELb0EjNS0_19identity_decomposerEEEEE10hipError_tT0_T1_T2_jT3_P12ihipStream_tbPNSt15iterator_traitsISN_E10value_typeEPNST_ISO_E10value_typeEPSP_NS1_7vsmem_tEENKUlT_SN_SO_SP_E_clIPjSG_PS9_SI_EESM_S12_SN_SO_SP_EUlS12_E_NS1_11comp_targetILNS1_3genE0ELNS1_11target_archE4294967295ELNS1_3gpuE0ELNS1_3repE0EEENS1_48merge_mergepath_partition_config_static_selectorELNS0_4arch9wavefront6targetE0EEEvSO_.num_vgpr, 0
	.set _ZN7rocprim17ROCPRIM_400000_NS6detail17trampoline_kernelINS0_14default_configENS1_38merge_sort_block_merge_config_selectorIjN6thrust23THRUST_200600_302600_NS5tupleIffNS6_9null_typeES8_S8_S8_S8_S8_S8_S8_EEEEZZNS1_27merge_sort_block_merge_implIS3_NS6_6detail15normal_iteratorINS6_10device_ptrIjEEEENSD_INSE_IS9_EEEEjNS1_19radix_merge_compareILb0ELb0EjNS0_19identity_decomposerEEEEE10hipError_tT0_T1_T2_jT3_P12ihipStream_tbPNSt15iterator_traitsISN_E10value_typeEPNST_ISO_E10value_typeEPSP_NS1_7vsmem_tEENKUlT_SN_SO_SP_E_clIPjSG_PS9_SI_EESM_S12_SN_SO_SP_EUlS12_E_NS1_11comp_targetILNS1_3genE0ELNS1_11target_archE4294967295ELNS1_3gpuE0ELNS1_3repE0EEENS1_48merge_mergepath_partition_config_static_selectorELNS0_4arch9wavefront6targetE0EEEvSO_.num_agpr, 0
	.set _ZN7rocprim17ROCPRIM_400000_NS6detail17trampoline_kernelINS0_14default_configENS1_38merge_sort_block_merge_config_selectorIjN6thrust23THRUST_200600_302600_NS5tupleIffNS6_9null_typeES8_S8_S8_S8_S8_S8_S8_EEEEZZNS1_27merge_sort_block_merge_implIS3_NS6_6detail15normal_iteratorINS6_10device_ptrIjEEEENSD_INSE_IS9_EEEEjNS1_19radix_merge_compareILb0ELb0EjNS0_19identity_decomposerEEEEE10hipError_tT0_T1_T2_jT3_P12ihipStream_tbPNSt15iterator_traitsISN_E10value_typeEPNST_ISO_E10value_typeEPSP_NS1_7vsmem_tEENKUlT_SN_SO_SP_E_clIPjSG_PS9_SI_EESM_S12_SN_SO_SP_EUlS12_E_NS1_11comp_targetILNS1_3genE0ELNS1_11target_archE4294967295ELNS1_3gpuE0ELNS1_3repE0EEENS1_48merge_mergepath_partition_config_static_selectorELNS0_4arch9wavefront6targetE0EEEvSO_.numbered_sgpr, 0
	.set _ZN7rocprim17ROCPRIM_400000_NS6detail17trampoline_kernelINS0_14default_configENS1_38merge_sort_block_merge_config_selectorIjN6thrust23THRUST_200600_302600_NS5tupleIffNS6_9null_typeES8_S8_S8_S8_S8_S8_S8_EEEEZZNS1_27merge_sort_block_merge_implIS3_NS6_6detail15normal_iteratorINS6_10device_ptrIjEEEENSD_INSE_IS9_EEEEjNS1_19radix_merge_compareILb0ELb0EjNS0_19identity_decomposerEEEEE10hipError_tT0_T1_T2_jT3_P12ihipStream_tbPNSt15iterator_traitsISN_E10value_typeEPNST_ISO_E10value_typeEPSP_NS1_7vsmem_tEENKUlT_SN_SO_SP_E_clIPjSG_PS9_SI_EESM_S12_SN_SO_SP_EUlS12_E_NS1_11comp_targetILNS1_3genE0ELNS1_11target_archE4294967295ELNS1_3gpuE0ELNS1_3repE0EEENS1_48merge_mergepath_partition_config_static_selectorELNS0_4arch9wavefront6targetE0EEEvSO_.num_named_barrier, 0
	.set _ZN7rocprim17ROCPRIM_400000_NS6detail17trampoline_kernelINS0_14default_configENS1_38merge_sort_block_merge_config_selectorIjN6thrust23THRUST_200600_302600_NS5tupleIffNS6_9null_typeES8_S8_S8_S8_S8_S8_S8_EEEEZZNS1_27merge_sort_block_merge_implIS3_NS6_6detail15normal_iteratorINS6_10device_ptrIjEEEENSD_INSE_IS9_EEEEjNS1_19radix_merge_compareILb0ELb0EjNS0_19identity_decomposerEEEEE10hipError_tT0_T1_T2_jT3_P12ihipStream_tbPNSt15iterator_traitsISN_E10value_typeEPNST_ISO_E10value_typeEPSP_NS1_7vsmem_tEENKUlT_SN_SO_SP_E_clIPjSG_PS9_SI_EESM_S12_SN_SO_SP_EUlS12_E_NS1_11comp_targetILNS1_3genE0ELNS1_11target_archE4294967295ELNS1_3gpuE0ELNS1_3repE0EEENS1_48merge_mergepath_partition_config_static_selectorELNS0_4arch9wavefront6targetE0EEEvSO_.private_seg_size, 0
	.set _ZN7rocprim17ROCPRIM_400000_NS6detail17trampoline_kernelINS0_14default_configENS1_38merge_sort_block_merge_config_selectorIjN6thrust23THRUST_200600_302600_NS5tupleIffNS6_9null_typeES8_S8_S8_S8_S8_S8_S8_EEEEZZNS1_27merge_sort_block_merge_implIS3_NS6_6detail15normal_iteratorINS6_10device_ptrIjEEEENSD_INSE_IS9_EEEEjNS1_19radix_merge_compareILb0ELb0EjNS0_19identity_decomposerEEEEE10hipError_tT0_T1_T2_jT3_P12ihipStream_tbPNSt15iterator_traitsISN_E10value_typeEPNST_ISO_E10value_typeEPSP_NS1_7vsmem_tEENKUlT_SN_SO_SP_E_clIPjSG_PS9_SI_EESM_S12_SN_SO_SP_EUlS12_E_NS1_11comp_targetILNS1_3genE0ELNS1_11target_archE4294967295ELNS1_3gpuE0ELNS1_3repE0EEENS1_48merge_mergepath_partition_config_static_selectorELNS0_4arch9wavefront6targetE0EEEvSO_.uses_vcc, 0
	.set _ZN7rocprim17ROCPRIM_400000_NS6detail17trampoline_kernelINS0_14default_configENS1_38merge_sort_block_merge_config_selectorIjN6thrust23THRUST_200600_302600_NS5tupleIffNS6_9null_typeES8_S8_S8_S8_S8_S8_S8_EEEEZZNS1_27merge_sort_block_merge_implIS3_NS6_6detail15normal_iteratorINS6_10device_ptrIjEEEENSD_INSE_IS9_EEEEjNS1_19radix_merge_compareILb0ELb0EjNS0_19identity_decomposerEEEEE10hipError_tT0_T1_T2_jT3_P12ihipStream_tbPNSt15iterator_traitsISN_E10value_typeEPNST_ISO_E10value_typeEPSP_NS1_7vsmem_tEENKUlT_SN_SO_SP_E_clIPjSG_PS9_SI_EESM_S12_SN_SO_SP_EUlS12_E_NS1_11comp_targetILNS1_3genE0ELNS1_11target_archE4294967295ELNS1_3gpuE0ELNS1_3repE0EEENS1_48merge_mergepath_partition_config_static_selectorELNS0_4arch9wavefront6targetE0EEEvSO_.uses_flat_scratch, 0
	.set _ZN7rocprim17ROCPRIM_400000_NS6detail17trampoline_kernelINS0_14default_configENS1_38merge_sort_block_merge_config_selectorIjN6thrust23THRUST_200600_302600_NS5tupleIffNS6_9null_typeES8_S8_S8_S8_S8_S8_S8_EEEEZZNS1_27merge_sort_block_merge_implIS3_NS6_6detail15normal_iteratorINS6_10device_ptrIjEEEENSD_INSE_IS9_EEEEjNS1_19radix_merge_compareILb0ELb0EjNS0_19identity_decomposerEEEEE10hipError_tT0_T1_T2_jT3_P12ihipStream_tbPNSt15iterator_traitsISN_E10value_typeEPNST_ISO_E10value_typeEPSP_NS1_7vsmem_tEENKUlT_SN_SO_SP_E_clIPjSG_PS9_SI_EESM_S12_SN_SO_SP_EUlS12_E_NS1_11comp_targetILNS1_3genE0ELNS1_11target_archE4294967295ELNS1_3gpuE0ELNS1_3repE0EEENS1_48merge_mergepath_partition_config_static_selectorELNS0_4arch9wavefront6targetE0EEEvSO_.has_dyn_sized_stack, 0
	.set _ZN7rocprim17ROCPRIM_400000_NS6detail17trampoline_kernelINS0_14default_configENS1_38merge_sort_block_merge_config_selectorIjN6thrust23THRUST_200600_302600_NS5tupleIffNS6_9null_typeES8_S8_S8_S8_S8_S8_S8_EEEEZZNS1_27merge_sort_block_merge_implIS3_NS6_6detail15normal_iteratorINS6_10device_ptrIjEEEENSD_INSE_IS9_EEEEjNS1_19radix_merge_compareILb0ELb0EjNS0_19identity_decomposerEEEEE10hipError_tT0_T1_T2_jT3_P12ihipStream_tbPNSt15iterator_traitsISN_E10value_typeEPNST_ISO_E10value_typeEPSP_NS1_7vsmem_tEENKUlT_SN_SO_SP_E_clIPjSG_PS9_SI_EESM_S12_SN_SO_SP_EUlS12_E_NS1_11comp_targetILNS1_3genE0ELNS1_11target_archE4294967295ELNS1_3gpuE0ELNS1_3repE0EEENS1_48merge_mergepath_partition_config_static_selectorELNS0_4arch9wavefront6targetE0EEEvSO_.has_recursion, 0
	.set _ZN7rocprim17ROCPRIM_400000_NS6detail17trampoline_kernelINS0_14default_configENS1_38merge_sort_block_merge_config_selectorIjN6thrust23THRUST_200600_302600_NS5tupleIffNS6_9null_typeES8_S8_S8_S8_S8_S8_S8_EEEEZZNS1_27merge_sort_block_merge_implIS3_NS6_6detail15normal_iteratorINS6_10device_ptrIjEEEENSD_INSE_IS9_EEEEjNS1_19radix_merge_compareILb0ELb0EjNS0_19identity_decomposerEEEEE10hipError_tT0_T1_T2_jT3_P12ihipStream_tbPNSt15iterator_traitsISN_E10value_typeEPNST_ISO_E10value_typeEPSP_NS1_7vsmem_tEENKUlT_SN_SO_SP_E_clIPjSG_PS9_SI_EESM_S12_SN_SO_SP_EUlS12_E_NS1_11comp_targetILNS1_3genE0ELNS1_11target_archE4294967295ELNS1_3gpuE0ELNS1_3repE0EEENS1_48merge_mergepath_partition_config_static_selectorELNS0_4arch9wavefront6targetE0EEEvSO_.has_indirect_call, 0
	.section	.AMDGPU.csdata,"",@progbits
; Kernel info:
; codeLenInByte = 0
; TotalNumSgprs: 0
; NumVgprs: 0
; ScratchSize: 0
; MemoryBound: 0
; FloatMode: 240
; IeeeMode: 1
; LDSByteSize: 0 bytes/workgroup (compile time only)
; SGPRBlocks: 0
; VGPRBlocks: 0
; NumSGPRsForWavesPerEU: 1
; NumVGPRsForWavesPerEU: 1
; Occupancy: 16
; WaveLimiterHint : 0
; COMPUTE_PGM_RSRC2:SCRATCH_EN: 0
; COMPUTE_PGM_RSRC2:USER_SGPR: 6
; COMPUTE_PGM_RSRC2:TRAP_HANDLER: 0
; COMPUTE_PGM_RSRC2:TGID_X_EN: 1
; COMPUTE_PGM_RSRC2:TGID_Y_EN: 0
; COMPUTE_PGM_RSRC2:TGID_Z_EN: 0
; COMPUTE_PGM_RSRC2:TIDIG_COMP_CNT: 0
	.section	.text._ZN7rocprim17ROCPRIM_400000_NS6detail17trampoline_kernelINS0_14default_configENS1_38merge_sort_block_merge_config_selectorIjN6thrust23THRUST_200600_302600_NS5tupleIffNS6_9null_typeES8_S8_S8_S8_S8_S8_S8_EEEEZZNS1_27merge_sort_block_merge_implIS3_NS6_6detail15normal_iteratorINS6_10device_ptrIjEEEENSD_INSE_IS9_EEEEjNS1_19radix_merge_compareILb0ELb0EjNS0_19identity_decomposerEEEEE10hipError_tT0_T1_T2_jT3_P12ihipStream_tbPNSt15iterator_traitsISN_E10value_typeEPNST_ISO_E10value_typeEPSP_NS1_7vsmem_tEENKUlT_SN_SO_SP_E_clIPjSG_PS9_SI_EESM_S12_SN_SO_SP_EUlS12_E_NS1_11comp_targetILNS1_3genE10ELNS1_11target_archE1201ELNS1_3gpuE5ELNS1_3repE0EEENS1_48merge_mergepath_partition_config_static_selectorELNS0_4arch9wavefront6targetE0EEEvSO_,"axG",@progbits,_ZN7rocprim17ROCPRIM_400000_NS6detail17trampoline_kernelINS0_14default_configENS1_38merge_sort_block_merge_config_selectorIjN6thrust23THRUST_200600_302600_NS5tupleIffNS6_9null_typeES8_S8_S8_S8_S8_S8_S8_EEEEZZNS1_27merge_sort_block_merge_implIS3_NS6_6detail15normal_iteratorINS6_10device_ptrIjEEEENSD_INSE_IS9_EEEEjNS1_19radix_merge_compareILb0ELb0EjNS0_19identity_decomposerEEEEE10hipError_tT0_T1_T2_jT3_P12ihipStream_tbPNSt15iterator_traitsISN_E10value_typeEPNST_ISO_E10value_typeEPSP_NS1_7vsmem_tEENKUlT_SN_SO_SP_E_clIPjSG_PS9_SI_EESM_S12_SN_SO_SP_EUlS12_E_NS1_11comp_targetILNS1_3genE10ELNS1_11target_archE1201ELNS1_3gpuE5ELNS1_3repE0EEENS1_48merge_mergepath_partition_config_static_selectorELNS0_4arch9wavefront6targetE0EEEvSO_,comdat
	.protected	_ZN7rocprim17ROCPRIM_400000_NS6detail17trampoline_kernelINS0_14default_configENS1_38merge_sort_block_merge_config_selectorIjN6thrust23THRUST_200600_302600_NS5tupleIffNS6_9null_typeES8_S8_S8_S8_S8_S8_S8_EEEEZZNS1_27merge_sort_block_merge_implIS3_NS6_6detail15normal_iteratorINS6_10device_ptrIjEEEENSD_INSE_IS9_EEEEjNS1_19radix_merge_compareILb0ELb0EjNS0_19identity_decomposerEEEEE10hipError_tT0_T1_T2_jT3_P12ihipStream_tbPNSt15iterator_traitsISN_E10value_typeEPNST_ISO_E10value_typeEPSP_NS1_7vsmem_tEENKUlT_SN_SO_SP_E_clIPjSG_PS9_SI_EESM_S12_SN_SO_SP_EUlS12_E_NS1_11comp_targetILNS1_3genE10ELNS1_11target_archE1201ELNS1_3gpuE5ELNS1_3repE0EEENS1_48merge_mergepath_partition_config_static_selectorELNS0_4arch9wavefront6targetE0EEEvSO_ ; -- Begin function _ZN7rocprim17ROCPRIM_400000_NS6detail17trampoline_kernelINS0_14default_configENS1_38merge_sort_block_merge_config_selectorIjN6thrust23THRUST_200600_302600_NS5tupleIffNS6_9null_typeES8_S8_S8_S8_S8_S8_S8_EEEEZZNS1_27merge_sort_block_merge_implIS3_NS6_6detail15normal_iteratorINS6_10device_ptrIjEEEENSD_INSE_IS9_EEEEjNS1_19radix_merge_compareILb0ELb0EjNS0_19identity_decomposerEEEEE10hipError_tT0_T1_T2_jT3_P12ihipStream_tbPNSt15iterator_traitsISN_E10value_typeEPNST_ISO_E10value_typeEPSP_NS1_7vsmem_tEENKUlT_SN_SO_SP_E_clIPjSG_PS9_SI_EESM_S12_SN_SO_SP_EUlS12_E_NS1_11comp_targetILNS1_3genE10ELNS1_11target_archE1201ELNS1_3gpuE5ELNS1_3repE0EEENS1_48merge_mergepath_partition_config_static_selectorELNS0_4arch9wavefront6targetE0EEEvSO_
	.globl	_ZN7rocprim17ROCPRIM_400000_NS6detail17trampoline_kernelINS0_14default_configENS1_38merge_sort_block_merge_config_selectorIjN6thrust23THRUST_200600_302600_NS5tupleIffNS6_9null_typeES8_S8_S8_S8_S8_S8_S8_EEEEZZNS1_27merge_sort_block_merge_implIS3_NS6_6detail15normal_iteratorINS6_10device_ptrIjEEEENSD_INSE_IS9_EEEEjNS1_19radix_merge_compareILb0ELb0EjNS0_19identity_decomposerEEEEE10hipError_tT0_T1_T2_jT3_P12ihipStream_tbPNSt15iterator_traitsISN_E10value_typeEPNST_ISO_E10value_typeEPSP_NS1_7vsmem_tEENKUlT_SN_SO_SP_E_clIPjSG_PS9_SI_EESM_S12_SN_SO_SP_EUlS12_E_NS1_11comp_targetILNS1_3genE10ELNS1_11target_archE1201ELNS1_3gpuE5ELNS1_3repE0EEENS1_48merge_mergepath_partition_config_static_selectorELNS0_4arch9wavefront6targetE0EEEvSO_
	.p2align	8
	.type	_ZN7rocprim17ROCPRIM_400000_NS6detail17trampoline_kernelINS0_14default_configENS1_38merge_sort_block_merge_config_selectorIjN6thrust23THRUST_200600_302600_NS5tupleIffNS6_9null_typeES8_S8_S8_S8_S8_S8_S8_EEEEZZNS1_27merge_sort_block_merge_implIS3_NS6_6detail15normal_iteratorINS6_10device_ptrIjEEEENSD_INSE_IS9_EEEEjNS1_19radix_merge_compareILb0ELb0EjNS0_19identity_decomposerEEEEE10hipError_tT0_T1_T2_jT3_P12ihipStream_tbPNSt15iterator_traitsISN_E10value_typeEPNST_ISO_E10value_typeEPSP_NS1_7vsmem_tEENKUlT_SN_SO_SP_E_clIPjSG_PS9_SI_EESM_S12_SN_SO_SP_EUlS12_E_NS1_11comp_targetILNS1_3genE10ELNS1_11target_archE1201ELNS1_3gpuE5ELNS1_3repE0EEENS1_48merge_mergepath_partition_config_static_selectorELNS0_4arch9wavefront6targetE0EEEvSO_,@function
_ZN7rocprim17ROCPRIM_400000_NS6detail17trampoline_kernelINS0_14default_configENS1_38merge_sort_block_merge_config_selectorIjN6thrust23THRUST_200600_302600_NS5tupleIffNS6_9null_typeES8_S8_S8_S8_S8_S8_S8_EEEEZZNS1_27merge_sort_block_merge_implIS3_NS6_6detail15normal_iteratorINS6_10device_ptrIjEEEENSD_INSE_IS9_EEEEjNS1_19radix_merge_compareILb0ELb0EjNS0_19identity_decomposerEEEEE10hipError_tT0_T1_T2_jT3_P12ihipStream_tbPNSt15iterator_traitsISN_E10value_typeEPNST_ISO_E10value_typeEPSP_NS1_7vsmem_tEENKUlT_SN_SO_SP_E_clIPjSG_PS9_SI_EESM_S12_SN_SO_SP_EUlS12_E_NS1_11comp_targetILNS1_3genE10ELNS1_11target_archE1201ELNS1_3gpuE5ELNS1_3repE0EEENS1_48merge_mergepath_partition_config_static_selectorELNS0_4arch9wavefront6targetE0EEEvSO_: ; @_ZN7rocprim17ROCPRIM_400000_NS6detail17trampoline_kernelINS0_14default_configENS1_38merge_sort_block_merge_config_selectorIjN6thrust23THRUST_200600_302600_NS5tupleIffNS6_9null_typeES8_S8_S8_S8_S8_S8_S8_EEEEZZNS1_27merge_sort_block_merge_implIS3_NS6_6detail15normal_iteratorINS6_10device_ptrIjEEEENSD_INSE_IS9_EEEEjNS1_19radix_merge_compareILb0ELb0EjNS0_19identity_decomposerEEEEE10hipError_tT0_T1_T2_jT3_P12ihipStream_tbPNSt15iterator_traitsISN_E10value_typeEPNST_ISO_E10value_typeEPSP_NS1_7vsmem_tEENKUlT_SN_SO_SP_E_clIPjSG_PS9_SI_EESM_S12_SN_SO_SP_EUlS12_E_NS1_11comp_targetILNS1_3genE10ELNS1_11target_archE1201ELNS1_3gpuE5ELNS1_3repE0EEENS1_48merge_mergepath_partition_config_static_selectorELNS0_4arch9wavefront6targetE0EEEvSO_
; %bb.0:
	.section	.rodata,"a",@progbits
	.p2align	6, 0x0
	.amdhsa_kernel _ZN7rocprim17ROCPRIM_400000_NS6detail17trampoline_kernelINS0_14default_configENS1_38merge_sort_block_merge_config_selectorIjN6thrust23THRUST_200600_302600_NS5tupleIffNS6_9null_typeES8_S8_S8_S8_S8_S8_S8_EEEEZZNS1_27merge_sort_block_merge_implIS3_NS6_6detail15normal_iteratorINS6_10device_ptrIjEEEENSD_INSE_IS9_EEEEjNS1_19radix_merge_compareILb0ELb0EjNS0_19identity_decomposerEEEEE10hipError_tT0_T1_T2_jT3_P12ihipStream_tbPNSt15iterator_traitsISN_E10value_typeEPNST_ISO_E10value_typeEPSP_NS1_7vsmem_tEENKUlT_SN_SO_SP_E_clIPjSG_PS9_SI_EESM_S12_SN_SO_SP_EUlS12_E_NS1_11comp_targetILNS1_3genE10ELNS1_11target_archE1201ELNS1_3gpuE5ELNS1_3repE0EEENS1_48merge_mergepath_partition_config_static_selectorELNS0_4arch9wavefront6targetE0EEEvSO_
		.amdhsa_group_segment_fixed_size 0
		.amdhsa_private_segment_fixed_size 0
		.amdhsa_kernarg_size 40
		.amdhsa_user_sgpr_count 6
		.amdhsa_user_sgpr_private_segment_buffer 1
		.amdhsa_user_sgpr_dispatch_ptr 0
		.amdhsa_user_sgpr_queue_ptr 0
		.amdhsa_user_sgpr_kernarg_segment_ptr 1
		.amdhsa_user_sgpr_dispatch_id 0
		.amdhsa_user_sgpr_flat_scratch_init 0
		.amdhsa_user_sgpr_private_segment_size 0
		.amdhsa_wavefront_size32 1
		.amdhsa_uses_dynamic_stack 0
		.amdhsa_system_sgpr_private_segment_wavefront_offset 0
		.amdhsa_system_sgpr_workgroup_id_x 1
		.amdhsa_system_sgpr_workgroup_id_y 0
		.amdhsa_system_sgpr_workgroup_id_z 0
		.amdhsa_system_sgpr_workgroup_info 0
		.amdhsa_system_vgpr_workitem_id 0
		.amdhsa_next_free_vgpr 1
		.amdhsa_next_free_sgpr 1
		.amdhsa_reserve_vcc 0
		.amdhsa_reserve_flat_scratch 0
		.amdhsa_float_round_mode_32 0
		.amdhsa_float_round_mode_16_64 0
		.amdhsa_float_denorm_mode_32 3
		.amdhsa_float_denorm_mode_16_64 3
		.amdhsa_dx10_clamp 1
		.amdhsa_ieee_mode 1
		.amdhsa_fp16_overflow 0
		.amdhsa_workgroup_processor_mode 1
		.amdhsa_memory_ordered 1
		.amdhsa_forward_progress 1
		.amdhsa_shared_vgpr_count 0
		.amdhsa_exception_fp_ieee_invalid_op 0
		.amdhsa_exception_fp_denorm_src 0
		.amdhsa_exception_fp_ieee_div_zero 0
		.amdhsa_exception_fp_ieee_overflow 0
		.amdhsa_exception_fp_ieee_underflow 0
		.amdhsa_exception_fp_ieee_inexact 0
		.amdhsa_exception_int_div_zero 0
	.end_amdhsa_kernel
	.section	.text._ZN7rocprim17ROCPRIM_400000_NS6detail17trampoline_kernelINS0_14default_configENS1_38merge_sort_block_merge_config_selectorIjN6thrust23THRUST_200600_302600_NS5tupleIffNS6_9null_typeES8_S8_S8_S8_S8_S8_S8_EEEEZZNS1_27merge_sort_block_merge_implIS3_NS6_6detail15normal_iteratorINS6_10device_ptrIjEEEENSD_INSE_IS9_EEEEjNS1_19radix_merge_compareILb0ELb0EjNS0_19identity_decomposerEEEEE10hipError_tT0_T1_T2_jT3_P12ihipStream_tbPNSt15iterator_traitsISN_E10value_typeEPNST_ISO_E10value_typeEPSP_NS1_7vsmem_tEENKUlT_SN_SO_SP_E_clIPjSG_PS9_SI_EESM_S12_SN_SO_SP_EUlS12_E_NS1_11comp_targetILNS1_3genE10ELNS1_11target_archE1201ELNS1_3gpuE5ELNS1_3repE0EEENS1_48merge_mergepath_partition_config_static_selectorELNS0_4arch9wavefront6targetE0EEEvSO_,"axG",@progbits,_ZN7rocprim17ROCPRIM_400000_NS6detail17trampoline_kernelINS0_14default_configENS1_38merge_sort_block_merge_config_selectorIjN6thrust23THRUST_200600_302600_NS5tupleIffNS6_9null_typeES8_S8_S8_S8_S8_S8_S8_EEEEZZNS1_27merge_sort_block_merge_implIS3_NS6_6detail15normal_iteratorINS6_10device_ptrIjEEEENSD_INSE_IS9_EEEEjNS1_19radix_merge_compareILb0ELb0EjNS0_19identity_decomposerEEEEE10hipError_tT0_T1_T2_jT3_P12ihipStream_tbPNSt15iterator_traitsISN_E10value_typeEPNST_ISO_E10value_typeEPSP_NS1_7vsmem_tEENKUlT_SN_SO_SP_E_clIPjSG_PS9_SI_EESM_S12_SN_SO_SP_EUlS12_E_NS1_11comp_targetILNS1_3genE10ELNS1_11target_archE1201ELNS1_3gpuE5ELNS1_3repE0EEENS1_48merge_mergepath_partition_config_static_selectorELNS0_4arch9wavefront6targetE0EEEvSO_,comdat
.Lfunc_end26:
	.size	_ZN7rocprim17ROCPRIM_400000_NS6detail17trampoline_kernelINS0_14default_configENS1_38merge_sort_block_merge_config_selectorIjN6thrust23THRUST_200600_302600_NS5tupleIffNS6_9null_typeES8_S8_S8_S8_S8_S8_S8_EEEEZZNS1_27merge_sort_block_merge_implIS3_NS6_6detail15normal_iteratorINS6_10device_ptrIjEEEENSD_INSE_IS9_EEEEjNS1_19radix_merge_compareILb0ELb0EjNS0_19identity_decomposerEEEEE10hipError_tT0_T1_T2_jT3_P12ihipStream_tbPNSt15iterator_traitsISN_E10value_typeEPNST_ISO_E10value_typeEPSP_NS1_7vsmem_tEENKUlT_SN_SO_SP_E_clIPjSG_PS9_SI_EESM_S12_SN_SO_SP_EUlS12_E_NS1_11comp_targetILNS1_3genE10ELNS1_11target_archE1201ELNS1_3gpuE5ELNS1_3repE0EEENS1_48merge_mergepath_partition_config_static_selectorELNS0_4arch9wavefront6targetE0EEEvSO_, .Lfunc_end26-_ZN7rocprim17ROCPRIM_400000_NS6detail17trampoline_kernelINS0_14default_configENS1_38merge_sort_block_merge_config_selectorIjN6thrust23THRUST_200600_302600_NS5tupleIffNS6_9null_typeES8_S8_S8_S8_S8_S8_S8_EEEEZZNS1_27merge_sort_block_merge_implIS3_NS6_6detail15normal_iteratorINS6_10device_ptrIjEEEENSD_INSE_IS9_EEEEjNS1_19radix_merge_compareILb0ELb0EjNS0_19identity_decomposerEEEEE10hipError_tT0_T1_T2_jT3_P12ihipStream_tbPNSt15iterator_traitsISN_E10value_typeEPNST_ISO_E10value_typeEPSP_NS1_7vsmem_tEENKUlT_SN_SO_SP_E_clIPjSG_PS9_SI_EESM_S12_SN_SO_SP_EUlS12_E_NS1_11comp_targetILNS1_3genE10ELNS1_11target_archE1201ELNS1_3gpuE5ELNS1_3repE0EEENS1_48merge_mergepath_partition_config_static_selectorELNS0_4arch9wavefront6targetE0EEEvSO_
                                        ; -- End function
	.set _ZN7rocprim17ROCPRIM_400000_NS6detail17trampoline_kernelINS0_14default_configENS1_38merge_sort_block_merge_config_selectorIjN6thrust23THRUST_200600_302600_NS5tupleIffNS6_9null_typeES8_S8_S8_S8_S8_S8_S8_EEEEZZNS1_27merge_sort_block_merge_implIS3_NS6_6detail15normal_iteratorINS6_10device_ptrIjEEEENSD_INSE_IS9_EEEEjNS1_19radix_merge_compareILb0ELb0EjNS0_19identity_decomposerEEEEE10hipError_tT0_T1_T2_jT3_P12ihipStream_tbPNSt15iterator_traitsISN_E10value_typeEPNST_ISO_E10value_typeEPSP_NS1_7vsmem_tEENKUlT_SN_SO_SP_E_clIPjSG_PS9_SI_EESM_S12_SN_SO_SP_EUlS12_E_NS1_11comp_targetILNS1_3genE10ELNS1_11target_archE1201ELNS1_3gpuE5ELNS1_3repE0EEENS1_48merge_mergepath_partition_config_static_selectorELNS0_4arch9wavefront6targetE0EEEvSO_.num_vgpr, 0
	.set _ZN7rocprim17ROCPRIM_400000_NS6detail17trampoline_kernelINS0_14default_configENS1_38merge_sort_block_merge_config_selectorIjN6thrust23THRUST_200600_302600_NS5tupleIffNS6_9null_typeES8_S8_S8_S8_S8_S8_S8_EEEEZZNS1_27merge_sort_block_merge_implIS3_NS6_6detail15normal_iteratorINS6_10device_ptrIjEEEENSD_INSE_IS9_EEEEjNS1_19radix_merge_compareILb0ELb0EjNS0_19identity_decomposerEEEEE10hipError_tT0_T1_T2_jT3_P12ihipStream_tbPNSt15iterator_traitsISN_E10value_typeEPNST_ISO_E10value_typeEPSP_NS1_7vsmem_tEENKUlT_SN_SO_SP_E_clIPjSG_PS9_SI_EESM_S12_SN_SO_SP_EUlS12_E_NS1_11comp_targetILNS1_3genE10ELNS1_11target_archE1201ELNS1_3gpuE5ELNS1_3repE0EEENS1_48merge_mergepath_partition_config_static_selectorELNS0_4arch9wavefront6targetE0EEEvSO_.num_agpr, 0
	.set _ZN7rocprim17ROCPRIM_400000_NS6detail17trampoline_kernelINS0_14default_configENS1_38merge_sort_block_merge_config_selectorIjN6thrust23THRUST_200600_302600_NS5tupleIffNS6_9null_typeES8_S8_S8_S8_S8_S8_S8_EEEEZZNS1_27merge_sort_block_merge_implIS3_NS6_6detail15normal_iteratorINS6_10device_ptrIjEEEENSD_INSE_IS9_EEEEjNS1_19radix_merge_compareILb0ELb0EjNS0_19identity_decomposerEEEEE10hipError_tT0_T1_T2_jT3_P12ihipStream_tbPNSt15iterator_traitsISN_E10value_typeEPNST_ISO_E10value_typeEPSP_NS1_7vsmem_tEENKUlT_SN_SO_SP_E_clIPjSG_PS9_SI_EESM_S12_SN_SO_SP_EUlS12_E_NS1_11comp_targetILNS1_3genE10ELNS1_11target_archE1201ELNS1_3gpuE5ELNS1_3repE0EEENS1_48merge_mergepath_partition_config_static_selectorELNS0_4arch9wavefront6targetE0EEEvSO_.numbered_sgpr, 0
	.set _ZN7rocprim17ROCPRIM_400000_NS6detail17trampoline_kernelINS0_14default_configENS1_38merge_sort_block_merge_config_selectorIjN6thrust23THRUST_200600_302600_NS5tupleIffNS6_9null_typeES8_S8_S8_S8_S8_S8_S8_EEEEZZNS1_27merge_sort_block_merge_implIS3_NS6_6detail15normal_iteratorINS6_10device_ptrIjEEEENSD_INSE_IS9_EEEEjNS1_19radix_merge_compareILb0ELb0EjNS0_19identity_decomposerEEEEE10hipError_tT0_T1_T2_jT3_P12ihipStream_tbPNSt15iterator_traitsISN_E10value_typeEPNST_ISO_E10value_typeEPSP_NS1_7vsmem_tEENKUlT_SN_SO_SP_E_clIPjSG_PS9_SI_EESM_S12_SN_SO_SP_EUlS12_E_NS1_11comp_targetILNS1_3genE10ELNS1_11target_archE1201ELNS1_3gpuE5ELNS1_3repE0EEENS1_48merge_mergepath_partition_config_static_selectorELNS0_4arch9wavefront6targetE0EEEvSO_.num_named_barrier, 0
	.set _ZN7rocprim17ROCPRIM_400000_NS6detail17trampoline_kernelINS0_14default_configENS1_38merge_sort_block_merge_config_selectorIjN6thrust23THRUST_200600_302600_NS5tupleIffNS6_9null_typeES8_S8_S8_S8_S8_S8_S8_EEEEZZNS1_27merge_sort_block_merge_implIS3_NS6_6detail15normal_iteratorINS6_10device_ptrIjEEEENSD_INSE_IS9_EEEEjNS1_19radix_merge_compareILb0ELb0EjNS0_19identity_decomposerEEEEE10hipError_tT0_T1_T2_jT3_P12ihipStream_tbPNSt15iterator_traitsISN_E10value_typeEPNST_ISO_E10value_typeEPSP_NS1_7vsmem_tEENKUlT_SN_SO_SP_E_clIPjSG_PS9_SI_EESM_S12_SN_SO_SP_EUlS12_E_NS1_11comp_targetILNS1_3genE10ELNS1_11target_archE1201ELNS1_3gpuE5ELNS1_3repE0EEENS1_48merge_mergepath_partition_config_static_selectorELNS0_4arch9wavefront6targetE0EEEvSO_.private_seg_size, 0
	.set _ZN7rocprim17ROCPRIM_400000_NS6detail17trampoline_kernelINS0_14default_configENS1_38merge_sort_block_merge_config_selectorIjN6thrust23THRUST_200600_302600_NS5tupleIffNS6_9null_typeES8_S8_S8_S8_S8_S8_S8_EEEEZZNS1_27merge_sort_block_merge_implIS3_NS6_6detail15normal_iteratorINS6_10device_ptrIjEEEENSD_INSE_IS9_EEEEjNS1_19radix_merge_compareILb0ELb0EjNS0_19identity_decomposerEEEEE10hipError_tT0_T1_T2_jT3_P12ihipStream_tbPNSt15iterator_traitsISN_E10value_typeEPNST_ISO_E10value_typeEPSP_NS1_7vsmem_tEENKUlT_SN_SO_SP_E_clIPjSG_PS9_SI_EESM_S12_SN_SO_SP_EUlS12_E_NS1_11comp_targetILNS1_3genE10ELNS1_11target_archE1201ELNS1_3gpuE5ELNS1_3repE0EEENS1_48merge_mergepath_partition_config_static_selectorELNS0_4arch9wavefront6targetE0EEEvSO_.uses_vcc, 0
	.set _ZN7rocprim17ROCPRIM_400000_NS6detail17trampoline_kernelINS0_14default_configENS1_38merge_sort_block_merge_config_selectorIjN6thrust23THRUST_200600_302600_NS5tupleIffNS6_9null_typeES8_S8_S8_S8_S8_S8_S8_EEEEZZNS1_27merge_sort_block_merge_implIS3_NS6_6detail15normal_iteratorINS6_10device_ptrIjEEEENSD_INSE_IS9_EEEEjNS1_19radix_merge_compareILb0ELb0EjNS0_19identity_decomposerEEEEE10hipError_tT0_T1_T2_jT3_P12ihipStream_tbPNSt15iterator_traitsISN_E10value_typeEPNST_ISO_E10value_typeEPSP_NS1_7vsmem_tEENKUlT_SN_SO_SP_E_clIPjSG_PS9_SI_EESM_S12_SN_SO_SP_EUlS12_E_NS1_11comp_targetILNS1_3genE10ELNS1_11target_archE1201ELNS1_3gpuE5ELNS1_3repE0EEENS1_48merge_mergepath_partition_config_static_selectorELNS0_4arch9wavefront6targetE0EEEvSO_.uses_flat_scratch, 0
	.set _ZN7rocprim17ROCPRIM_400000_NS6detail17trampoline_kernelINS0_14default_configENS1_38merge_sort_block_merge_config_selectorIjN6thrust23THRUST_200600_302600_NS5tupleIffNS6_9null_typeES8_S8_S8_S8_S8_S8_S8_EEEEZZNS1_27merge_sort_block_merge_implIS3_NS6_6detail15normal_iteratorINS6_10device_ptrIjEEEENSD_INSE_IS9_EEEEjNS1_19radix_merge_compareILb0ELb0EjNS0_19identity_decomposerEEEEE10hipError_tT0_T1_T2_jT3_P12ihipStream_tbPNSt15iterator_traitsISN_E10value_typeEPNST_ISO_E10value_typeEPSP_NS1_7vsmem_tEENKUlT_SN_SO_SP_E_clIPjSG_PS9_SI_EESM_S12_SN_SO_SP_EUlS12_E_NS1_11comp_targetILNS1_3genE10ELNS1_11target_archE1201ELNS1_3gpuE5ELNS1_3repE0EEENS1_48merge_mergepath_partition_config_static_selectorELNS0_4arch9wavefront6targetE0EEEvSO_.has_dyn_sized_stack, 0
	.set _ZN7rocprim17ROCPRIM_400000_NS6detail17trampoline_kernelINS0_14default_configENS1_38merge_sort_block_merge_config_selectorIjN6thrust23THRUST_200600_302600_NS5tupleIffNS6_9null_typeES8_S8_S8_S8_S8_S8_S8_EEEEZZNS1_27merge_sort_block_merge_implIS3_NS6_6detail15normal_iteratorINS6_10device_ptrIjEEEENSD_INSE_IS9_EEEEjNS1_19radix_merge_compareILb0ELb0EjNS0_19identity_decomposerEEEEE10hipError_tT0_T1_T2_jT3_P12ihipStream_tbPNSt15iterator_traitsISN_E10value_typeEPNST_ISO_E10value_typeEPSP_NS1_7vsmem_tEENKUlT_SN_SO_SP_E_clIPjSG_PS9_SI_EESM_S12_SN_SO_SP_EUlS12_E_NS1_11comp_targetILNS1_3genE10ELNS1_11target_archE1201ELNS1_3gpuE5ELNS1_3repE0EEENS1_48merge_mergepath_partition_config_static_selectorELNS0_4arch9wavefront6targetE0EEEvSO_.has_recursion, 0
	.set _ZN7rocprim17ROCPRIM_400000_NS6detail17trampoline_kernelINS0_14default_configENS1_38merge_sort_block_merge_config_selectorIjN6thrust23THRUST_200600_302600_NS5tupleIffNS6_9null_typeES8_S8_S8_S8_S8_S8_S8_EEEEZZNS1_27merge_sort_block_merge_implIS3_NS6_6detail15normal_iteratorINS6_10device_ptrIjEEEENSD_INSE_IS9_EEEEjNS1_19radix_merge_compareILb0ELb0EjNS0_19identity_decomposerEEEEE10hipError_tT0_T1_T2_jT3_P12ihipStream_tbPNSt15iterator_traitsISN_E10value_typeEPNST_ISO_E10value_typeEPSP_NS1_7vsmem_tEENKUlT_SN_SO_SP_E_clIPjSG_PS9_SI_EESM_S12_SN_SO_SP_EUlS12_E_NS1_11comp_targetILNS1_3genE10ELNS1_11target_archE1201ELNS1_3gpuE5ELNS1_3repE0EEENS1_48merge_mergepath_partition_config_static_selectorELNS0_4arch9wavefront6targetE0EEEvSO_.has_indirect_call, 0
	.section	.AMDGPU.csdata,"",@progbits
; Kernel info:
; codeLenInByte = 0
; TotalNumSgprs: 0
; NumVgprs: 0
; ScratchSize: 0
; MemoryBound: 0
; FloatMode: 240
; IeeeMode: 1
; LDSByteSize: 0 bytes/workgroup (compile time only)
; SGPRBlocks: 0
; VGPRBlocks: 0
; NumSGPRsForWavesPerEU: 1
; NumVGPRsForWavesPerEU: 1
; Occupancy: 16
; WaveLimiterHint : 0
; COMPUTE_PGM_RSRC2:SCRATCH_EN: 0
; COMPUTE_PGM_RSRC2:USER_SGPR: 6
; COMPUTE_PGM_RSRC2:TRAP_HANDLER: 0
; COMPUTE_PGM_RSRC2:TGID_X_EN: 1
; COMPUTE_PGM_RSRC2:TGID_Y_EN: 0
; COMPUTE_PGM_RSRC2:TGID_Z_EN: 0
; COMPUTE_PGM_RSRC2:TIDIG_COMP_CNT: 0
	.section	.text._ZN7rocprim17ROCPRIM_400000_NS6detail17trampoline_kernelINS0_14default_configENS1_38merge_sort_block_merge_config_selectorIjN6thrust23THRUST_200600_302600_NS5tupleIffNS6_9null_typeES8_S8_S8_S8_S8_S8_S8_EEEEZZNS1_27merge_sort_block_merge_implIS3_NS6_6detail15normal_iteratorINS6_10device_ptrIjEEEENSD_INSE_IS9_EEEEjNS1_19radix_merge_compareILb0ELb0EjNS0_19identity_decomposerEEEEE10hipError_tT0_T1_T2_jT3_P12ihipStream_tbPNSt15iterator_traitsISN_E10value_typeEPNST_ISO_E10value_typeEPSP_NS1_7vsmem_tEENKUlT_SN_SO_SP_E_clIPjSG_PS9_SI_EESM_S12_SN_SO_SP_EUlS12_E_NS1_11comp_targetILNS1_3genE5ELNS1_11target_archE942ELNS1_3gpuE9ELNS1_3repE0EEENS1_48merge_mergepath_partition_config_static_selectorELNS0_4arch9wavefront6targetE0EEEvSO_,"axG",@progbits,_ZN7rocprim17ROCPRIM_400000_NS6detail17trampoline_kernelINS0_14default_configENS1_38merge_sort_block_merge_config_selectorIjN6thrust23THRUST_200600_302600_NS5tupleIffNS6_9null_typeES8_S8_S8_S8_S8_S8_S8_EEEEZZNS1_27merge_sort_block_merge_implIS3_NS6_6detail15normal_iteratorINS6_10device_ptrIjEEEENSD_INSE_IS9_EEEEjNS1_19radix_merge_compareILb0ELb0EjNS0_19identity_decomposerEEEEE10hipError_tT0_T1_T2_jT3_P12ihipStream_tbPNSt15iterator_traitsISN_E10value_typeEPNST_ISO_E10value_typeEPSP_NS1_7vsmem_tEENKUlT_SN_SO_SP_E_clIPjSG_PS9_SI_EESM_S12_SN_SO_SP_EUlS12_E_NS1_11comp_targetILNS1_3genE5ELNS1_11target_archE942ELNS1_3gpuE9ELNS1_3repE0EEENS1_48merge_mergepath_partition_config_static_selectorELNS0_4arch9wavefront6targetE0EEEvSO_,comdat
	.protected	_ZN7rocprim17ROCPRIM_400000_NS6detail17trampoline_kernelINS0_14default_configENS1_38merge_sort_block_merge_config_selectorIjN6thrust23THRUST_200600_302600_NS5tupleIffNS6_9null_typeES8_S8_S8_S8_S8_S8_S8_EEEEZZNS1_27merge_sort_block_merge_implIS3_NS6_6detail15normal_iteratorINS6_10device_ptrIjEEEENSD_INSE_IS9_EEEEjNS1_19radix_merge_compareILb0ELb0EjNS0_19identity_decomposerEEEEE10hipError_tT0_T1_T2_jT3_P12ihipStream_tbPNSt15iterator_traitsISN_E10value_typeEPNST_ISO_E10value_typeEPSP_NS1_7vsmem_tEENKUlT_SN_SO_SP_E_clIPjSG_PS9_SI_EESM_S12_SN_SO_SP_EUlS12_E_NS1_11comp_targetILNS1_3genE5ELNS1_11target_archE942ELNS1_3gpuE9ELNS1_3repE0EEENS1_48merge_mergepath_partition_config_static_selectorELNS0_4arch9wavefront6targetE0EEEvSO_ ; -- Begin function _ZN7rocprim17ROCPRIM_400000_NS6detail17trampoline_kernelINS0_14default_configENS1_38merge_sort_block_merge_config_selectorIjN6thrust23THRUST_200600_302600_NS5tupleIffNS6_9null_typeES8_S8_S8_S8_S8_S8_S8_EEEEZZNS1_27merge_sort_block_merge_implIS3_NS6_6detail15normal_iteratorINS6_10device_ptrIjEEEENSD_INSE_IS9_EEEEjNS1_19radix_merge_compareILb0ELb0EjNS0_19identity_decomposerEEEEE10hipError_tT0_T1_T2_jT3_P12ihipStream_tbPNSt15iterator_traitsISN_E10value_typeEPNST_ISO_E10value_typeEPSP_NS1_7vsmem_tEENKUlT_SN_SO_SP_E_clIPjSG_PS9_SI_EESM_S12_SN_SO_SP_EUlS12_E_NS1_11comp_targetILNS1_3genE5ELNS1_11target_archE942ELNS1_3gpuE9ELNS1_3repE0EEENS1_48merge_mergepath_partition_config_static_selectorELNS0_4arch9wavefront6targetE0EEEvSO_
	.globl	_ZN7rocprim17ROCPRIM_400000_NS6detail17trampoline_kernelINS0_14default_configENS1_38merge_sort_block_merge_config_selectorIjN6thrust23THRUST_200600_302600_NS5tupleIffNS6_9null_typeES8_S8_S8_S8_S8_S8_S8_EEEEZZNS1_27merge_sort_block_merge_implIS3_NS6_6detail15normal_iteratorINS6_10device_ptrIjEEEENSD_INSE_IS9_EEEEjNS1_19radix_merge_compareILb0ELb0EjNS0_19identity_decomposerEEEEE10hipError_tT0_T1_T2_jT3_P12ihipStream_tbPNSt15iterator_traitsISN_E10value_typeEPNST_ISO_E10value_typeEPSP_NS1_7vsmem_tEENKUlT_SN_SO_SP_E_clIPjSG_PS9_SI_EESM_S12_SN_SO_SP_EUlS12_E_NS1_11comp_targetILNS1_3genE5ELNS1_11target_archE942ELNS1_3gpuE9ELNS1_3repE0EEENS1_48merge_mergepath_partition_config_static_selectorELNS0_4arch9wavefront6targetE0EEEvSO_
	.p2align	8
	.type	_ZN7rocprim17ROCPRIM_400000_NS6detail17trampoline_kernelINS0_14default_configENS1_38merge_sort_block_merge_config_selectorIjN6thrust23THRUST_200600_302600_NS5tupleIffNS6_9null_typeES8_S8_S8_S8_S8_S8_S8_EEEEZZNS1_27merge_sort_block_merge_implIS3_NS6_6detail15normal_iteratorINS6_10device_ptrIjEEEENSD_INSE_IS9_EEEEjNS1_19radix_merge_compareILb0ELb0EjNS0_19identity_decomposerEEEEE10hipError_tT0_T1_T2_jT3_P12ihipStream_tbPNSt15iterator_traitsISN_E10value_typeEPNST_ISO_E10value_typeEPSP_NS1_7vsmem_tEENKUlT_SN_SO_SP_E_clIPjSG_PS9_SI_EESM_S12_SN_SO_SP_EUlS12_E_NS1_11comp_targetILNS1_3genE5ELNS1_11target_archE942ELNS1_3gpuE9ELNS1_3repE0EEENS1_48merge_mergepath_partition_config_static_selectorELNS0_4arch9wavefront6targetE0EEEvSO_,@function
_ZN7rocprim17ROCPRIM_400000_NS6detail17trampoline_kernelINS0_14default_configENS1_38merge_sort_block_merge_config_selectorIjN6thrust23THRUST_200600_302600_NS5tupleIffNS6_9null_typeES8_S8_S8_S8_S8_S8_S8_EEEEZZNS1_27merge_sort_block_merge_implIS3_NS6_6detail15normal_iteratorINS6_10device_ptrIjEEEENSD_INSE_IS9_EEEEjNS1_19radix_merge_compareILb0ELb0EjNS0_19identity_decomposerEEEEE10hipError_tT0_T1_T2_jT3_P12ihipStream_tbPNSt15iterator_traitsISN_E10value_typeEPNST_ISO_E10value_typeEPSP_NS1_7vsmem_tEENKUlT_SN_SO_SP_E_clIPjSG_PS9_SI_EESM_S12_SN_SO_SP_EUlS12_E_NS1_11comp_targetILNS1_3genE5ELNS1_11target_archE942ELNS1_3gpuE9ELNS1_3repE0EEENS1_48merge_mergepath_partition_config_static_selectorELNS0_4arch9wavefront6targetE0EEEvSO_: ; @_ZN7rocprim17ROCPRIM_400000_NS6detail17trampoline_kernelINS0_14default_configENS1_38merge_sort_block_merge_config_selectorIjN6thrust23THRUST_200600_302600_NS5tupleIffNS6_9null_typeES8_S8_S8_S8_S8_S8_S8_EEEEZZNS1_27merge_sort_block_merge_implIS3_NS6_6detail15normal_iteratorINS6_10device_ptrIjEEEENSD_INSE_IS9_EEEEjNS1_19radix_merge_compareILb0ELb0EjNS0_19identity_decomposerEEEEE10hipError_tT0_T1_T2_jT3_P12ihipStream_tbPNSt15iterator_traitsISN_E10value_typeEPNST_ISO_E10value_typeEPSP_NS1_7vsmem_tEENKUlT_SN_SO_SP_E_clIPjSG_PS9_SI_EESM_S12_SN_SO_SP_EUlS12_E_NS1_11comp_targetILNS1_3genE5ELNS1_11target_archE942ELNS1_3gpuE9ELNS1_3repE0EEENS1_48merge_mergepath_partition_config_static_selectorELNS0_4arch9wavefront6targetE0EEEvSO_
; %bb.0:
	.section	.rodata,"a",@progbits
	.p2align	6, 0x0
	.amdhsa_kernel _ZN7rocprim17ROCPRIM_400000_NS6detail17trampoline_kernelINS0_14default_configENS1_38merge_sort_block_merge_config_selectorIjN6thrust23THRUST_200600_302600_NS5tupleIffNS6_9null_typeES8_S8_S8_S8_S8_S8_S8_EEEEZZNS1_27merge_sort_block_merge_implIS3_NS6_6detail15normal_iteratorINS6_10device_ptrIjEEEENSD_INSE_IS9_EEEEjNS1_19radix_merge_compareILb0ELb0EjNS0_19identity_decomposerEEEEE10hipError_tT0_T1_T2_jT3_P12ihipStream_tbPNSt15iterator_traitsISN_E10value_typeEPNST_ISO_E10value_typeEPSP_NS1_7vsmem_tEENKUlT_SN_SO_SP_E_clIPjSG_PS9_SI_EESM_S12_SN_SO_SP_EUlS12_E_NS1_11comp_targetILNS1_3genE5ELNS1_11target_archE942ELNS1_3gpuE9ELNS1_3repE0EEENS1_48merge_mergepath_partition_config_static_selectorELNS0_4arch9wavefront6targetE0EEEvSO_
		.amdhsa_group_segment_fixed_size 0
		.amdhsa_private_segment_fixed_size 0
		.amdhsa_kernarg_size 40
		.amdhsa_user_sgpr_count 6
		.amdhsa_user_sgpr_private_segment_buffer 1
		.amdhsa_user_sgpr_dispatch_ptr 0
		.amdhsa_user_sgpr_queue_ptr 0
		.amdhsa_user_sgpr_kernarg_segment_ptr 1
		.amdhsa_user_sgpr_dispatch_id 0
		.amdhsa_user_sgpr_flat_scratch_init 0
		.amdhsa_user_sgpr_private_segment_size 0
		.amdhsa_wavefront_size32 1
		.amdhsa_uses_dynamic_stack 0
		.amdhsa_system_sgpr_private_segment_wavefront_offset 0
		.amdhsa_system_sgpr_workgroup_id_x 1
		.amdhsa_system_sgpr_workgroup_id_y 0
		.amdhsa_system_sgpr_workgroup_id_z 0
		.amdhsa_system_sgpr_workgroup_info 0
		.amdhsa_system_vgpr_workitem_id 0
		.amdhsa_next_free_vgpr 1
		.amdhsa_next_free_sgpr 1
		.amdhsa_reserve_vcc 0
		.amdhsa_reserve_flat_scratch 0
		.amdhsa_float_round_mode_32 0
		.amdhsa_float_round_mode_16_64 0
		.amdhsa_float_denorm_mode_32 3
		.amdhsa_float_denorm_mode_16_64 3
		.amdhsa_dx10_clamp 1
		.amdhsa_ieee_mode 1
		.amdhsa_fp16_overflow 0
		.amdhsa_workgroup_processor_mode 1
		.amdhsa_memory_ordered 1
		.amdhsa_forward_progress 1
		.amdhsa_shared_vgpr_count 0
		.amdhsa_exception_fp_ieee_invalid_op 0
		.amdhsa_exception_fp_denorm_src 0
		.amdhsa_exception_fp_ieee_div_zero 0
		.amdhsa_exception_fp_ieee_overflow 0
		.amdhsa_exception_fp_ieee_underflow 0
		.amdhsa_exception_fp_ieee_inexact 0
		.amdhsa_exception_int_div_zero 0
	.end_amdhsa_kernel
	.section	.text._ZN7rocprim17ROCPRIM_400000_NS6detail17trampoline_kernelINS0_14default_configENS1_38merge_sort_block_merge_config_selectorIjN6thrust23THRUST_200600_302600_NS5tupleIffNS6_9null_typeES8_S8_S8_S8_S8_S8_S8_EEEEZZNS1_27merge_sort_block_merge_implIS3_NS6_6detail15normal_iteratorINS6_10device_ptrIjEEEENSD_INSE_IS9_EEEEjNS1_19radix_merge_compareILb0ELb0EjNS0_19identity_decomposerEEEEE10hipError_tT0_T1_T2_jT3_P12ihipStream_tbPNSt15iterator_traitsISN_E10value_typeEPNST_ISO_E10value_typeEPSP_NS1_7vsmem_tEENKUlT_SN_SO_SP_E_clIPjSG_PS9_SI_EESM_S12_SN_SO_SP_EUlS12_E_NS1_11comp_targetILNS1_3genE5ELNS1_11target_archE942ELNS1_3gpuE9ELNS1_3repE0EEENS1_48merge_mergepath_partition_config_static_selectorELNS0_4arch9wavefront6targetE0EEEvSO_,"axG",@progbits,_ZN7rocprim17ROCPRIM_400000_NS6detail17trampoline_kernelINS0_14default_configENS1_38merge_sort_block_merge_config_selectorIjN6thrust23THRUST_200600_302600_NS5tupleIffNS6_9null_typeES8_S8_S8_S8_S8_S8_S8_EEEEZZNS1_27merge_sort_block_merge_implIS3_NS6_6detail15normal_iteratorINS6_10device_ptrIjEEEENSD_INSE_IS9_EEEEjNS1_19radix_merge_compareILb0ELb0EjNS0_19identity_decomposerEEEEE10hipError_tT0_T1_T2_jT3_P12ihipStream_tbPNSt15iterator_traitsISN_E10value_typeEPNST_ISO_E10value_typeEPSP_NS1_7vsmem_tEENKUlT_SN_SO_SP_E_clIPjSG_PS9_SI_EESM_S12_SN_SO_SP_EUlS12_E_NS1_11comp_targetILNS1_3genE5ELNS1_11target_archE942ELNS1_3gpuE9ELNS1_3repE0EEENS1_48merge_mergepath_partition_config_static_selectorELNS0_4arch9wavefront6targetE0EEEvSO_,comdat
.Lfunc_end27:
	.size	_ZN7rocprim17ROCPRIM_400000_NS6detail17trampoline_kernelINS0_14default_configENS1_38merge_sort_block_merge_config_selectorIjN6thrust23THRUST_200600_302600_NS5tupleIffNS6_9null_typeES8_S8_S8_S8_S8_S8_S8_EEEEZZNS1_27merge_sort_block_merge_implIS3_NS6_6detail15normal_iteratorINS6_10device_ptrIjEEEENSD_INSE_IS9_EEEEjNS1_19radix_merge_compareILb0ELb0EjNS0_19identity_decomposerEEEEE10hipError_tT0_T1_T2_jT3_P12ihipStream_tbPNSt15iterator_traitsISN_E10value_typeEPNST_ISO_E10value_typeEPSP_NS1_7vsmem_tEENKUlT_SN_SO_SP_E_clIPjSG_PS9_SI_EESM_S12_SN_SO_SP_EUlS12_E_NS1_11comp_targetILNS1_3genE5ELNS1_11target_archE942ELNS1_3gpuE9ELNS1_3repE0EEENS1_48merge_mergepath_partition_config_static_selectorELNS0_4arch9wavefront6targetE0EEEvSO_, .Lfunc_end27-_ZN7rocprim17ROCPRIM_400000_NS6detail17trampoline_kernelINS0_14default_configENS1_38merge_sort_block_merge_config_selectorIjN6thrust23THRUST_200600_302600_NS5tupleIffNS6_9null_typeES8_S8_S8_S8_S8_S8_S8_EEEEZZNS1_27merge_sort_block_merge_implIS3_NS6_6detail15normal_iteratorINS6_10device_ptrIjEEEENSD_INSE_IS9_EEEEjNS1_19radix_merge_compareILb0ELb0EjNS0_19identity_decomposerEEEEE10hipError_tT0_T1_T2_jT3_P12ihipStream_tbPNSt15iterator_traitsISN_E10value_typeEPNST_ISO_E10value_typeEPSP_NS1_7vsmem_tEENKUlT_SN_SO_SP_E_clIPjSG_PS9_SI_EESM_S12_SN_SO_SP_EUlS12_E_NS1_11comp_targetILNS1_3genE5ELNS1_11target_archE942ELNS1_3gpuE9ELNS1_3repE0EEENS1_48merge_mergepath_partition_config_static_selectorELNS0_4arch9wavefront6targetE0EEEvSO_
                                        ; -- End function
	.set _ZN7rocprim17ROCPRIM_400000_NS6detail17trampoline_kernelINS0_14default_configENS1_38merge_sort_block_merge_config_selectorIjN6thrust23THRUST_200600_302600_NS5tupleIffNS6_9null_typeES8_S8_S8_S8_S8_S8_S8_EEEEZZNS1_27merge_sort_block_merge_implIS3_NS6_6detail15normal_iteratorINS6_10device_ptrIjEEEENSD_INSE_IS9_EEEEjNS1_19radix_merge_compareILb0ELb0EjNS0_19identity_decomposerEEEEE10hipError_tT0_T1_T2_jT3_P12ihipStream_tbPNSt15iterator_traitsISN_E10value_typeEPNST_ISO_E10value_typeEPSP_NS1_7vsmem_tEENKUlT_SN_SO_SP_E_clIPjSG_PS9_SI_EESM_S12_SN_SO_SP_EUlS12_E_NS1_11comp_targetILNS1_3genE5ELNS1_11target_archE942ELNS1_3gpuE9ELNS1_3repE0EEENS1_48merge_mergepath_partition_config_static_selectorELNS0_4arch9wavefront6targetE0EEEvSO_.num_vgpr, 0
	.set _ZN7rocprim17ROCPRIM_400000_NS6detail17trampoline_kernelINS0_14default_configENS1_38merge_sort_block_merge_config_selectorIjN6thrust23THRUST_200600_302600_NS5tupleIffNS6_9null_typeES8_S8_S8_S8_S8_S8_S8_EEEEZZNS1_27merge_sort_block_merge_implIS3_NS6_6detail15normal_iteratorINS6_10device_ptrIjEEEENSD_INSE_IS9_EEEEjNS1_19radix_merge_compareILb0ELb0EjNS0_19identity_decomposerEEEEE10hipError_tT0_T1_T2_jT3_P12ihipStream_tbPNSt15iterator_traitsISN_E10value_typeEPNST_ISO_E10value_typeEPSP_NS1_7vsmem_tEENKUlT_SN_SO_SP_E_clIPjSG_PS9_SI_EESM_S12_SN_SO_SP_EUlS12_E_NS1_11comp_targetILNS1_3genE5ELNS1_11target_archE942ELNS1_3gpuE9ELNS1_3repE0EEENS1_48merge_mergepath_partition_config_static_selectorELNS0_4arch9wavefront6targetE0EEEvSO_.num_agpr, 0
	.set _ZN7rocprim17ROCPRIM_400000_NS6detail17trampoline_kernelINS0_14default_configENS1_38merge_sort_block_merge_config_selectorIjN6thrust23THRUST_200600_302600_NS5tupleIffNS6_9null_typeES8_S8_S8_S8_S8_S8_S8_EEEEZZNS1_27merge_sort_block_merge_implIS3_NS6_6detail15normal_iteratorINS6_10device_ptrIjEEEENSD_INSE_IS9_EEEEjNS1_19radix_merge_compareILb0ELb0EjNS0_19identity_decomposerEEEEE10hipError_tT0_T1_T2_jT3_P12ihipStream_tbPNSt15iterator_traitsISN_E10value_typeEPNST_ISO_E10value_typeEPSP_NS1_7vsmem_tEENKUlT_SN_SO_SP_E_clIPjSG_PS9_SI_EESM_S12_SN_SO_SP_EUlS12_E_NS1_11comp_targetILNS1_3genE5ELNS1_11target_archE942ELNS1_3gpuE9ELNS1_3repE0EEENS1_48merge_mergepath_partition_config_static_selectorELNS0_4arch9wavefront6targetE0EEEvSO_.numbered_sgpr, 0
	.set _ZN7rocprim17ROCPRIM_400000_NS6detail17trampoline_kernelINS0_14default_configENS1_38merge_sort_block_merge_config_selectorIjN6thrust23THRUST_200600_302600_NS5tupleIffNS6_9null_typeES8_S8_S8_S8_S8_S8_S8_EEEEZZNS1_27merge_sort_block_merge_implIS3_NS6_6detail15normal_iteratorINS6_10device_ptrIjEEEENSD_INSE_IS9_EEEEjNS1_19radix_merge_compareILb0ELb0EjNS0_19identity_decomposerEEEEE10hipError_tT0_T1_T2_jT3_P12ihipStream_tbPNSt15iterator_traitsISN_E10value_typeEPNST_ISO_E10value_typeEPSP_NS1_7vsmem_tEENKUlT_SN_SO_SP_E_clIPjSG_PS9_SI_EESM_S12_SN_SO_SP_EUlS12_E_NS1_11comp_targetILNS1_3genE5ELNS1_11target_archE942ELNS1_3gpuE9ELNS1_3repE0EEENS1_48merge_mergepath_partition_config_static_selectorELNS0_4arch9wavefront6targetE0EEEvSO_.num_named_barrier, 0
	.set _ZN7rocprim17ROCPRIM_400000_NS6detail17trampoline_kernelINS0_14default_configENS1_38merge_sort_block_merge_config_selectorIjN6thrust23THRUST_200600_302600_NS5tupleIffNS6_9null_typeES8_S8_S8_S8_S8_S8_S8_EEEEZZNS1_27merge_sort_block_merge_implIS3_NS6_6detail15normal_iteratorINS6_10device_ptrIjEEEENSD_INSE_IS9_EEEEjNS1_19radix_merge_compareILb0ELb0EjNS0_19identity_decomposerEEEEE10hipError_tT0_T1_T2_jT3_P12ihipStream_tbPNSt15iterator_traitsISN_E10value_typeEPNST_ISO_E10value_typeEPSP_NS1_7vsmem_tEENKUlT_SN_SO_SP_E_clIPjSG_PS9_SI_EESM_S12_SN_SO_SP_EUlS12_E_NS1_11comp_targetILNS1_3genE5ELNS1_11target_archE942ELNS1_3gpuE9ELNS1_3repE0EEENS1_48merge_mergepath_partition_config_static_selectorELNS0_4arch9wavefront6targetE0EEEvSO_.private_seg_size, 0
	.set _ZN7rocprim17ROCPRIM_400000_NS6detail17trampoline_kernelINS0_14default_configENS1_38merge_sort_block_merge_config_selectorIjN6thrust23THRUST_200600_302600_NS5tupleIffNS6_9null_typeES8_S8_S8_S8_S8_S8_S8_EEEEZZNS1_27merge_sort_block_merge_implIS3_NS6_6detail15normal_iteratorINS6_10device_ptrIjEEEENSD_INSE_IS9_EEEEjNS1_19radix_merge_compareILb0ELb0EjNS0_19identity_decomposerEEEEE10hipError_tT0_T1_T2_jT3_P12ihipStream_tbPNSt15iterator_traitsISN_E10value_typeEPNST_ISO_E10value_typeEPSP_NS1_7vsmem_tEENKUlT_SN_SO_SP_E_clIPjSG_PS9_SI_EESM_S12_SN_SO_SP_EUlS12_E_NS1_11comp_targetILNS1_3genE5ELNS1_11target_archE942ELNS1_3gpuE9ELNS1_3repE0EEENS1_48merge_mergepath_partition_config_static_selectorELNS0_4arch9wavefront6targetE0EEEvSO_.uses_vcc, 0
	.set _ZN7rocprim17ROCPRIM_400000_NS6detail17trampoline_kernelINS0_14default_configENS1_38merge_sort_block_merge_config_selectorIjN6thrust23THRUST_200600_302600_NS5tupleIffNS6_9null_typeES8_S8_S8_S8_S8_S8_S8_EEEEZZNS1_27merge_sort_block_merge_implIS3_NS6_6detail15normal_iteratorINS6_10device_ptrIjEEEENSD_INSE_IS9_EEEEjNS1_19radix_merge_compareILb0ELb0EjNS0_19identity_decomposerEEEEE10hipError_tT0_T1_T2_jT3_P12ihipStream_tbPNSt15iterator_traitsISN_E10value_typeEPNST_ISO_E10value_typeEPSP_NS1_7vsmem_tEENKUlT_SN_SO_SP_E_clIPjSG_PS9_SI_EESM_S12_SN_SO_SP_EUlS12_E_NS1_11comp_targetILNS1_3genE5ELNS1_11target_archE942ELNS1_3gpuE9ELNS1_3repE0EEENS1_48merge_mergepath_partition_config_static_selectorELNS0_4arch9wavefront6targetE0EEEvSO_.uses_flat_scratch, 0
	.set _ZN7rocprim17ROCPRIM_400000_NS6detail17trampoline_kernelINS0_14default_configENS1_38merge_sort_block_merge_config_selectorIjN6thrust23THRUST_200600_302600_NS5tupleIffNS6_9null_typeES8_S8_S8_S8_S8_S8_S8_EEEEZZNS1_27merge_sort_block_merge_implIS3_NS6_6detail15normal_iteratorINS6_10device_ptrIjEEEENSD_INSE_IS9_EEEEjNS1_19radix_merge_compareILb0ELb0EjNS0_19identity_decomposerEEEEE10hipError_tT0_T1_T2_jT3_P12ihipStream_tbPNSt15iterator_traitsISN_E10value_typeEPNST_ISO_E10value_typeEPSP_NS1_7vsmem_tEENKUlT_SN_SO_SP_E_clIPjSG_PS9_SI_EESM_S12_SN_SO_SP_EUlS12_E_NS1_11comp_targetILNS1_3genE5ELNS1_11target_archE942ELNS1_3gpuE9ELNS1_3repE0EEENS1_48merge_mergepath_partition_config_static_selectorELNS0_4arch9wavefront6targetE0EEEvSO_.has_dyn_sized_stack, 0
	.set _ZN7rocprim17ROCPRIM_400000_NS6detail17trampoline_kernelINS0_14default_configENS1_38merge_sort_block_merge_config_selectorIjN6thrust23THRUST_200600_302600_NS5tupleIffNS6_9null_typeES8_S8_S8_S8_S8_S8_S8_EEEEZZNS1_27merge_sort_block_merge_implIS3_NS6_6detail15normal_iteratorINS6_10device_ptrIjEEEENSD_INSE_IS9_EEEEjNS1_19radix_merge_compareILb0ELb0EjNS0_19identity_decomposerEEEEE10hipError_tT0_T1_T2_jT3_P12ihipStream_tbPNSt15iterator_traitsISN_E10value_typeEPNST_ISO_E10value_typeEPSP_NS1_7vsmem_tEENKUlT_SN_SO_SP_E_clIPjSG_PS9_SI_EESM_S12_SN_SO_SP_EUlS12_E_NS1_11comp_targetILNS1_3genE5ELNS1_11target_archE942ELNS1_3gpuE9ELNS1_3repE0EEENS1_48merge_mergepath_partition_config_static_selectorELNS0_4arch9wavefront6targetE0EEEvSO_.has_recursion, 0
	.set _ZN7rocprim17ROCPRIM_400000_NS6detail17trampoline_kernelINS0_14default_configENS1_38merge_sort_block_merge_config_selectorIjN6thrust23THRUST_200600_302600_NS5tupleIffNS6_9null_typeES8_S8_S8_S8_S8_S8_S8_EEEEZZNS1_27merge_sort_block_merge_implIS3_NS6_6detail15normal_iteratorINS6_10device_ptrIjEEEENSD_INSE_IS9_EEEEjNS1_19radix_merge_compareILb0ELb0EjNS0_19identity_decomposerEEEEE10hipError_tT0_T1_T2_jT3_P12ihipStream_tbPNSt15iterator_traitsISN_E10value_typeEPNST_ISO_E10value_typeEPSP_NS1_7vsmem_tEENKUlT_SN_SO_SP_E_clIPjSG_PS9_SI_EESM_S12_SN_SO_SP_EUlS12_E_NS1_11comp_targetILNS1_3genE5ELNS1_11target_archE942ELNS1_3gpuE9ELNS1_3repE0EEENS1_48merge_mergepath_partition_config_static_selectorELNS0_4arch9wavefront6targetE0EEEvSO_.has_indirect_call, 0
	.section	.AMDGPU.csdata,"",@progbits
; Kernel info:
; codeLenInByte = 0
; TotalNumSgprs: 0
; NumVgprs: 0
; ScratchSize: 0
; MemoryBound: 0
; FloatMode: 240
; IeeeMode: 1
; LDSByteSize: 0 bytes/workgroup (compile time only)
; SGPRBlocks: 0
; VGPRBlocks: 0
; NumSGPRsForWavesPerEU: 1
; NumVGPRsForWavesPerEU: 1
; Occupancy: 16
; WaveLimiterHint : 0
; COMPUTE_PGM_RSRC2:SCRATCH_EN: 0
; COMPUTE_PGM_RSRC2:USER_SGPR: 6
; COMPUTE_PGM_RSRC2:TRAP_HANDLER: 0
; COMPUTE_PGM_RSRC2:TGID_X_EN: 1
; COMPUTE_PGM_RSRC2:TGID_Y_EN: 0
; COMPUTE_PGM_RSRC2:TGID_Z_EN: 0
; COMPUTE_PGM_RSRC2:TIDIG_COMP_CNT: 0
	.section	.text._ZN7rocprim17ROCPRIM_400000_NS6detail17trampoline_kernelINS0_14default_configENS1_38merge_sort_block_merge_config_selectorIjN6thrust23THRUST_200600_302600_NS5tupleIffNS6_9null_typeES8_S8_S8_S8_S8_S8_S8_EEEEZZNS1_27merge_sort_block_merge_implIS3_NS6_6detail15normal_iteratorINS6_10device_ptrIjEEEENSD_INSE_IS9_EEEEjNS1_19radix_merge_compareILb0ELb0EjNS0_19identity_decomposerEEEEE10hipError_tT0_T1_T2_jT3_P12ihipStream_tbPNSt15iterator_traitsISN_E10value_typeEPNST_ISO_E10value_typeEPSP_NS1_7vsmem_tEENKUlT_SN_SO_SP_E_clIPjSG_PS9_SI_EESM_S12_SN_SO_SP_EUlS12_E_NS1_11comp_targetILNS1_3genE4ELNS1_11target_archE910ELNS1_3gpuE8ELNS1_3repE0EEENS1_48merge_mergepath_partition_config_static_selectorELNS0_4arch9wavefront6targetE0EEEvSO_,"axG",@progbits,_ZN7rocprim17ROCPRIM_400000_NS6detail17trampoline_kernelINS0_14default_configENS1_38merge_sort_block_merge_config_selectorIjN6thrust23THRUST_200600_302600_NS5tupleIffNS6_9null_typeES8_S8_S8_S8_S8_S8_S8_EEEEZZNS1_27merge_sort_block_merge_implIS3_NS6_6detail15normal_iteratorINS6_10device_ptrIjEEEENSD_INSE_IS9_EEEEjNS1_19radix_merge_compareILb0ELb0EjNS0_19identity_decomposerEEEEE10hipError_tT0_T1_T2_jT3_P12ihipStream_tbPNSt15iterator_traitsISN_E10value_typeEPNST_ISO_E10value_typeEPSP_NS1_7vsmem_tEENKUlT_SN_SO_SP_E_clIPjSG_PS9_SI_EESM_S12_SN_SO_SP_EUlS12_E_NS1_11comp_targetILNS1_3genE4ELNS1_11target_archE910ELNS1_3gpuE8ELNS1_3repE0EEENS1_48merge_mergepath_partition_config_static_selectorELNS0_4arch9wavefront6targetE0EEEvSO_,comdat
	.protected	_ZN7rocprim17ROCPRIM_400000_NS6detail17trampoline_kernelINS0_14default_configENS1_38merge_sort_block_merge_config_selectorIjN6thrust23THRUST_200600_302600_NS5tupleIffNS6_9null_typeES8_S8_S8_S8_S8_S8_S8_EEEEZZNS1_27merge_sort_block_merge_implIS3_NS6_6detail15normal_iteratorINS6_10device_ptrIjEEEENSD_INSE_IS9_EEEEjNS1_19radix_merge_compareILb0ELb0EjNS0_19identity_decomposerEEEEE10hipError_tT0_T1_T2_jT3_P12ihipStream_tbPNSt15iterator_traitsISN_E10value_typeEPNST_ISO_E10value_typeEPSP_NS1_7vsmem_tEENKUlT_SN_SO_SP_E_clIPjSG_PS9_SI_EESM_S12_SN_SO_SP_EUlS12_E_NS1_11comp_targetILNS1_3genE4ELNS1_11target_archE910ELNS1_3gpuE8ELNS1_3repE0EEENS1_48merge_mergepath_partition_config_static_selectorELNS0_4arch9wavefront6targetE0EEEvSO_ ; -- Begin function _ZN7rocprim17ROCPRIM_400000_NS6detail17trampoline_kernelINS0_14default_configENS1_38merge_sort_block_merge_config_selectorIjN6thrust23THRUST_200600_302600_NS5tupleIffNS6_9null_typeES8_S8_S8_S8_S8_S8_S8_EEEEZZNS1_27merge_sort_block_merge_implIS3_NS6_6detail15normal_iteratorINS6_10device_ptrIjEEEENSD_INSE_IS9_EEEEjNS1_19radix_merge_compareILb0ELb0EjNS0_19identity_decomposerEEEEE10hipError_tT0_T1_T2_jT3_P12ihipStream_tbPNSt15iterator_traitsISN_E10value_typeEPNST_ISO_E10value_typeEPSP_NS1_7vsmem_tEENKUlT_SN_SO_SP_E_clIPjSG_PS9_SI_EESM_S12_SN_SO_SP_EUlS12_E_NS1_11comp_targetILNS1_3genE4ELNS1_11target_archE910ELNS1_3gpuE8ELNS1_3repE0EEENS1_48merge_mergepath_partition_config_static_selectorELNS0_4arch9wavefront6targetE0EEEvSO_
	.globl	_ZN7rocprim17ROCPRIM_400000_NS6detail17trampoline_kernelINS0_14default_configENS1_38merge_sort_block_merge_config_selectorIjN6thrust23THRUST_200600_302600_NS5tupleIffNS6_9null_typeES8_S8_S8_S8_S8_S8_S8_EEEEZZNS1_27merge_sort_block_merge_implIS3_NS6_6detail15normal_iteratorINS6_10device_ptrIjEEEENSD_INSE_IS9_EEEEjNS1_19radix_merge_compareILb0ELb0EjNS0_19identity_decomposerEEEEE10hipError_tT0_T1_T2_jT3_P12ihipStream_tbPNSt15iterator_traitsISN_E10value_typeEPNST_ISO_E10value_typeEPSP_NS1_7vsmem_tEENKUlT_SN_SO_SP_E_clIPjSG_PS9_SI_EESM_S12_SN_SO_SP_EUlS12_E_NS1_11comp_targetILNS1_3genE4ELNS1_11target_archE910ELNS1_3gpuE8ELNS1_3repE0EEENS1_48merge_mergepath_partition_config_static_selectorELNS0_4arch9wavefront6targetE0EEEvSO_
	.p2align	8
	.type	_ZN7rocprim17ROCPRIM_400000_NS6detail17trampoline_kernelINS0_14default_configENS1_38merge_sort_block_merge_config_selectorIjN6thrust23THRUST_200600_302600_NS5tupleIffNS6_9null_typeES8_S8_S8_S8_S8_S8_S8_EEEEZZNS1_27merge_sort_block_merge_implIS3_NS6_6detail15normal_iteratorINS6_10device_ptrIjEEEENSD_INSE_IS9_EEEEjNS1_19radix_merge_compareILb0ELb0EjNS0_19identity_decomposerEEEEE10hipError_tT0_T1_T2_jT3_P12ihipStream_tbPNSt15iterator_traitsISN_E10value_typeEPNST_ISO_E10value_typeEPSP_NS1_7vsmem_tEENKUlT_SN_SO_SP_E_clIPjSG_PS9_SI_EESM_S12_SN_SO_SP_EUlS12_E_NS1_11comp_targetILNS1_3genE4ELNS1_11target_archE910ELNS1_3gpuE8ELNS1_3repE0EEENS1_48merge_mergepath_partition_config_static_selectorELNS0_4arch9wavefront6targetE0EEEvSO_,@function
_ZN7rocprim17ROCPRIM_400000_NS6detail17trampoline_kernelINS0_14default_configENS1_38merge_sort_block_merge_config_selectorIjN6thrust23THRUST_200600_302600_NS5tupleIffNS6_9null_typeES8_S8_S8_S8_S8_S8_S8_EEEEZZNS1_27merge_sort_block_merge_implIS3_NS6_6detail15normal_iteratorINS6_10device_ptrIjEEEENSD_INSE_IS9_EEEEjNS1_19radix_merge_compareILb0ELb0EjNS0_19identity_decomposerEEEEE10hipError_tT0_T1_T2_jT3_P12ihipStream_tbPNSt15iterator_traitsISN_E10value_typeEPNST_ISO_E10value_typeEPSP_NS1_7vsmem_tEENKUlT_SN_SO_SP_E_clIPjSG_PS9_SI_EESM_S12_SN_SO_SP_EUlS12_E_NS1_11comp_targetILNS1_3genE4ELNS1_11target_archE910ELNS1_3gpuE8ELNS1_3repE0EEENS1_48merge_mergepath_partition_config_static_selectorELNS0_4arch9wavefront6targetE0EEEvSO_: ; @_ZN7rocprim17ROCPRIM_400000_NS6detail17trampoline_kernelINS0_14default_configENS1_38merge_sort_block_merge_config_selectorIjN6thrust23THRUST_200600_302600_NS5tupleIffNS6_9null_typeES8_S8_S8_S8_S8_S8_S8_EEEEZZNS1_27merge_sort_block_merge_implIS3_NS6_6detail15normal_iteratorINS6_10device_ptrIjEEEENSD_INSE_IS9_EEEEjNS1_19radix_merge_compareILb0ELb0EjNS0_19identity_decomposerEEEEE10hipError_tT0_T1_T2_jT3_P12ihipStream_tbPNSt15iterator_traitsISN_E10value_typeEPNST_ISO_E10value_typeEPSP_NS1_7vsmem_tEENKUlT_SN_SO_SP_E_clIPjSG_PS9_SI_EESM_S12_SN_SO_SP_EUlS12_E_NS1_11comp_targetILNS1_3genE4ELNS1_11target_archE910ELNS1_3gpuE8ELNS1_3repE0EEENS1_48merge_mergepath_partition_config_static_selectorELNS0_4arch9wavefront6targetE0EEEvSO_
; %bb.0:
	.section	.rodata,"a",@progbits
	.p2align	6, 0x0
	.amdhsa_kernel _ZN7rocprim17ROCPRIM_400000_NS6detail17trampoline_kernelINS0_14default_configENS1_38merge_sort_block_merge_config_selectorIjN6thrust23THRUST_200600_302600_NS5tupleIffNS6_9null_typeES8_S8_S8_S8_S8_S8_S8_EEEEZZNS1_27merge_sort_block_merge_implIS3_NS6_6detail15normal_iteratorINS6_10device_ptrIjEEEENSD_INSE_IS9_EEEEjNS1_19radix_merge_compareILb0ELb0EjNS0_19identity_decomposerEEEEE10hipError_tT0_T1_T2_jT3_P12ihipStream_tbPNSt15iterator_traitsISN_E10value_typeEPNST_ISO_E10value_typeEPSP_NS1_7vsmem_tEENKUlT_SN_SO_SP_E_clIPjSG_PS9_SI_EESM_S12_SN_SO_SP_EUlS12_E_NS1_11comp_targetILNS1_3genE4ELNS1_11target_archE910ELNS1_3gpuE8ELNS1_3repE0EEENS1_48merge_mergepath_partition_config_static_selectorELNS0_4arch9wavefront6targetE0EEEvSO_
		.amdhsa_group_segment_fixed_size 0
		.amdhsa_private_segment_fixed_size 0
		.amdhsa_kernarg_size 40
		.amdhsa_user_sgpr_count 6
		.amdhsa_user_sgpr_private_segment_buffer 1
		.amdhsa_user_sgpr_dispatch_ptr 0
		.amdhsa_user_sgpr_queue_ptr 0
		.amdhsa_user_sgpr_kernarg_segment_ptr 1
		.amdhsa_user_sgpr_dispatch_id 0
		.amdhsa_user_sgpr_flat_scratch_init 0
		.amdhsa_user_sgpr_private_segment_size 0
		.amdhsa_wavefront_size32 1
		.amdhsa_uses_dynamic_stack 0
		.amdhsa_system_sgpr_private_segment_wavefront_offset 0
		.amdhsa_system_sgpr_workgroup_id_x 1
		.amdhsa_system_sgpr_workgroup_id_y 0
		.amdhsa_system_sgpr_workgroup_id_z 0
		.amdhsa_system_sgpr_workgroup_info 0
		.amdhsa_system_vgpr_workitem_id 0
		.amdhsa_next_free_vgpr 1
		.amdhsa_next_free_sgpr 1
		.amdhsa_reserve_vcc 0
		.amdhsa_reserve_flat_scratch 0
		.amdhsa_float_round_mode_32 0
		.amdhsa_float_round_mode_16_64 0
		.amdhsa_float_denorm_mode_32 3
		.amdhsa_float_denorm_mode_16_64 3
		.amdhsa_dx10_clamp 1
		.amdhsa_ieee_mode 1
		.amdhsa_fp16_overflow 0
		.amdhsa_workgroup_processor_mode 1
		.amdhsa_memory_ordered 1
		.amdhsa_forward_progress 1
		.amdhsa_shared_vgpr_count 0
		.amdhsa_exception_fp_ieee_invalid_op 0
		.amdhsa_exception_fp_denorm_src 0
		.amdhsa_exception_fp_ieee_div_zero 0
		.amdhsa_exception_fp_ieee_overflow 0
		.amdhsa_exception_fp_ieee_underflow 0
		.amdhsa_exception_fp_ieee_inexact 0
		.amdhsa_exception_int_div_zero 0
	.end_amdhsa_kernel
	.section	.text._ZN7rocprim17ROCPRIM_400000_NS6detail17trampoline_kernelINS0_14default_configENS1_38merge_sort_block_merge_config_selectorIjN6thrust23THRUST_200600_302600_NS5tupleIffNS6_9null_typeES8_S8_S8_S8_S8_S8_S8_EEEEZZNS1_27merge_sort_block_merge_implIS3_NS6_6detail15normal_iteratorINS6_10device_ptrIjEEEENSD_INSE_IS9_EEEEjNS1_19radix_merge_compareILb0ELb0EjNS0_19identity_decomposerEEEEE10hipError_tT0_T1_T2_jT3_P12ihipStream_tbPNSt15iterator_traitsISN_E10value_typeEPNST_ISO_E10value_typeEPSP_NS1_7vsmem_tEENKUlT_SN_SO_SP_E_clIPjSG_PS9_SI_EESM_S12_SN_SO_SP_EUlS12_E_NS1_11comp_targetILNS1_3genE4ELNS1_11target_archE910ELNS1_3gpuE8ELNS1_3repE0EEENS1_48merge_mergepath_partition_config_static_selectorELNS0_4arch9wavefront6targetE0EEEvSO_,"axG",@progbits,_ZN7rocprim17ROCPRIM_400000_NS6detail17trampoline_kernelINS0_14default_configENS1_38merge_sort_block_merge_config_selectorIjN6thrust23THRUST_200600_302600_NS5tupleIffNS6_9null_typeES8_S8_S8_S8_S8_S8_S8_EEEEZZNS1_27merge_sort_block_merge_implIS3_NS6_6detail15normal_iteratorINS6_10device_ptrIjEEEENSD_INSE_IS9_EEEEjNS1_19radix_merge_compareILb0ELb0EjNS0_19identity_decomposerEEEEE10hipError_tT0_T1_T2_jT3_P12ihipStream_tbPNSt15iterator_traitsISN_E10value_typeEPNST_ISO_E10value_typeEPSP_NS1_7vsmem_tEENKUlT_SN_SO_SP_E_clIPjSG_PS9_SI_EESM_S12_SN_SO_SP_EUlS12_E_NS1_11comp_targetILNS1_3genE4ELNS1_11target_archE910ELNS1_3gpuE8ELNS1_3repE0EEENS1_48merge_mergepath_partition_config_static_selectorELNS0_4arch9wavefront6targetE0EEEvSO_,comdat
.Lfunc_end28:
	.size	_ZN7rocprim17ROCPRIM_400000_NS6detail17trampoline_kernelINS0_14default_configENS1_38merge_sort_block_merge_config_selectorIjN6thrust23THRUST_200600_302600_NS5tupleIffNS6_9null_typeES8_S8_S8_S8_S8_S8_S8_EEEEZZNS1_27merge_sort_block_merge_implIS3_NS6_6detail15normal_iteratorINS6_10device_ptrIjEEEENSD_INSE_IS9_EEEEjNS1_19radix_merge_compareILb0ELb0EjNS0_19identity_decomposerEEEEE10hipError_tT0_T1_T2_jT3_P12ihipStream_tbPNSt15iterator_traitsISN_E10value_typeEPNST_ISO_E10value_typeEPSP_NS1_7vsmem_tEENKUlT_SN_SO_SP_E_clIPjSG_PS9_SI_EESM_S12_SN_SO_SP_EUlS12_E_NS1_11comp_targetILNS1_3genE4ELNS1_11target_archE910ELNS1_3gpuE8ELNS1_3repE0EEENS1_48merge_mergepath_partition_config_static_selectorELNS0_4arch9wavefront6targetE0EEEvSO_, .Lfunc_end28-_ZN7rocprim17ROCPRIM_400000_NS6detail17trampoline_kernelINS0_14default_configENS1_38merge_sort_block_merge_config_selectorIjN6thrust23THRUST_200600_302600_NS5tupleIffNS6_9null_typeES8_S8_S8_S8_S8_S8_S8_EEEEZZNS1_27merge_sort_block_merge_implIS3_NS6_6detail15normal_iteratorINS6_10device_ptrIjEEEENSD_INSE_IS9_EEEEjNS1_19radix_merge_compareILb0ELb0EjNS0_19identity_decomposerEEEEE10hipError_tT0_T1_T2_jT3_P12ihipStream_tbPNSt15iterator_traitsISN_E10value_typeEPNST_ISO_E10value_typeEPSP_NS1_7vsmem_tEENKUlT_SN_SO_SP_E_clIPjSG_PS9_SI_EESM_S12_SN_SO_SP_EUlS12_E_NS1_11comp_targetILNS1_3genE4ELNS1_11target_archE910ELNS1_3gpuE8ELNS1_3repE0EEENS1_48merge_mergepath_partition_config_static_selectorELNS0_4arch9wavefront6targetE0EEEvSO_
                                        ; -- End function
	.set _ZN7rocprim17ROCPRIM_400000_NS6detail17trampoline_kernelINS0_14default_configENS1_38merge_sort_block_merge_config_selectorIjN6thrust23THRUST_200600_302600_NS5tupleIffNS6_9null_typeES8_S8_S8_S8_S8_S8_S8_EEEEZZNS1_27merge_sort_block_merge_implIS3_NS6_6detail15normal_iteratorINS6_10device_ptrIjEEEENSD_INSE_IS9_EEEEjNS1_19radix_merge_compareILb0ELb0EjNS0_19identity_decomposerEEEEE10hipError_tT0_T1_T2_jT3_P12ihipStream_tbPNSt15iterator_traitsISN_E10value_typeEPNST_ISO_E10value_typeEPSP_NS1_7vsmem_tEENKUlT_SN_SO_SP_E_clIPjSG_PS9_SI_EESM_S12_SN_SO_SP_EUlS12_E_NS1_11comp_targetILNS1_3genE4ELNS1_11target_archE910ELNS1_3gpuE8ELNS1_3repE0EEENS1_48merge_mergepath_partition_config_static_selectorELNS0_4arch9wavefront6targetE0EEEvSO_.num_vgpr, 0
	.set _ZN7rocprim17ROCPRIM_400000_NS6detail17trampoline_kernelINS0_14default_configENS1_38merge_sort_block_merge_config_selectorIjN6thrust23THRUST_200600_302600_NS5tupleIffNS6_9null_typeES8_S8_S8_S8_S8_S8_S8_EEEEZZNS1_27merge_sort_block_merge_implIS3_NS6_6detail15normal_iteratorINS6_10device_ptrIjEEEENSD_INSE_IS9_EEEEjNS1_19radix_merge_compareILb0ELb0EjNS0_19identity_decomposerEEEEE10hipError_tT0_T1_T2_jT3_P12ihipStream_tbPNSt15iterator_traitsISN_E10value_typeEPNST_ISO_E10value_typeEPSP_NS1_7vsmem_tEENKUlT_SN_SO_SP_E_clIPjSG_PS9_SI_EESM_S12_SN_SO_SP_EUlS12_E_NS1_11comp_targetILNS1_3genE4ELNS1_11target_archE910ELNS1_3gpuE8ELNS1_3repE0EEENS1_48merge_mergepath_partition_config_static_selectorELNS0_4arch9wavefront6targetE0EEEvSO_.num_agpr, 0
	.set _ZN7rocprim17ROCPRIM_400000_NS6detail17trampoline_kernelINS0_14default_configENS1_38merge_sort_block_merge_config_selectorIjN6thrust23THRUST_200600_302600_NS5tupleIffNS6_9null_typeES8_S8_S8_S8_S8_S8_S8_EEEEZZNS1_27merge_sort_block_merge_implIS3_NS6_6detail15normal_iteratorINS6_10device_ptrIjEEEENSD_INSE_IS9_EEEEjNS1_19radix_merge_compareILb0ELb0EjNS0_19identity_decomposerEEEEE10hipError_tT0_T1_T2_jT3_P12ihipStream_tbPNSt15iterator_traitsISN_E10value_typeEPNST_ISO_E10value_typeEPSP_NS1_7vsmem_tEENKUlT_SN_SO_SP_E_clIPjSG_PS9_SI_EESM_S12_SN_SO_SP_EUlS12_E_NS1_11comp_targetILNS1_3genE4ELNS1_11target_archE910ELNS1_3gpuE8ELNS1_3repE0EEENS1_48merge_mergepath_partition_config_static_selectorELNS0_4arch9wavefront6targetE0EEEvSO_.numbered_sgpr, 0
	.set _ZN7rocprim17ROCPRIM_400000_NS6detail17trampoline_kernelINS0_14default_configENS1_38merge_sort_block_merge_config_selectorIjN6thrust23THRUST_200600_302600_NS5tupleIffNS6_9null_typeES8_S8_S8_S8_S8_S8_S8_EEEEZZNS1_27merge_sort_block_merge_implIS3_NS6_6detail15normal_iteratorINS6_10device_ptrIjEEEENSD_INSE_IS9_EEEEjNS1_19radix_merge_compareILb0ELb0EjNS0_19identity_decomposerEEEEE10hipError_tT0_T1_T2_jT3_P12ihipStream_tbPNSt15iterator_traitsISN_E10value_typeEPNST_ISO_E10value_typeEPSP_NS1_7vsmem_tEENKUlT_SN_SO_SP_E_clIPjSG_PS9_SI_EESM_S12_SN_SO_SP_EUlS12_E_NS1_11comp_targetILNS1_3genE4ELNS1_11target_archE910ELNS1_3gpuE8ELNS1_3repE0EEENS1_48merge_mergepath_partition_config_static_selectorELNS0_4arch9wavefront6targetE0EEEvSO_.num_named_barrier, 0
	.set _ZN7rocprim17ROCPRIM_400000_NS6detail17trampoline_kernelINS0_14default_configENS1_38merge_sort_block_merge_config_selectorIjN6thrust23THRUST_200600_302600_NS5tupleIffNS6_9null_typeES8_S8_S8_S8_S8_S8_S8_EEEEZZNS1_27merge_sort_block_merge_implIS3_NS6_6detail15normal_iteratorINS6_10device_ptrIjEEEENSD_INSE_IS9_EEEEjNS1_19radix_merge_compareILb0ELb0EjNS0_19identity_decomposerEEEEE10hipError_tT0_T1_T2_jT3_P12ihipStream_tbPNSt15iterator_traitsISN_E10value_typeEPNST_ISO_E10value_typeEPSP_NS1_7vsmem_tEENKUlT_SN_SO_SP_E_clIPjSG_PS9_SI_EESM_S12_SN_SO_SP_EUlS12_E_NS1_11comp_targetILNS1_3genE4ELNS1_11target_archE910ELNS1_3gpuE8ELNS1_3repE0EEENS1_48merge_mergepath_partition_config_static_selectorELNS0_4arch9wavefront6targetE0EEEvSO_.private_seg_size, 0
	.set _ZN7rocprim17ROCPRIM_400000_NS6detail17trampoline_kernelINS0_14default_configENS1_38merge_sort_block_merge_config_selectorIjN6thrust23THRUST_200600_302600_NS5tupleIffNS6_9null_typeES8_S8_S8_S8_S8_S8_S8_EEEEZZNS1_27merge_sort_block_merge_implIS3_NS6_6detail15normal_iteratorINS6_10device_ptrIjEEEENSD_INSE_IS9_EEEEjNS1_19radix_merge_compareILb0ELb0EjNS0_19identity_decomposerEEEEE10hipError_tT0_T1_T2_jT3_P12ihipStream_tbPNSt15iterator_traitsISN_E10value_typeEPNST_ISO_E10value_typeEPSP_NS1_7vsmem_tEENKUlT_SN_SO_SP_E_clIPjSG_PS9_SI_EESM_S12_SN_SO_SP_EUlS12_E_NS1_11comp_targetILNS1_3genE4ELNS1_11target_archE910ELNS1_3gpuE8ELNS1_3repE0EEENS1_48merge_mergepath_partition_config_static_selectorELNS0_4arch9wavefront6targetE0EEEvSO_.uses_vcc, 0
	.set _ZN7rocprim17ROCPRIM_400000_NS6detail17trampoline_kernelINS0_14default_configENS1_38merge_sort_block_merge_config_selectorIjN6thrust23THRUST_200600_302600_NS5tupleIffNS6_9null_typeES8_S8_S8_S8_S8_S8_S8_EEEEZZNS1_27merge_sort_block_merge_implIS3_NS6_6detail15normal_iteratorINS6_10device_ptrIjEEEENSD_INSE_IS9_EEEEjNS1_19radix_merge_compareILb0ELb0EjNS0_19identity_decomposerEEEEE10hipError_tT0_T1_T2_jT3_P12ihipStream_tbPNSt15iterator_traitsISN_E10value_typeEPNST_ISO_E10value_typeEPSP_NS1_7vsmem_tEENKUlT_SN_SO_SP_E_clIPjSG_PS9_SI_EESM_S12_SN_SO_SP_EUlS12_E_NS1_11comp_targetILNS1_3genE4ELNS1_11target_archE910ELNS1_3gpuE8ELNS1_3repE0EEENS1_48merge_mergepath_partition_config_static_selectorELNS0_4arch9wavefront6targetE0EEEvSO_.uses_flat_scratch, 0
	.set _ZN7rocprim17ROCPRIM_400000_NS6detail17trampoline_kernelINS0_14default_configENS1_38merge_sort_block_merge_config_selectorIjN6thrust23THRUST_200600_302600_NS5tupleIffNS6_9null_typeES8_S8_S8_S8_S8_S8_S8_EEEEZZNS1_27merge_sort_block_merge_implIS3_NS6_6detail15normal_iteratorINS6_10device_ptrIjEEEENSD_INSE_IS9_EEEEjNS1_19radix_merge_compareILb0ELb0EjNS0_19identity_decomposerEEEEE10hipError_tT0_T1_T2_jT3_P12ihipStream_tbPNSt15iterator_traitsISN_E10value_typeEPNST_ISO_E10value_typeEPSP_NS1_7vsmem_tEENKUlT_SN_SO_SP_E_clIPjSG_PS9_SI_EESM_S12_SN_SO_SP_EUlS12_E_NS1_11comp_targetILNS1_3genE4ELNS1_11target_archE910ELNS1_3gpuE8ELNS1_3repE0EEENS1_48merge_mergepath_partition_config_static_selectorELNS0_4arch9wavefront6targetE0EEEvSO_.has_dyn_sized_stack, 0
	.set _ZN7rocprim17ROCPRIM_400000_NS6detail17trampoline_kernelINS0_14default_configENS1_38merge_sort_block_merge_config_selectorIjN6thrust23THRUST_200600_302600_NS5tupleIffNS6_9null_typeES8_S8_S8_S8_S8_S8_S8_EEEEZZNS1_27merge_sort_block_merge_implIS3_NS6_6detail15normal_iteratorINS6_10device_ptrIjEEEENSD_INSE_IS9_EEEEjNS1_19radix_merge_compareILb0ELb0EjNS0_19identity_decomposerEEEEE10hipError_tT0_T1_T2_jT3_P12ihipStream_tbPNSt15iterator_traitsISN_E10value_typeEPNST_ISO_E10value_typeEPSP_NS1_7vsmem_tEENKUlT_SN_SO_SP_E_clIPjSG_PS9_SI_EESM_S12_SN_SO_SP_EUlS12_E_NS1_11comp_targetILNS1_3genE4ELNS1_11target_archE910ELNS1_3gpuE8ELNS1_3repE0EEENS1_48merge_mergepath_partition_config_static_selectorELNS0_4arch9wavefront6targetE0EEEvSO_.has_recursion, 0
	.set _ZN7rocprim17ROCPRIM_400000_NS6detail17trampoline_kernelINS0_14default_configENS1_38merge_sort_block_merge_config_selectorIjN6thrust23THRUST_200600_302600_NS5tupleIffNS6_9null_typeES8_S8_S8_S8_S8_S8_S8_EEEEZZNS1_27merge_sort_block_merge_implIS3_NS6_6detail15normal_iteratorINS6_10device_ptrIjEEEENSD_INSE_IS9_EEEEjNS1_19radix_merge_compareILb0ELb0EjNS0_19identity_decomposerEEEEE10hipError_tT0_T1_T2_jT3_P12ihipStream_tbPNSt15iterator_traitsISN_E10value_typeEPNST_ISO_E10value_typeEPSP_NS1_7vsmem_tEENKUlT_SN_SO_SP_E_clIPjSG_PS9_SI_EESM_S12_SN_SO_SP_EUlS12_E_NS1_11comp_targetILNS1_3genE4ELNS1_11target_archE910ELNS1_3gpuE8ELNS1_3repE0EEENS1_48merge_mergepath_partition_config_static_selectorELNS0_4arch9wavefront6targetE0EEEvSO_.has_indirect_call, 0
	.section	.AMDGPU.csdata,"",@progbits
; Kernel info:
; codeLenInByte = 0
; TotalNumSgprs: 0
; NumVgprs: 0
; ScratchSize: 0
; MemoryBound: 0
; FloatMode: 240
; IeeeMode: 1
; LDSByteSize: 0 bytes/workgroup (compile time only)
; SGPRBlocks: 0
; VGPRBlocks: 0
; NumSGPRsForWavesPerEU: 1
; NumVGPRsForWavesPerEU: 1
; Occupancy: 16
; WaveLimiterHint : 0
; COMPUTE_PGM_RSRC2:SCRATCH_EN: 0
; COMPUTE_PGM_RSRC2:USER_SGPR: 6
; COMPUTE_PGM_RSRC2:TRAP_HANDLER: 0
; COMPUTE_PGM_RSRC2:TGID_X_EN: 1
; COMPUTE_PGM_RSRC2:TGID_Y_EN: 0
; COMPUTE_PGM_RSRC2:TGID_Z_EN: 0
; COMPUTE_PGM_RSRC2:TIDIG_COMP_CNT: 0
	.section	.text._ZN7rocprim17ROCPRIM_400000_NS6detail17trampoline_kernelINS0_14default_configENS1_38merge_sort_block_merge_config_selectorIjN6thrust23THRUST_200600_302600_NS5tupleIffNS6_9null_typeES8_S8_S8_S8_S8_S8_S8_EEEEZZNS1_27merge_sort_block_merge_implIS3_NS6_6detail15normal_iteratorINS6_10device_ptrIjEEEENSD_INSE_IS9_EEEEjNS1_19radix_merge_compareILb0ELb0EjNS0_19identity_decomposerEEEEE10hipError_tT0_T1_T2_jT3_P12ihipStream_tbPNSt15iterator_traitsISN_E10value_typeEPNST_ISO_E10value_typeEPSP_NS1_7vsmem_tEENKUlT_SN_SO_SP_E_clIPjSG_PS9_SI_EESM_S12_SN_SO_SP_EUlS12_E_NS1_11comp_targetILNS1_3genE3ELNS1_11target_archE908ELNS1_3gpuE7ELNS1_3repE0EEENS1_48merge_mergepath_partition_config_static_selectorELNS0_4arch9wavefront6targetE0EEEvSO_,"axG",@progbits,_ZN7rocprim17ROCPRIM_400000_NS6detail17trampoline_kernelINS0_14default_configENS1_38merge_sort_block_merge_config_selectorIjN6thrust23THRUST_200600_302600_NS5tupleIffNS6_9null_typeES8_S8_S8_S8_S8_S8_S8_EEEEZZNS1_27merge_sort_block_merge_implIS3_NS6_6detail15normal_iteratorINS6_10device_ptrIjEEEENSD_INSE_IS9_EEEEjNS1_19radix_merge_compareILb0ELb0EjNS0_19identity_decomposerEEEEE10hipError_tT0_T1_T2_jT3_P12ihipStream_tbPNSt15iterator_traitsISN_E10value_typeEPNST_ISO_E10value_typeEPSP_NS1_7vsmem_tEENKUlT_SN_SO_SP_E_clIPjSG_PS9_SI_EESM_S12_SN_SO_SP_EUlS12_E_NS1_11comp_targetILNS1_3genE3ELNS1_11target_archE908ELNS1_3gpuE7ELNS1_3repE0EEENS1_48merge_mergepath_partition_config_static_selectorELNS0_4arch9wavefront6targetE0EEEvSO_,comdat
	.protected	_ZN7rocprim17ROCPRIM_400000_NS6detail17trampoline_kernelINS0_14default_configENS1_38merge_sort_block_merge_config_selectorIjN6thrust23THRUST_200600_302600_NS5tupleIffNS6_9null_typeES8_S8_S8_S8_S8_S8_S8_EEEEZZNS1_27merge_sort_block_merge_implIS3_NS6_6detail15normal_iteratorINS6_10device_ptrIjEEEENSD_INSE_IS9_EEEEjNS1_19radix_merge_compareILb0ELb0EjNS0_19identity_decomposerEEEEE10hipError_tT0_T1_T2_jT3_P12ihipStream_tbPNSt15iterator_traitsISN_E10value_typeEPNST_ISO_E10value_typeEPSP_NS1_7vsmem_tEENKUlT_SN_SO_SP_E_clIPjSG_PS9_SI_EESM_S12_SN_SO_SP_EUlS12_E_NS1_11comp_targetILNS1_3genE3ELNS1_11target_archE908ELNS1_3gpuE7ELNS1_3repE0EEENS1_48merge_mergepath_partition_config_static_selectorELNS0_4arch9wavefront6targetE0EEEvSO_ ; -- Begin function _ZN7rocprim17ROCPRIM_400000_NS6detail17trampoline_kernelINS0_14default_configENS1_38merge_sort_block_merge_config_selectorIjN6thrust23THRUST_200600_302600_NS5tupleIffNS6_9null_typeES8_S8_S8_S8_S8_S8_S8_EEEEZZNS1_27merge_sort_block_merge_implIS3_NS6_6detail15normal_iteratorINS6_10device_ptrIjEEEENSD_INSE_IS9_EEEEjNS1_19radix_merge_compareILb0ELb0EjNS0_19identity_decomposerEEEEE10hipError_tT0_T1_T2_jT3_P12ihipStream_tbPNSt15iterator_traitsISN_E10value_typeEPNST_ISO_E10value_typeEPSP_NS1_7vsmem_tEENKUlT_SN_SO_SP_E_clIPjSG_PS9_SI_EESM_S12_SN_SO_SP_EUlS12_E_NS1_11comp_targetILNS1_3genE3ELNS1_11target_archE908ELNS1_3gpuE7ELNS1_3repE0EEENS1_48merge_mergepath_partition_config_static_selectorELNS0_4arch9wavefront6targetE0EEEvSO_
	.globl	_ZN7rocprim17ROCPRIM_400000_NS6detail17trampoline_kernelINS0_14default_configENS1_38merge_sort_block_merge_config_selectorIjN6thrust23THRUST_200600_302600_NS5tupleIffNS6_9null_typeES8_S8_S8_S8_S8_S8_S8_EEEEZZNS1_27merge_sort_block_merge_implIS3_NS6_6detail15normal_iteratorINS6_10device_ptrIjEEEENSD_INSE_IS9_EEEEjNS1_19radix_merge_compareILb0ELb0EjNS0_19identity_decomposerEEEEE10hipError_tT0_T1_T2_jT3_P12ihipStream_tbPNSt15iterator_traitsISN_E10value_typeEPNST_ISO_E10value_typeEPSP_NS1_7vsmem_tEENKUlT_SN_SO_SP_E_clIPjSG_PS9_SI_EESM_S12_SN_SO_SP_EUlS12_E_NS1_11comp_targetILNS1_3genE3ELNS1_11target_archE908ELNS1_3gpuE7ELNS1_3repE0EEENS1_48merge_mergepath_partition_config_static_selectorELNS0_4arch9wavefront6targetE0EEEvSO_
	.p2align	8
	.type	_ZN7rocprim17ROCPRIM_400000_NS6detail17trampoline_kernelINS0_14default_configENS1_38merge_sort_block_merge_config_selectorIjN6thrust23THRUST_200600_302600_NS5tupleIffNS6_9null_typeES8_S8_S8_S8_S8_S8_S8_EEEEZZNS1_27merge_sort_block_merge_implIS3_NS6_6detail15normal_iteratorINS6_10device_ptrIjEEEENSD_INSE_IS9_EEEEjNS1_19radix_merge_compareILb0ELb0EjNS0_19identity_decomposerEEEEE10hipError_tT0_T1_T2_jT3_P12ihipStream_tbPNSt15iterator_traitsISN_E10value_typeEPNST_ISO_E10value_typeEPSP_NS1_7vsmem_tEENKUlT_SN_SO_SP_E_clIPjSG_PS9_SI_EESM_S12_SN_SO_SP_EUlS12_E_NS1_11comp_targetILNS1_3genE3ELNS1_11target_archE908ELNS1_3gpuE7ELNS1_3repE0EEENS1_48merge_mergepath_partition_config_static_selectorELNS0_4arch9wavefront6targetE0EEEvSO_,@function
_ZN7rocprim17ROCPRIM_400000_NS6detail17trampoline_kernelINS0_14default_configENS1_38merge_sort_block_merge_config_selectorIjN6thrust23THRUST_200600_302600_NS5tupleIffNS6_9null_typeES8_S8_S8_S8_S8_S8_S8_EEEEZZNS1_27merge_sort_block_merge_implIS3_NS6_6detail15normal_iteratorINS6_10device_ptrIjEEEENSD_INSE_IS9_EEEEjNS1_19radix_merge_compareILb0ELb0EjNS0_19identity_decomposerEEEEE10hipError_tT0_T1_T2_jT3_P12ihipStream_tbPNSt15iterator_traitsISN_E10value_typeEPNST_ISO_E10value_typeEPSP_NS1_7vsmem_tEENKUlT_SN_SO_SP_E_clIPjSG_PS9_SI_EESM_S12_SN_SO_SP_EUlS12_E_NS1_11comp_targetILNS1_3genE3ELNS1_11target_archE908ELNS1_3gpuE7ELNS1_3repE0EEENS1_48merge_mergepath_partition_config_static_selectorELNS0_4arch9wavefront6targetE0EEEvSO_: ; @_ZN7rocprim17ROCPRIM_400000_NS6detail17trampoline_kernelINS0_14default_configENS1_38merge_sort_block_merge_config_selectorIjN6thrust23THRUST_200600_302600_NS5tupleIffNS6_9null_typeES8_S8_S8_S8_S8_S8_S8_EEEEZZNS1_27merge_sort_block_merge_implIS3_NS6_6detail15normal_iteratorINS6_10device_ptrIjEEEENSD_INSE_IS9_EEEEjNS1_19radix_merge_compareILb0ELb0EjNS0_19identity_decomposerEEEEE10hipError_tT0_T1_T2_jT3_P12ihipStream_tbPNSt15iterator_traitsISN_E10value_typeEPNST_ISO_E10value_typeEPSP_NS1_7vsmem_tEENKUlT_SN_SO_SP_E_clIPjSG_PS9_SI_EESM_S12_SN_SO_SP_EUlS12_E_NS1_11comp_targetILNS1_3genE3ELNS1_11target_archE908ELNS1_3gpuE7ELNS1_3repE0EEENS1_48merge_mergepath_partition_config_static_selectorELNS0_4arch9wavefront6targetE0EEEvSO_
; %bb.0:
	.section	.rodata,"a",@progbits
	.p2align	6, 0x0
	.amdhsa_kernel _ZN7rocprim17ROCPRIM_400000_NS6detail17trampoline_kernelINS0_14default_configENS1_38merge_sort_block_merge_config_selectorIjN6thrust23THRUST_200600_302600_NS5tupleIffNS6_9null_typeES8_S8_S8_S8_S8_S8_S8_EEEEZZNS1_27merge_sort_block_merge_implIS3_NS6_6detail15normal_iteratorINS6_10device_ptrIjEEEENSD_INSE_IS9_EEEEjNS1_19radix_merge_compareILb0ELb0EjNS0_19identity_decomposerEEEEE10hipError_tT0_T1_T2_jT3_P12ihipStream_tbPNSt15iterator_traitsISN_E10value_typeEPNST_ISO_E10value_typeEPSP_NS1_7vsmem_tEENKUlT_SN_SO_SP_E_clIPjSG_PS9_SI_EESM_S12_SN_SO_SP_EUlS12_E_NS1_11comp_targetILNS1_3genE3ELNS1_11target_archE908ELNS1_3gpuE7ELNS1_3repE0EEENS1_48merge_mergepath_partition_config_static_selectorELNS0_4arch9wavefront6targetE0EEEvSO_
		.amdhsa_group_segment_fixed_size 0
		.amdhsa_private_segment_fixed_size 0
		.amdhsa_kernarg_size 40
		.amdhsa_user_sgpr_count 6
		.amdhsa_user_sgpr_private_segment_buffer 1
		.amdhsa_user_sgpr_dispatch_ptr 0
		.amdhsa_user_sgpr_queue_ptr 0
		.amdhsa_user_sgpr_kernarg_segment_ptr 1
		.amdhsa_user_sgpr_dispatch_id 0
		.amdhsa_user_sgpr_flat_scratch_init 0
		.amdhsa_user_sgpr_private_segment_size 0
		.amdhsa_wavefront_size32 1
		.amdhsa_uses_dynamic_stack 0
		.amdhsa_system_sgpr_private_segment_wavefront_offset 0
		.amdhsa_system_sgpr_workgroup_id_x 1
		.amdhsa_system_sgpr_workgroup_id_y 0
		.amdhsa_system_sgpr_workgroup_id_z 0
		.amdhsa_system_sgpr_workgroup_info 0
		.amdhsa_system_vgpr_workitem_id 0
		.amdhsa_next_free_vgpr 1
		.amdhsa_next_free_sgpr 1
		.amdhsa_reserve_vcc 0
		.amdhsa_reserve_flat_scratch 0
		.amdhsa_float_round_mode_32 0
		.amdhsa_float_round_mode_16_64 0
		.amdhsa_float_denorm_mode_32 3
		.amdhsa_float_denorm_mode_16_64 3
		.amdhsa_dx10_clamp 1
		.amdhsa_ieee_mode 1
		.amdhsa_fp16_overflow 0
		.amdhsa_workgroup_processor_mode 1
		.amdhsa_memory_ordered 1
		.amdhsa_forward_progress 1
		.amdhsa_shared_vgpr_count 0
		.amdhsa_exception_fp_ieee_invalid_op 0
		.amdhsa_exception_fp_denorm_src 0
		.amdhsa_exception_fp_ieee_div_zero 0
		.amdhsa_exception_fp_ieee_overflow 0
		.amdhsa_exception_fp_ieee_underflow 0
		.amdhsa_exception_fp_ieee_inexact 0
		.amdhsa_exception_int_div_zero 0
	.end_amdhsa_kernel
	.section	.text._ZN7rocprim17ROCPRIM_400000_NS6detail17trampoline_kernelINS0_14default_configENS1_38merge_sort_block_merge_config_selectorIjN6thrust23THRUST_200600_302600_NS5tupleIffNS6_9null_typeES8_S8_S8_S8_S8_S8_S8_EEEEZZNS1_27merge_sort_block_merge_implIS3_NS6_6detail15normal_iteratorINS6_10device_ptrIjEEEENSD_INSE_IS9_EEEEjNS1_19radix_merge_compareILb0ELb0EjNS0_19identity_decomposerEEEEE10hipError_tT0_T1_T2_jT3_P12ihipStream_tbPNSt15iterator_traitsISN_E10value_typeEPNST_ISO_E10value_typeEPSP_NS1_7vsmem_tEENKUlT_SN_SO_SP_E_clIPjSG_PS9_SI_EESM_S12_SN_SO_SP_EUlS12_E_NS1_11comp_targetILNS1_3genE3ELNS1_11target_archE908ELNS1_3gpuE7ELNS1_3repE0EEENS1_48merge_mergepath_partition_config_static_selectorELNS0_4arch9wavefront6targetE0EEEvSO_,"axG",@progbits,_ZN7rocprim17ROCPRIM_400000_NS6detail17trampoline_kernelINS0_14default_configENS1_38merge_sort_block_merge_config_selectorIjN6thrust23THRUST_200600_302600_NS5tupleIffNS6_9null_typeES8_S8_S8_S8_S8_S8_S8_EEEEZZNS1_27merge_sort_block_merge_implIS3_NS6_6detail15normal_iteratorINS6_10device_ptrIjEEEENSD_INSE_IS9_EEEEjNS1_19radix_merge_compareILb0ELb0EjNS0_19identity_decomposerEEEEE10hipError_tT0_T1_T2_jT3_P12ihipStream_tbPNSt15iterator_traitsISN_E10value_typeEPNST_ISO_E10value_typeEPSP_NS1_7vsmem_tEENKUlT_SN_SO_SP_E_clIPjSG_PS9_SI_EESM_S12_SN_SO_SP_EUlS12_E_NS1_11comp_targetILNS1_3genE3ELNS1_11target_archE908ELNS1_3gpuE7ELNS1_3repE0EEENS1_48merge_mergepath_partition_config_static_selectorELNS0_4arch9wavefront6targetE0EEEvSO_,comdat
.Lfunc_end29:
	.size	_ZN7rocprim17ROCPRIM_400000_NS6detail17trampoline_kernelINS0_14default_configENS1_38merge_sort_block_merge_config_selectorIjN6thrust23THRUST_200600_302600_NS5tupleIffNS6_9null_typeES8_S8_S8_S8_S8_S8_S8_EEEEZZNS1_27merge_sort_block_merge_implIS3_NS6_6detail15normal_iteratorINS6_10device_ptrIjEEEENSD_INSE_IS9_EEEEjNS1_19radix_merge_compareILb0ELb0EjNS0_19identity_decomposerEEEEE10hipError_tT0_T1_T2_jT3_P12ihipStream_tbPNSt15iterator_traitsISN_E10value_typeEPNST_ISO_E10value_typeEPSP_NS1_7vsmem_tEENKUlT_SN_SO_SP_E_clIPjSG_PS9_SI_EESM_S12_SN_SO_SP_EUlS12_E_NS1_11comp_targetILNS1_3genE3ELNS1_11target_archE908ELNS1_3gpuE7ELNS1_3repE0EEENS1_48merge_mergepath_partition_config_static_selectorELNS0_4arch9wavefront6targetE0EEEvSO_, .Lfunc_end29-_ZN7rocprim17ROCPRIM_400000_NS6detail17trampoline_kernelINS0_14default_configENS1_38merge_sort_block_merge_config_selectorIjN6thrust23THRUST_200600_302600_NS5tupleIffNS6_9null_typeES8_S8_S8_S8_S8_S8_S8_EEEEZZNS1_27merge_sort_block_merge_implIS3_NS6_6detail15normal_iteratorINS6_10device_ptrIjEEEENSD_INSE_IS9_EEEEjNS1_19radix_merge_compareILb0ELb0EjNS0_19identity_decomposerEEEEE10hipError_tT0_T1_T2_jT3_P12ihipStream_tbPNSt15iterator_traitsISN_E10value_typeEPNST_ISO_E10value_typeEPSP_NS1_7vsmem_tEENKUlT_SN_SO_SP_E_clIPjSG_PS9_SI_EESM_S12_SN_SO_SP_EUlS12_E_NS1_11comp_targetILNS1_3genE3ELNS1_11target_archE908ELNS1_3gpuE7ELNS1_3repE0EEENS1_48merge_mergepath_partition_config_static_selectorELNS0_4arch9wavefront6targetE0EEEvSO_
                                        ; -- End function
	.set _ZN7rocprim17ROCPRIM_400000_NS6detail17trampoline_kernelINS0_14default_configENS1_38merge_sort_block_merge_config_selectorIjN6thrust23THRUST_200600_302600_NS5tupleIffNS6_9null_typeES8_S8_S8_S8_S8_S8_S8_EEEEZZNS1_27merge_sort_block_merge_implIS3_NS6_6detail15normal_iteratorINS6_10device_ptrIjEEEENSD_INSE_IS9_EEEEjNS1_19radix_merge_compareILb0ELb0EjNS0_19identity_decomposerEEEEE10hipError_tT0_T1_T2_jT3_P12ihipStream_tbPNSt15iterator_traitsISN_E10value_typeEPNST_ISO_E10value_typeEPSP_NS1_7vsmem_tEENKUlT_SN_SO_SP_E_clIPjSG_PS9_SI_EESM_S12_SN_SO_SP_EUlS12_E_NS1_11comp_targetILNS1_3genE3ELNS1_11target_archE908ELNS1_3gpuE7ELNS1_3repE0EEENS1_48merge_mergepath_partition_config_static_selectorELNS0_4arch9wavefront6targetE0EEEvSO_.num_vgpr, 0
	.set _ZN7rocprim17ROCPRIM_400000_NS6detail17trampoline_kernelINS0_14default_configENS1_38merge_sort_block_merge_config_selectorIjN6thrust23THRUST_200600_302600_NS5tupleIffNS6_9null_typeES8_S8_S8_S8_S8_S8_S8_EEEEZZNS1_27merge_sort_block_merge_implIS3_NS6_6detail15normal_iteratorINS6_10device_ptrIjEEEENSD_INSE_IS9_EEEEjNS1_19radix_merge_compareILb0ELb0EjNS0_19identity_decomposerEEEEE10hipError_tT0_T1_T2_jT3_P12ihipStream_tbPNSt15iterator_traitsISN_E10value_typeEPNST_ISO_E10value_typeEPSP_NS1_7vsmem_tEENKUlT_SN_SO_SP_E_clIPjSG_PS9_SI_EESM_S12_SN_SO_SP_EUlS12_E_NS1_11comp_targetILNS1_3genE3ELNS1_11target_archE908ELNS1_3gpuE7ELNS1_3repE0EEENS1_48merge_mergepath_partition_config_static_selectorELNS0_4arch9wavefront6targetE0EEEvSO_.num_agpr, 0
	.set _ZN7rocprim17ROCPRIM_400000_NS6detail17trampoline_kernelINS0_14default_configENS1_38merge_sort_block_merge_config_selectorIjN6thrust23THRUST_200600_302600_NS5tupleIffNS6_9null_typeES8_S8_S8_S8_S8_S8_S8_EEEEZZNS1_27merge_sort_block_merge_implIS3_NS6_6detail15normal_iteratorINS6_10device_ptrIjEEEENSD_INSE_IS9_EEEEjNS1_19radix_merge_compareILb0ELb0EjNS0_19identity_decomposerEEEEE10hipError_tT0_T1_T2_jT3_P12ihipStream_tbPNSt15iterator_traitsISN_E10value_typeEPNST_ISO_E10value_typeEPSP_NS1_7vsmem_tEENKUlT_SN_SO_SP_E_clIPjSG_PS9_SI_EESM_S12_SN_SO_SP_EUlS12_E_NS1_11comp_targetILNS1_3genE3ELNS1_11target_archE908ELNS1_3gpuE7ELNS1_3repE0EEENS1_48merge_mergepath_partition_config_static_selectorELNS0_4arch9wavefront6targetE0EEEvSO_.numbered_sgpr, 0
	.set _ZN7rocprim17ROCPRIM_400000_NS6detail17trampoline_kernelINS0_14default_configENS1_38merge_sort_block_merge_config_selectorIjN6thrust23THRUST_200600_302600_NS5tupleIffNS6_9null_typeES8_S8_S8_S8_S8_S8_S8_EEEEZZNS1_27merge_sort_block_merge_implIS3_NS6_6detail15normal_iteratorINS6_10device_ptrIjEEEENSD_INSE_IS9_EEEEjNS1_19radix_merge_compareILb0ELb0EjNS0_19identity_decomposerEEEEE10hipError_tT0_T1_T2_jT3_P12ihipStream_tbPNSt15iterator_traitsISN_E10value_typeEPNST_ISO_E10value_typeEPSP_NS1_7vsmem_tEENKUlT_SN_SO_SP_E_clIPjSG_PS9_SI_EESM_S12_SN_SO_SP_EUlS12_E_NS1_11comp_targetILNS1_3genE3ELNS1_11target_archE908ELNS1_3gpuE7ELNS1_3repE0EEENS1_48merge_mergepath_partition_config_static_selectorELNS0_4arch9wavefront6targetE0EEEvSO_.num_named_barrier, 0
	.set _ZN7rocprim17ROCPRIM_400000_NS6detail17trampoline_kernelINS0_14default_configENS1_38merge_sort_block_merge_config_selectorIjN6thrust23THRUST_200600_302600_NS5tupleIffNS6_9null_typeES8_S8_S8_S8_S8_S8_S8_EEEEZZNS1_27merge_sort_block_merge_implIS3_NS6_6detail15normal_iteratorINS6_10device_ptrIjEEEENSD_INSE_IS9_EEEEjNS1_19radix_merge_compareILb0ELb0EjNS0_19identity_decomposerEEEEE10hipError_tT0_T1_T2_jT3_P12ihipStream_tbPNSt15iterator_traitsISN_E10value_typeEPNST_ISO_E10value_typeEPSP_NS1_7vsmem_tEENKUlT_SN_SO_SP_E_clIPjSG_PS9_SI_EESM_S12_SN_SO_SP_EUlS12_E_NS1_11comp_targetILNS1_3genE3ELNS1_11target_archE908ELNS1_3gpuE7ELNS1_3repE0EEENS1_48merge_mergepath_partition_config_static_selectorELNS0_4arch9wavefront6targetE0EEEvSO_.private_seg_size, 0
	.set _ZN7rocprim17ROCPRIM_400000_NS6detail17trampoline_kernelINS0_14default_configENS1_38merge_sort_block_merge_config_selectorIjN6thrust23THRUST_200600_302600_NS5tupleIffNS6_9null_typeES8_S8_S8_S8_S8_S8_S8_EEEEZZNS1_27merge_sort_block_merge_implIS3_NS6_6detail15normal_iteratorINS6_10device_ptrIjEEEENSD_INSE_IS9_EEEEjNS1_19radix_merge_compareILb0ELb0EjNS0_19identity_decomposerEEEEE10hipError_tT0_T1_T2_jT3_P12ihipStream_tbPNSt15iterator_traitsISN_E10value_typeEPNST_ISO_E10value_typeEPSP_NS1_7vsmem_tEENKUlT_SN_SO_SP_E_clIPjSG_PS9_SI_EESM_S12_SN_SO_SP_EUlS12_E_NS1_11comp_targetILNS1_3genE3ELNS1_11target_archE908ELNS1_3gpuE7ELNS1_3repE0EEENS1_48merge_mergepath_partition_config_static_selectorELNS0_4arch9wavefront6targetE0EEEvSO_.uses_vcc, 0
	.set _ZN7rocprim17ROCPRIM_400000_NS6detail17trampoline_kernelINS0_14default_configENS1_38merge_sort_block_merge_config_selectorIjN6thrust23THRUST_200600_302600_NS5tupleIffNS6_9null_typeES8_S8_S8_S8_S8_S8_S8_EEEEZZNS1_27merge_sort_block_merge_implIS3_NS6_6detail15normal_iteratorINS6_10device_ptrIjEEEENSD_INSE_IS9_EEEEjNS1_19radix_merge_compareILb0ELb0EjNS0_19identity_decomposerEEEEE10hipError_tT0_T1_T2_jT3_P12ihipStream_tbPNSt15iterator_traitsISN_E10value_typeEPNST_ISO_E10value_typeEPSP_NS1_7vsmem_tEENKUlT_SN_SO_SP_E_clIPjSG_PS9_SI_EESM_S12_SN_SO_SP_EUlS12_E_NS1_11comp_targetILNS1_3genE3ELNS1_11target_archE908ELNS1_3gpuE7ELNS1_3repE0EEENS1_48merge_mergepath_partition_config_static_selectorELNS0_4arch9wavefront6targetE0EEEvSO_.uses_flat_scratch, 0
	.set _ZN7rocprim17ROCPRIM_400000_NS6detail17trampoline_kernelINS0_14default_configENS1_38merge_sort_block_merge_config_selectorIjN6thrust23THRUST_200600_302600_NS5tupleIffNS6_9null_typeES8_S8_S8_S8_S8_S8_S8_EEEEZZNS1_27merge_sort_block_merge_implIS3_NS6_6detail15normal_iteratorINS6_10device_ptrIjEEEENSD_INSE_IS9_EEEEjNS1_19radix_merge_compareILb0ELb0EjNS0_19identity_decomposerEEEEE10hipError_tT0_T1_T2_jT3_P12ihipStream_tbPNSt15iterator_traitsISN_E10value_typeEPNST_ISO_E10value_typeEPSP_NS1_7vsmem_tEENKUlT_SN_SO_SP_E_clIPjSG_PS9_SI_EESM_S12_SN_SO_SP_EUlS12_E_NS1_11comp_targetILNS1_3genE3ELNS1_11target_archE908ELNS1_3gpuE7ELNS1_3repE0EEENS1_48merge_mergepath_partition_config_static_selectorELNS0_4arch9wavefront6targetE0EEEvSO_.has_dyn_sized_stack, 0
	.set _ZN7rocprim17ROCPRIM_400000_NS6detail17trampoline_kernelINS0_14default_configENS1_38merge_sort_block_merge_config_selectorIjN6thrust23THRUST_200600_302600_NS5tupleIffNS6_9null_typeES8_S8_S8_S8_S8_S8_S8_EEEEZZNS1_27merge_sort_block_merge_implIS3_NS6_6detail15normal_iteratorINS6_10device_ptrIjEEEENSD_INSE_IS9_EEEEjNS1_19radix_merge_compareILb0ELb0EjNS0_19identity_decomposerEEEEE10hipError_tT0_T1_T2_jT3_P12ihipStream_tbPNSt15iterator_traitsISN_E10value_typeEPNST_ISO_E10value_typeEPSP_NS1_7vsmem_tEENKUlT_SN_SO_SP_E_clIPjSG_PS9_SI_EESM_S12_SN_SO_SP_EUlS12_E_NS1_11comp_targetILNS1_3genE3ELNS1_11target_archE908ELNS1_3gpuE7ELNS1_3repE0EEENS1_48merge_mergepath_partition_config_static_selectorELNS0_4arch9wavefront6targetE0EEEvSO_.has_recursion, 0
	.set _ZN7rocprim17ROCPRIM_400000_NS6detail17trampoline_kernelINS0_14default_configENS1_38merge_sort_block_merge_config_selectorIjN6thrust23THRUST_200600_302600_NS5tupleIffNS6_9null_typeES8_S8_S8_S8_S8_S8_S8_EEEEZZNS1_27merge_sort_block_merge_implIS3_NS6_6detail15normal_iteratorINS6_10device_ptrIjEEEENSD_INSE_IS9_EEEEjNS1_19radix_merge_compareILb0ELb0EjNS0_19identity_decomposerEEEEE10hipError_tT0_T1_T2_jT3_P12ihipStream_tbPNSt15iterator_traitsISN_E10value_typeEPNST_ISO_E10value_typeEPSP_NS1_7vsmem_tEENKUlT_SN_SO_SP_E_clIPjSG_PS9_SI_EESM_S12_SN_SO_SP_EUlS12_E_NS1_11comp_targetILNS1_3genE3ELNS1_11target_archE908ELNS1_3gpuE7ELNS1_3repE0EEENS1_48merge_mergepath_partition_config_static_selectorELNS0_4arch9wavefront6targetE0EEEvSO_.has_indirect_call, 0
	.section	.AMDGPU.csdata,"",@progbits
; Kernel info:
; codeLenInByte = 0
; TotalNumSgprs: 0
; NumVgprs: 0
; ScratchSize: 0
; MemoryBound: 0
; FloatMode: 240
; IeeeMode: 1
; LDSByteSize: 0 bytes/workgroup (compile time only)
; SGPRBlocks: 0
; VGPRBlocks: 0
; NumSGPRsForWavesPerEU: 1
; NumVGPRsForWavesPerEU: 1
; Occupancy: 16
; WaveLimiterHint : 0
; COMPUTE_PGM_RSRC2:SCRATCH_EN: 0
; COMPUTE_PGM_RSRC2:USER_SGPR: 6
; COMPUTE_PGM_RSRC2:TRAP_HANDLER: 0
; COMPUTE_PGM_RSRC2:TGID_X_EN: 1
; COMPUTE_PGM_RSRC2:TGID_Y_EN: 0
; COMPUTE_PGM_RSRC2:TGID_Z_EN: 0
; COMPUTE_PGM_RSRC2:TIDIG_COMP_CNT: 0
	.section	.text._ZN7rocprim17ROCPRIM_400000_NS6detail17trampoline_kernelINS0_14default_configENS1_38merge_sort_block_merge_config_selectorIjN6thrust23THRUST_200600_302600_NS5tupleIffNS6_9null_typeES8_S8_S8_S8_S8_S8_S8_EEEEZZNS1_27merge_sort_block_merge_implIS3_NS6_6detail15normal_iteratorINS6_10device_ptrIjEEEENSD_INSE_IS9_EEEEjNS1_19radix_merge_compareILb0ELb0EjNS0_19identity_decomposerEEEEE10hipError_tT0_T1_T2_jT3_P12ihipStream_tbPNSt15iterator_traitsISN_E10value_typeEPNST_ISO_E10value_typeEPSP_NS1_7vsmem_tEENKUlT_SN_SO_SP_E_clIPjSG_PS9_SI_EESM_S12_SN_SO_SP_EUlS12_E_NS1_11comp_targetILNS1_3genE2ELNS1_11target_archE906ELNS1_3gpuE6ELNS1_3repE0EEENS1_48merge_mergepath_partition_config_static_selectorELNS0_4arch9wavefront6targetE0EEEvSO_,"axG",@progbits,_ZN7rocprim17ROCPRIM_400000_NS6detail17trampoline_kernelINS0_14default_configENS1_38merge_sort_block_merge_config_selectorIjN6thrust23THRUST_200600_302600_NS5tupleIffNS6_9null_typeES8_S8_S8_S8_S8_S8_S8_EEEEZZNS1_27merge_sort_block_merge_implIS3_NS6_6detail15normal_iteratorINS6_10device_ptrIjEEEENSD_INSE_IS9_EEEEjNS1_19radix_merge_compareILb0ELb0EjNS0_19identity_decomposerEEEEE10hipError_tT0_T1_T2_jT3_P12ihipStream_tbPNSt15iterator_traitsISN_E10value_typeEPNST_ISO_E10value_typeEPSP_NS1_7vsmem_tEENKUlT_SN_SO_SP_E_clIPjSG_PS9_SI_EESM_S12_SN_SO_SP_EUlS12_E_NS1_11comp_targetILNS1_3genE2ELNS1_11target_archE906ELNS1_3gpuE6ELNS1_3repE0EEENS1_48merge_mergepath_partition_config_static_selectorELNS0_4arch9wavefront6targetE0EEEvSO_,comdat
	.protected	_ZN7rocprim17ROCPRIM_400000_NS6detail17trampoline_kernelINS0_14default_configENS1_38merge_sort_block_merge_config_selectorIjN6thrust23THRUST_200600_302600_NS5tupleIffNS6_9null_typeES8_S8_S8_S8_S8_S8_S8_EEEEZZNS1_27merge_sort_block_merge_implIS3_NS6_6detail15normal_iteratorINS6_10device_ptrIjEEEENSD_INSE_IS9_EEEEjNS1_19radix_merge_compareILb0ELb0EjNS0_19identity_decomposerEEEEE10hipError_tT0_T1_T2_jT3_P12ihipStream_tbPNSt15iterator_traitsISN_E10value_typeEPNST_ISO_E10value_typeEPSP_NS1_7vsmem_tEENKUlT_SN_SO_SP_E_clIPjSG_PS9_SI_EESM_S12_SN_SO_SP_EUlS12_E_NS1_11comp_targetILNS1_3genE2ELNS1_11target_archE906ELNS1_3gpuE6ELNS1_3repE0EEENS1_48merge_mergepath_partition_config_static_selectorELNS0_4arch9wavefront6targetE0EEEvSO_ ; -- Begin function _ZN7rocprim17ROCPRIM_400000_NS6detail17trampoline_kernelINS0_14default_configENS1_38merge_sort_block_merge_config_selectorIjN6thrust23THRUST_200600_302600_NS5tupleIffNS6_9null_typeES8_S8_S8_S8_S8_S8_S8_EEEEZZNS1_27merge_sort_block_merge_implIS3_NS6_6detail15normal_iteratorINS6_10device_ptrIjEEEENSD_INSE_IS9_EEEEjNS1_19radix_merge_compareILb0ELb0EjNS0_19identity_decomposerEEEEE10hipError_tT0_T1_T2_jT3_P12ihipStream_tbPNSt15iterator_traitsISN_E10value_typeEPNST_ISO_E10value_typeEPSP_NS1_7vsmem_tEENKUlT_SN_SO_SP_E_clIPjSG_PS9_SI_EESM_S12_SN_SO_SP_EUlS12_E_NS1_11comp_targetILNS1_3genE2ELNS1_11target_archE906ELNS1_3gpuE6ELNS1_3repE0EEENS1_48merge_mergepath_partition_config_static_selectorELNS0_4arch9wavefront6targetE0EEEvSO_
	.globl	_ZN7rocprim17ROCPRIM_400000_NS6detail17trampoline_kernelINS0_14default_configENS1_38merge_sort_block_merge_config_selectorIjN6thrust23THRUST_200600_302600_NS5tupleIffNS6_9null_typeES8_S8_S8_S8_S8_S8_S8_EEEEZZNS1_27merge_sort_block_merge_implIS3_NS6_6detail15normal_iteratorINS6_10device_ptrIjEEEENSD_INSE_IS9_EEEEjNS1_19radix_merge_compareILb0ELb0EjNS0_19identity_decomposerEEEEE10hipError_tT0_T1_T2_jT3_P12ihipStream_tbPNSt15iterator_traitsISN_E10value_typeEPNST_ISO_E10value_typeEPSP_NS1_7vsmem_tEENKUlT_SN_SO_SP_E_clIPjSG_PS9_SI_EESM_S12_SN_SO_SP_EUlS12_E_NS1_11comp_targetILNS1_3genE2ELNS1_11target_archE906ELNS1_3gpuE6ELNS1_3repE0EEENS1_48merge_mergepath_partition_config_static_selectorELNS0_4arch9wavefront6targetE0EEEvSO_
	.p2align	8
	.type	_ZN7rocprim17ROCPRIM_400000_NS6detail17trampoline_kernelINS0_14default_configENS1_38merge_sort_block_merge_config_selectorIjN6thrust23THRUST_200600_302600_NS5tupleIffNS6_9null_typeES8_S8_S8_S8_S8_S8_S8_EEEEZZNS1_27merge_sort_block_merge_implIS3_NS6_6detail15normal_iteratorINS6_10device_ptrIjEEEENSD_INSE_IS9_EEEEjNS1_19radix_merge_compareILb0ELb0EjNS0_19identity_decomposerEEEEE10hipError_tT0_T1_T2_jT3_P12ihipStream_tbPNSt15iterator_traitsISN_E10value_typeEPNST_ISO_E10value_typeEPSP_NS1_7vsmem_tEENKUlT_SN_SO_SP_E_clIPjSG_PS9_SI_EESM_S12_SN_SO_SP_EUlS12_E_NS1_11comp_targetILNS1_3genE2ELNS1_11target_archE906ELNS1_3gpuE6ELNS1_3repE0EEENS1_48merge_mergepath_partition_config_static_selectorELNS0_4arch9wavefront6targetE0EEEvSO_,@function
_ZN7rocprim17ROCPRIM_400000_NS6detail17trampoline_kernelINS0_14default_configENS1_38merge_sort_block_merge_config_selectorIjN6thrust23THRUST_200600_302600_NS5tupleIffNS6_9null_typeES8_S8_S8_S8_S8_S8_S8_EEEEZZNS1_27merge_sort_block_merge_implIS3_NS6_6detail15normal_iteratorINS6_10device_ptrIjEEEENSD_INSE_IS9_EEEEjNS1_19radix_merge_compareILb0ELb0EjNS0_19identity_decomposerEEEEE10hipError_tT0_T1_T2_jT3_P12ihipStream_tbPNSt15iterator_traitsISN_E10value_typeEPNST_ISO_E10value_typeEPSP_NS1_7vsmem_tEENKUlT_SN_SO_SP_E_clIPjSG_PS9_SI_EESM_S12_SN_SO_SP_EUlS12_E_NS1_11comp_targetILNS1_3genE2ELNS1_11target_archE906ELNS1_3gpuE6ELNS1_3repE0EEENS1_48merge_mergepath_partition_config_static_selectorELNS0_4arch9wavefront6targetE0EEEvSO_: ; @_ZN7rocprim17ROCPRIM_400000_NS6detail17trampoline_kernelINS0_14default_configENS1_38merge_sort_block_merge_config_selectorIjN6thrust23THRUST_200600_302600_NS5tupleIffNS6_9null_typeES8_S8_S8_S8_S8_S8_S8_EEEEZZNS1_27merge_sort_block_merge_implIS3_NS6_6detail15normal_iteratorINS6_10device_ptrIjEEEENSD_INSE_IS9_EEEEjNS1_19radix_merge_compareILb0ELb0EjNS0_19identity_decomposerEEEEE10hipError_tT0_T1_T2_jT3_P12ihipStream_tbPNSt15iterator_traitsISN_E10value_typeEPNST_ISO_E10value_typeEPSP_NS1_7vsmem_tEENKUlT_SN_SO_SP_E_clIPjSG_PS9_SI_EESM_S12_SN_SO_SP_EUlS12_E_NS1_11comp_targetILNS1_3genE2ELNS1_11target_archE906ELNS1_3gpuE6ELNS1_3repE0EEENS1_48merge_mergepath_partition_config_static_selectorELNS0_4arch9wavefront6targetE0EEEvSO_
; %bb.0:
	.section	.rodata,"a",@progbits
	.p2align	6, 0x0
	.amdhsa_kernel _ZN7rocprim17ROCPRIM_400000_NS6detail17trampoline_kernelINS0_14default_configENS1_38merge_sort_block_merge_config_selectorIjN6thrust23THRUST_200600_302600_NS5tupleIffNS6_9null_typeES8_S8_S8_S8_S8_S8_S8_EEEEZZNS1_27merge_sort_block_merge_implIS3_NS6_6detail15normal_iteratorINS6_10device_ptrIjEEEENSD_INSE_IS9_EEEEjNS1_19radix_merge_compareILb0ELb0EjNS0_19identity_decomposerEEEEE10hipError_tT0_T1_T2_jT3_P12ihipStream_tbPNSt15iterator_traitsISN_E10value_typeEPNST_ISO_E10value_typeEPSP_NS1_7vsmem_tEENKUlT_SN_SO_SP_E_clIPjSG_PS9_SI_EESM_S12_SN_SO_SP_EUlS12_E_NS1_11comp_targetILNS1_3genE2ELNS1_11target_archE906ELNS1_3gpuE6ELNS1_3repE0EEENS1_48merge_mergepath_partition_config_static_selectorELNS0_4arch9wavefront6targetE0EEEvSO_
		.amdhsa_group_segment_fixed_size 0
		.amdhsa_private_segment_fixed_size 0
		.amdhsa_kernarg_size 40
		.amdhsa_user_sgpr_count 6
		.amdhsa_user_sgpr_private_segment_buffer 1
		.amdhsa_user_sgpr_dispatch_ptr 0
		.amdhsa_user_sgpr_queue_ptr 0
		.amdhsa_user_sgpr_kernarg_segment_ptr 1
		.amdhsa_user_sgpr_dispatch_id 0
		.amdhsa_user_sgpr_flat_scratch_init 0
		.amdhsa_user_sgpr_private_segment_size 0
		.amdhsa_wavefront_size32 1
		.amdhsa_uses_dynamic_stack 0
		.amdhsa_system_sgpr_private_segment_wavefront_offset 0
		.amdhsa_system_sgpr_workgroup_id_x 1
		.amdhsa_system_sgpr_workgroup_id_y 0
		.amdhsa_system_sgpr_workgroup_id_z 0
		.amdhsa_system_sgpr_workgroup_info 0
		.amdhsa_system_vgpr_workitem_id 0
		.amdhsa_next_free_vgpr 1
		.amdhsa_next_free_sgpr 1
		.amdhsa_reserve_vcc 0
		.amdhsa_reserve_flat_scratch 0
		.amdhsa_float_round_mode_32 0
		.amdhsa_float_round_mode_16_64 0
		.amdhsa_float_denorm_mode_32 3
		.amdhsa_float_denorm_mode_16_64 3
		.amdhsa_dx10_clamp 1
		.amdhsa_ieee_mode 1
		.amdhsa_fp16_overflow 0
		.amdhsa_workgroup_processor_mode 1
		.amdhsa_memory_ordered 1
		.amdhsa_forward_progress 1
		.amdhsa_shared_vgpr_count 0
		.amdhsa_exception_fp_ieee_invalid_op 0
		.amdhsa_exception_fp_denorm_src 0
		.amdhsa_exception_fp_ieee_div_zero 0
		.amdhsa_exception_fp_ieee_overflow 0
		.amdhsa_exception_fp_ieee_underflow 0
		.amdhsa_exception_fp_ieee_inexact 0
		.amdhsa_exception_int_div_zero 0
	.end_amdhsa_kernel
	.section	.text._ZN7rocprim17ROCPRIM_400000_NS6detail17trampoline_kernelINS0_14default_configENS1_38merge_sort_block_merge_config_selectorIjN6thrust23THRUST_200600_302600_NS5tupleIffNS6_9null_typeES8_S8_S8_S8_S8_S8_S8_EEEEZZNS1_27merge_sort_block_merge_implIS3_NS6_6detail15normal_iteratorINS6_10device_ptrIjEEEENSD_INSE_IS9_EEEEjNS1_19radix_merge_compareILb0ELb0EjNS0_19identity_decomposerEEEEE10hipError_tT0_T1_T2_jT3_P12ihipStream_tbPNSt15iterator_traitsISN_E10value_typeEPNST_ISO_E10value_typeEPSP_NS1_7vsmem_tEENKUlT_SN_SO_SP_E_clIPjSG_PS9_SI_EESM_S12_SN_SO_SP_EUlS12_E_NS1_11comp_targetILNS1_3genE2ELNS1_11target_archE906ELNS1_3gpuE6ELNS1_3repE0EEENS1_48merge_mergepath_partition_config_static_selectorELNS0_4arch9wavefront6targetE0EEEvSO_,"axG",@progbits,_ZN7rocprim17ROCPRIM_400000_NS6detail17trampoline_kernelINS0_14default_configENS1_38merge_sort_block_merge_config_selectorIjN6thrust23THRUST_200600_302600_NS5tupleIffNS6_9null_typeES8_S8_S8_S8_S8_S8_S8_EEEEZZNS1_27merge_sort_block_merge_implIS3_NS6_6detail15normal_iteratorINS6_10device_ptrIjEEEENSD_INSE_IS9_EEEEjNS1_19radix_merge_compareILb0ELb0EjNS0_19identity_decomposerEEEEE10hipError_tT0_T1_T2_jT3_P12ihipStream_tbPNSt15iterator_traitsISN_E10value_typeEPNST_ISO_E10value_typeEPSP_NS1_7vsmem_tEENKUlT_SN_SO_SP_E_clIPjSG_PS9_SI_EESM_S12_SN_SO_SP_EUlS12_E_NS1_11comp_targetILNS1_3genE2ELNS1_11target_archE906ELNS1_3gpuE6ELNS1_3repE0EEENS1_48merge_mergepath_partition_config_static_selectorELNS0_4arch9wavefront6targetE0EEEvSO_,comdat
.Lfunc_end30:
	.size	_ZN7rocprim17ROCPRIM_400000_NS6detail17trampoline_kernelINS0_14default_configENS1_38merge_sort_block_merge_config_selectorIjN6thrust23THRUST_200600_302600_NS5tupleIffNS6_9null_typeES8_S8_S8_S8_S8_S8_S8_EEEEZZNS1_27merge_sort_block_merge_implIS3_NS6_6detail15normal_iteratorINS6_10device_ptrIjEEEENSD_INSE_IS9_EEEEjNS1_19radix_merge_compareILb0ELb0EjNS0_19identity_decomposerEEEEE10hipError_tT0_T1_T2_jT3_P12ihipStream_tbPNSt15iterator_traitsISN_E10value_typeEPNST_ISO_E10value_typeEPSP_NS1_7vsmem_tEENKUlT_SN_SO_SP_E_clIPjSG_PS9_SI_EESM_S12_SN_SO_SP_EUlS12_E_NS1_11comp_targetILNS1_3genE2ELNS1_11target_archE906ELNS1_3gpuE6ELNS1_3repE0EEENS1_48merge_mergepath_partition_config_static_selectorELNS0_4arch9wavefront6targetE0EEEvSO_, .Lfunc_end30-_ZN7rocprim17ROCPRIM_400000_NS6detail17trampoline_kernelINS0_14default_configENS1_38merge_sort_block_merge_config_selectorIjN6thrust23THRUST_200600_302600_NS5tupleIffNS6_9null_typeES8_S8_S8_S8_S8_S8_S8_EEEEZZNS1_27merge_sort_block_merge_implIS3_NS6_6detail15normal_iteratorINS6_10device_ptrIjEEEENSD_INSE_IS9_EEEEjNS1_19radix_merge_compareILb0ELb0EjNS0_19identity_decomposerEEEEE10hipError_tT0_T1_T2_jT3_P12ihipStream_tbPNSt15iterator_traitsISN_E10value_typeEPNST_ISO_E10value_typeEPSP_NS1_7vsmem_tEENKUlT_SN_SO_SP_E_clIPjSG_PS9_SI_EESM_S12_SN_SO_SP_EUlS12_E_NS1_11comp_targetILNS1_3genE2ELNS1_11target_archE906ELNS1_3gpuE6ELNS1_3repE0EEENS1_48merge_mergepath_partition_config_static_selectorELNS0_4arch9wavefront6targetE0EEEvSO_
                                        ; -- End function
	.set _ZN7rocprim17ROCPRIM_400000_NS6detail17trampoline_kernelINS0_14default_configENS1_38merge_sort_block_merge_config_selectorIjN6thrust23THRUST_200600_302600_NS5tupleIffNS6_9null_typeES8_S8_S8_S8_S8_S8_S8_EEEEZZNS1_27merge_sort_block_merge_implIS3_NS6_6detail15normal_iteratorINS6_10device_ptrIjEEEENSD_INSE_IS9_EEEEjNS1_19radix_merge_compareILb0ELb0EjNS0_19identity_decomposerEEEEE10hipError_tT0_T1_T2_jT3_P12ihipStream_tbPNSt15iterator_traitsISN_E10value_typeEPNST_ISO_E10value_typeEPSP_NS1_7vsmem_tEENKUlT_SN_SO_SP_E_clIPjSG_PS9_SI_EESM_S12_SN_SO_SP_EUlS12_E_NS1_11comp_targetILNS1_3genE2ELNS1_11target_archE906ELNS1_3gpuE6ELNS1_3repE0EEENS1_48merge_mergepath_partition_config_static_selectorELNS0_4arch9wavefront6targetE0EEEvSO_.num_vgpr, 0
	.set _ZN7rocprim17ROCPRIM_400000_NS6detail17trampoline_kernelINS0_14default_configENS1_38merge_sort_block_merge_config_selectorIjN6thrust23THRUST_200600_302600_NS5tupleIffNS6_9null_typeES8_S8_S8_S8_S8_S8_S8_EEEEZZNS1_27merge_sort_block_merge_implIS3_NS6_6detail15normal_iteratorINS6_10device_ptrIjEEEENSD_INSE_IS9_EEEEjNS1_19radix_merge_compareILb0ELb0EjNS0_19identity_decomposerEEEEE10hipError_tT0_T1_T2_jT3_P12ihipStream_tbPNSt15iterator_traitsISN_E10value_typeEPNST_ISO_E10value_typeEPSP_NS1_7vsmem_tEENKUlT_SN_SO_SP_E_clIPjSG_PS9_SI_EESM_S12_SN_SO_SP_EUlS12_E_NS1_11comp_targetILNS1_3genE2ELNS1_11target_archE906ELNS1_3gpuE6ELNS1_3repE0EEENS1_48merge_mergepath_partition_config_static_selectorELNS0_4arch9wavefront6targetE0EEEvSO_.num_agpr, 0
	.set _ZN7rocprim17ROCPRIM_400000_NS6detail17trampoline_kernelINS0_14default_configENS1_38merge_sort_block_merge_config_selectorIjN6thrust23THRUST_200600_302600_NS5tupleIffNS6_9null_typeES8_S8_S8_S8_S8_S8_S8_EEEEZZNS1_27merge_sort_block_merge_implIS3_NS6_6detail15normal_iteratorINS6_10device_ptrIjEEEENSD_INSE_IS9_EEEEjNS1_19radix_merge_compareILb0ELb0EjNS0_19identity_decomposerEEEEE10hipError_tT0_T1_T2_jT3_P12ihipStream_tbPNSt15iterator_traitsISN_E10value_typeEPNST_ISO_E10value_typeEPSP_NS1_7vsmem_tEENKUlT_SN_SO_SP_E_clIPjSG_PS9_SI_EESM_S12_SN_SO_SP_EUlS12_E_NS1_11comp_targetILNS1_3genE2ELNS1_11target_archE906ELNS1_3gpuE6ELNS1_3repE0EEENS1_48merge_mergepath_partition_config_static_selectorELNS0_4arch9wavefront6targetE0EEEvSO_.numbered_sgpr, 0
	.set _ZN7rocprim17ROCPRIM_400000_NS6detail17trampoline_kernelINS0_14default_configENS1_38merge_sort_block_merge_config_selectorIjN6thrust23THRUST_200600_302600_NS5tupleIffNS6_9null_typeES8_S8_S8_S8_S8_S8_S8_EEEEZZNS1_27merge_sort_block_merge_implIS3_NS6_6detail15normal_iteratorINS6_10device_ptrIjEEEENSD_INSE_IS9_EEEEjNS1_19radix_merge_compareILb0ELb0EjNS0_19identity_decomposerEEEEE10hipError_tT0_T1_T2_jT3_P12ihipStream_tbPNSt15iterator_traitsISN_E10value_typeEPNST_ISO_E10value_typeEPSP_NS1_7vsmem_tEENKUlT_SN_SO_SP_E_clIPjSG_PS9_SI_EESM_S12_SN_SO_SP_EUlS12_E_NS1_11comp_targetILNS1_3genE2ELNS1_11target_archE906ELNS1_3gpuE6ELNS1_3repE0EEENS1_48merge_mergepath_partition_config_static_selectorELNS0_4arch9wavefront6targetE0EEEvSO_.num_named_barrier, 0
	.set _ZN7rocprim17ROCPRIM_400000_NS6detail17trampoline_kernelINS0_14default_configENS1_38merge_sort_block_merge_config_selectorIjN6thrust23THRUST_200600_302600_NS5tupleIffNS6_9null_typeES8_S8_S8_S8_S8_S8_S8_EEEEZZNS1_27merge_sort_block_merge_implIS3_NS6_6detail15normal_iteratorINS6_10device_ptrIjEEEENSD_INSE_IS9_EEEEjNS1_19radix_merge_compareILb0ELb0EjNS0_19identity_decomposerEEEEE10hipError_tT0_T1_T2_jT3_P12ihipStream_tbPNSt15iterator_traitsISN_E10value_typeEPNST_ISO_E10value_typeEPSP_NS1_7vsmem_tEENKUlT_SN_SO_SP_E_clIPjSG_PS9_SI_EESM_S12_SN_SO_SP_EUlS12_E_NS1_11comp_targetILNS1_3genE2ELNS1_11target_archE906ELNS1_3gpuE6ELNS1_3repE0EEENS1_48merge_mergepath_partition_config_static_selectorELNS0_4arch9wavefront6targetE0EEEvSO_.private_seg_size, 0
	.set _ZN7rocprim17ROCPRIM_400000_NS6detail17trampoline_kernelINS0_14default_configENS1_38merge_sort_block_merge_config_selectorIjN6thrust23THRUST_200600_302600_NS5tupleIffNS6_9null_typeES8_S8_S8_S8_S8_S8_S8_EEEEZZNS1_27merge_sort_block_merge_implIS3_NS6_6detail15normal_iteratorINS6_10device_ptrIjEEEENSD_INSE_IS9_EEEEjNS1_19radix_merge_compareILb0ELb0EjNS0_19identity_decomposerEEEEE10hipError_tT0_T1_T2_jT3_P12ihipStream_tbPNSt15iterator_traitsISN_E10value_typeEPNST_ISO_E10value_typeEPSP_NS1_7vsmem_tEENKUlT_SN_SO_SP_E_clIPjSG_PS9_SI_EESM_S12_SN_SO_SP_EUlS12_E_NS1_11comp_targetILNS1_3genE2ELNS1_11target_archE906ELNS1_3gpuE6ELNS1_3repE0EEENS1_48merge_mergepath_partition_config_static_selectorELNS0_4arch9wavefront6targetE0EEEvSO_.uses_vcc, 0
	.set _ZN7rocprim17ROCPRIM_400000_NS6detail17trampoline_kernelINS0_14default_configENS1_38merge_sort_block_merge_config_selectorIjN6thrust23THRUST_200600_302600_NS5tupleIffNS6_9null_typeES8_S8_S8_S8_S8_S8_S8_EEEEZZNS1_27merge_sort_block_merge_implIS3_NS6_6detail15normal_iteratorINS6_10device_ptrIjEEEENSD_INSE_IS9_EEEEjNS1_19radix_merge_compareILb0ELb0EjNS0_19identity_decomposerEEEEE10hipError_tT0_T1_T2_jT3_P12ihipStream_tbPNSt15iterator_traitsISN_E10value_typeEPNST_ISO_E10value_typeEPSP_NS1_7vsmem_tEENKUlT_SN_SO_SP_E_clIPjSG_PS9_SI_EESM_S12_SN_SO_SP_EUlS12_E_NS1_11comp_targetILNS1_3genE2ELNS1_11target_archE906ELNS1_3gpuE6ELNS1_3repE0EEENS1_48merge_mergepath_partition_config_static_selectorELNS0_4arch9wavefront6targetE0EEEvSO_.uses_flat_scratch, 0
	.set _ZN7rocprim17ROCPRIM_400000_NS6detail17trampoline_kernelINS0_14default_configENS1_38merge_sort_block_merge_config_selectorIjN6thrust23THRUST_200600_302600_NS5tupleIffNS6_9null_typeES8_S8_S8_S8_S8_S8_S8_EEEEZZNS1_27merge_sort_block_merge_implIS3_NS6_6detail15normal_iteratorINS6_10device_ptrIjEEEENSD_INSE_IS9_EEEEjNS1_19radix_merge_compareILb0ELb0EjNS0_19identity_decomposerEEEEE10hipError_tT0_T1_T2_jT3_P12ihipStream_tbPNSt15iterator_traitsISN_E10value_typeEPNST_ISO_E10value_typeEPSP_NS1_7vsmem_tEENKUlT_SN_SO_SP_E_clIPjSG_PS9_SI_EESM_S12_SN_SO_SP_EUlS12_E_NS1_11comp_targetILNS1_3genE2ELNS1_11target_archE906ELNS1_3gpuE6ELNS1_3repE0EEENS1_48merge_mergepath_partition_config_static_selectorELNS0_4arch9wavefront6targetE0EEEvSO_.has_dyn_sized_stack, 0
	.set _ZN7rocprim17ROCPRIM_400000_NS6detail17trampoline_kernelINS0_14default_configENS1_38merge_sort_block_merge_config_selectorIjN6thrust23THRUST_200600_302600_NS5tupleIffNS6_9null_typeES8_S8_S8_S8_S8_S8_S8_EEEEZZNS1_27merge_sort_block_merge_implIS3_NS6_6detail15normal_iteratorINS6_10device_ptrIjEEEENSD_INSE_IS9_EEEEjNS1_19radix_merge_compareILb0ELb0EjNS0_19identity_decomposerEEEEE10hipError_tT0_T1_T2_jT3_P12ihipStream_tbPNSt15iterator_traitsISN_E10value_typeEPNST_ISO_E10value_typeEPSP_NS1_7vsmem_tEENKUlT_SN_SO_SP_E_clIPjSG_PS9_SI_EESM_S12_SN_SO_SP_EUlS12_E_NS1_11comp_targetILNS1_3genE2ELNS1_11target_archE906ELNS1_3gpuE6ELNS1_3repE0EEENS1_48merge_mergepath_partition_config_static_selectorELNS0_4arch9wavefront6targetE0EEEvSO_.has_recursion, 0
	.set _ZN7rocprim17ROCPRIM_400000_NS6detail17trampoline_kernelINS0_14default_configENS1_38merge_sort_block_merge_config_selectorIjN6thrust23THRUST_200600_302600_NS5tupleIffNS6_9null_typeES8_S8_S8_S8_S8_S8_S8_EEEEZZNS1_27merge_sort_block_merge_implIS3_NS6_6detail15normal_iteratorINS6_10device_ptrIjEEEENSD_INSE_IS9_EEEEjNS1_19radix_merge_compareILb0ELb0EjNS0_19identity_decomposerEEEEE10hipError_tT0_T1_T2_jT3_P12ihipStream_tbPNSt15iterator_traitsISN_E10value_typeEPNST_ISO_E10value_typeEPSP_NS1_7vsmem_tEENKUlT_SN_SO_SP_E_clIPjSG_PS9_SI_EESM_S12_SN_SO_SP_EUlS12_E_NS1_11comp_targetILNS1_3genE2ELNS1_11target_archE906ELNS1_3gpuE6ELNS1_3repE0EEENS1_48merge_mergepath_partition_config_static_selectorELNS0_4arch9wavefront6targetE0EEEvSO_.has_indirect_call, 0
	.section	.AMDGPU.csdata,"",@progbits
; Kernel info:
; codeLenInByte = 0
; TotalNumSgprs: 0
; NumVgprs: 0
; ScratchSize: 0
; MemoryBound: 0
; FloatMode: 240
; IeeeMode: 1
; LDSByteSize: 0 bytes/workgroup (compile time only)
; SGPRBlocks: 0
; VGPRBlocks: 0
; NumSGPRsForWavesPerEU: 1
; NumVGPRsForWavesPerEU: 1
; Occupancy: 16
; WaveLimiterHint : 0
; COMPUTE_PGM_RSRC2:SCRATCH_EN: 0
; COMPUTE_PGM_RSRC2:USER_SGPR: 6
; COMPUTE_PGM_RSRC2:TRAP_HANDLER: 0
; COMPUTE_PGM_RSRC2:TGID_X_EN: 1
; COMPUTE_PGM_RSRC2:TGID_Y_EN: 0
; COMPUTE_PGM_RSRC2:TGID_Z_EN: 0
; COMPUTE_PGM_RSRC2:TIDIG_COMP_CNT: 0
	.section	.text._ZN7rocprim17ROCPRIM_400000_NS6detail17trampoline_kernelINS0_14default_configENS1_38merge_sort_block_merge_config_selectorIjN6thrust23THRUST_200600_302600_NS5tupleIffNS6_9null_typeES8_S8_S8_S8_S8_S8_S8_EEEEZZNS1_27merge_sort_block_merge_implIS3_NS6_6detail15normal_iteratorINS6_10device_ptrIjEEEENSD_INSE_IS9_EEEEjNS1_19radix_merge_compareILb0ELb0EjNS0_19identity_decomposerEEEEE10hipError_tT0_T1_T2_jT3_P12ihipStream_tbPNSt15iterator_traitsISN_E10value_typeEPNST_ISO_E10value_typeEPSP_NS1_7vsmem_tEENKUlT_SN_SO_SP_E_clIPjSG_PS9_SI_EESM_S12_SN_SO_SP_EUlS12_E_NS1_11comp_targetILNS1_3genE9ELNS1_11target_archE1100ELNS1_3gpuE3ELNS1_3repE0EEENS1_48merge_mergepath_partition_config_static_selectorELNS0_4arch9wavefront6targetE0EEEvSO_,"axG",@progbits,_ZN7rocprim17ROCPRIM_400000_NS6detail17trampoline_kernelINS0_14default_configENS1_38merge_sort_block_merge_config_selectorIjN6thrust23THRUST_200600_302600_NS5tupleIffNS6_9null_typeES8_S8_S8_S8_S8_S8_S8_EEEEZZNS1_27merge_sort_block_merge_implIS3_NS6_6detail15normal_iteratorINS6_10device_ptrIjEEEENSD_INSE_IS9_EEEEjNS1_19radix_merge_compareILb0ELb0EjNS0_19identity_decomposerEEEEE10hipError_tT0_T1_T2_jT3_P12ihipStream_tbPNSt15iterator_traitsISN_E10value_typeEPNST_ISO_E10value_typeEPSP_NS1_7vsmem_tEENKUlT_SN_SO_SP_E_clIPjSG_PS9_SI_EESM_S12_SN_SO_SP_EUlS12_E_NS1_11comp_targetILNS1_3genE9ELNS1_11target_archE1100ELNS1_3gpuE3ELNS1_3repE0EEENS1_48merge_mergepath_partition_config_static_selectorELNS0_4arch9wavefront6targetE0EEEvSO_,comdat
	.protected	_ZN7rocprim17ROCPRIM_400000_NS6detail17trampoline_kernelINS0_14default_configENS1_38merge_sort_block_merge_config_selectorIjN6thrust23THRUST_200600_302600_NS5tupleIffNS6_9null_typeES8_S8_S8_S8_S8_S8_S8_EEEEZZNS1_27merge_sort_block_merge_implIS3_NS6_6detail15normal_iteratorINS6_10device_ptrIjEEEENSD_INSE_IS9_EEEEjNS1_19radix_merge_compareILb0ELb0EjNS0_19identity_decomposerEEEEE10hipError_tT0_T1_T2_jT3_P12ihipStream_tbPNSt15iterator_traitsISN_E10value_typeEPNST_ISO_E10value_typeEPSP_NS1_7vsmem_tEENKUlT_SN_SO_SP_E_clIPjSG_PS9_SI_EESM_S12_SN_SO_SP_EUlS12_E_NS1_11comp_targetILNS1_3genE9ELNS1_11target_archE1100ELNS1_3gpuE3ELNS1_3repE0EEENS1_48merge_mergepath_partition_config_static_selectorELNS0_4arch9wavefront6targetE0EEEvSO_ ; -- Begin function _ZN7rocprim17ROCPRIM_400000_NS6detail17trampoline_kernelINS0_14default_configENS1_38merge_sort_block_merge_config_selectorIjN6thrust23THRUST_200600_302600_NS5tupleIffNS6_9null_typeES8_S8_S8_S8_S8_S8_S8_EEEEZZNS1_27merge_sort_block_merge_implIS3_NS6_6detail15normal_iteratorINS6_10device_ptrIjEEEENSD_INSE_IS9_EEEEjNS1_19radix_merge_compareILb0ELb0EjNS0_19identity_decomposerEEEEE10hipError_tT0_T1_T2_jT3_P12ihipStream_tbPNSt15iterator_traitsISN_E10value_typeEPNST_ISO_E10value_typeEPSP_NS1_7vsmem_tEENKUlT_SN_SO_SP_E_clIPjSG_PS9_SI_EESM_S12_SN_SO_SP_EUlS12_E_NS1_11comp_targetILNS1_3genE9ELNS1_11target_archE1100ELNS1_3gpuE3ELNS1_3repE0EEENS1_48merge_mergepath_partition_config_static_selectorELNS0_4arch9wavefront6targetE0EEEvSO_
	.globl	_ZN7rocprim17ROCPRIM_400000_NS6detail17trampoline_kernelINS0_14default_configENS1_38merge_sort_block_merge_config_selectorIjN6thrust23THRUST_200600_302600_NS5tupleIffNS6_9null_typeES8_S8_S8_S8_S8_S8_S8_EEEEZZNS1_27merge_sort_block_merge_implIS3_NS6_6detail15normal_iteratorINS6_10device_ptrIjEEEENSD_INSE_IS9_EEEEjNS1_19radix_merge_compareILb0ELb0EjNS0_19identity_decomposerEEEEE10hipError_tT0_T1_T2_jT3_P12ihipStream_tbPNSt15iterator_traitsISN_E10value_typeEPNST_ISO_E10value_typeEPSP_NS1_7vsmem_tEENKUlT_SN_SO_SP_E_clIPjSG_PS9_SI_EESM_S12_SN_SO_SP_EUlS12_E_NS1_11comp_targetILNS1_3genE9ELNS1_11target_archE1100ELNS1_3gpuE3ELNS1_3repE0EEENS1_48merge_mergepath_partition_config_static_selectorELNS0_4arch9wavefront6targetE0EEEvSO_
	.p2align	8
	.type	_ZN7rocprim17ROCPRIM_400000_NS6detail17trampoline_kernelINS0_14default_configENS1_38merge_sort_block_merge_config_selectorIjN6thrust23THRUST_200600_302600_NS5tupleIffNS6_9null_typeES8_S8_S8_S8_S8_S8_S8_EEEEZZNS1_27merge_sort_block_merge_implIS3_NS6_6detail15normal_iteratorINS6_10device_ptrIjEEEENSD_INSE_IS9_EEEEjNS1_19radix_merge_compareILb0ELb0EjNS0_19identity_decomposerEEEEE10hipError_tT0_T1_T2_jT3_P12ihipStream_tbPNSt15iterator_traitsISN_E10value_typeEPNST_ISO_E10value_typeEPSP_NS1_7vsmem_tEENKUlT_SN_SO_SP_E_clIPjSG_PS9_SI_EESM_S12_SN_SO_SP_EUlS12_E_NS1_11comp_targetILNS1_3genE9ELNS1_11target_archE1100ELNS1_3gpuE3ELNS1_3repE0EEENS1_48merge_mergepath_partition_config_static_selectorELNS0_4arch9wavefront6targetE0EEEvSO_,@function
_ZN7rocprim17ROCPRIM_400000_NS6detail17trampoline_kernelINS0_14default_configENS1_38merge_sort_block_merge_config_selectorIjN6thrust23THRUST_200600_302600_NS5tupleIffNS6_9null_typeES8_S8_S8_S8_S8_S8_S8_EEEEZZNS1_27merge_sort_block_merge_implIS3_NS6_6detail15normal_iteratorINS6_10device_ptrIjEEEENSD_INSE_IS9_EEEEjNS1_19radix_merge_compareILb0ELb0EjNS0_19identity_decomposerEEEEE10hipError_tT0_T1_T2_jT3_P12ihipStream_tbPNSt15iterator_traitsISN_E10value_typeEPNST_ISO_E10value_typeEPSP_NS1_7vsmem_tEENKUlT_SN_SO_SP_E_clIPjSG_PS9_SI_EESM_S12_SN_SO_SP_EUlS12_E_NS1_11comp_targetILNS1_3genE9ELNS1_11target_archE1100ELNS1_3gpuE3ELNS1_3repE0EEENS1_48merge_mergepath_partition_config_static_selectorELNS0_4arch9wavefront6targetE0EEEvSO_: ; @_ZN7rocprim17ROCPRIM_400000_NS6detail17trampoline_kernelINS0_14default_configENS1_38merge_sort_block_merge_config_selectorIjN6thrust23THRUST_200600_302600_NS5tupleIffNS6_9null_typeES8_S8_S8_S8_S8_S8_S8_EEEEZZNS1_27merge_sort_block_merge_implIS3_NS6_6detail15normal_iteratorINS6_10device_ptrIjEEEENSD_INSE_IS9_EEEEjNS1_19radix_merge_compareILb0ELb0EjNS0_19identity_decomposerEEEEE10hipError_tT0_T1_T2_jT3_P12ihipStream_tbPNSt15iterator_traitsISN_E10value_typeEPNST_ISO_E10value_typeEPSP_NS1_7vsmem_tEENKUlT_SN_SO_SP_E_clIPjSG_PS9_SI_EESM_S12_SN_SO_SP_EUlS12_E_NS1_11comp_targetILNS1_3genE9ELNS1_11target_archE1100ELNS1_3gpuE3ELNS1_3repE0EEENS1_48merge_mergepath_partition_config_static_selectorELNS0_4arch9wavefront6targetE0EEEvSO_
; %bb.0:
	.section	.rodata,"a",@progbits
	.p2align	6, 0x0
	.amdhsa_kernel _ZN7rocprim17ROCPRIM_400000_NS6detail17trampoline_kernelINS0_14default_configENS1_38merge_sort_block_merge_config_selectorIjN6thrust23THRUST_200600_302600_NS5tupleIffNS6_9null_typeES8_S8_S8_S8_S8_S8_S8_EEEEZZNS1_27merge_sort_block_merge_implIS3_NS6_6detail15normal_iteratorINS6_10device_ptrIjEEEENSD_INSE_IS9_EEEEjNS1_19radix_merge_compareILb0ELb0EjNS0_19identity_decomposerEEEEE10hipError_tT0_T1_T2_jT3_P12ihipStream_tbPNSt15iterator_traitsISN_E10value_typeEPNST_ISO_E10value_typeEPSP_NS1_7vsmem_tEENKUlT_SN_SO_SP_E_clIPjSG_PS9_SI_EESM_S12_SN_SO_SP_EUlS12_E_NS1_11comp_targetILNS1_3genE9ELNS1_11target_archE1100ELNS1_3gpuE3ELNS1_3repE0EEENS1_48merge_mergepath_partition_config_static_selectorELNS0_4arch9wavefront6targetE0EEEvSO_
		.amdhsa_group_segment_fixed_size 0
		.amdhsa_private_segment_fixed_size 0
		.amdhsa_kernarg_size 40
		.amdhsa_user_sgpr_count 6
		.amdhsa_user_sgpr_private_segment_buffer 1
		.amdhsa_user_sgpr_dispatch_ptr 0
		.amdhsa_user_sgpr_queue_ptr 0
		.amdhsa_user_sgpr_kernarg_segment_ptr 1
		.amdhsa_user_sgpr_dispatch_id 0
		.amdhsa_user_sgpr_flat_scratch_init 0
		.amdhsa_user_sgpr_private_segment_size 0
		.amdhsa_wavefront_size32 1
		.amdhsa_uses_dynamic_stack 0
		.amdhsa_system_sgpr_private_segment_wavefront_offset 0
		.amdhsa_system_sgpr_workgroup_id_x 1
		.amdhsa_system_sgpr_workgroup_id_y 0
		.amdhsa_system_sgpr_workgroup_id_z 0
		.amdhsa_system_sgpr_workgroup_info 0
		.amdhsa_system_vgpr_workitem_id 0
		.amdhsa_next_free_vgpr 1
		.amdhsa_next_free_sgpr 1
		.amdhsa_reserve_vcc 0
		.amdhsa_reserve_flat_scratch 0
		.amdhsa_float_round_mode_32 0
		.amdhsa_float_round_mode_16_64 0
		.amdhsa_float_denorm_mode_32 3
		.amdhsa_float_denorm_mode_16_64 3
		.amdhsa_dx10_clamp 1
		.amdhsa_ieee_mode 1
		.amdhsa_fp16_overflow 0
		.amdhsa_workgroup_processor_mode 1
		.amdhsa_memory_ordered 1
		.amdhsa_forward_progress 1
		.amdhsa_shared_vgpr_count 0
		.amdhsa_exception_fp_ieee_invalid_op 0
		.amdhsa_exception_fp_denorm_src 0
		.amdhsa_exception_fp_ieee_div_zero 0
		.amdhsa_exception_fp_ieee_overflow 0
		.amdhsa_exception_fp_ieee_underflow 0
		.amdhsa_exception_fp_ieee_inexact 0
		.amdhsa_exception_int_div_zero 0
	.end_amdhsa_kernel
	.section	.text._ZN7rocprim17ROCPRIM_400000_NS6detail17trampoline_kernelINS0_14default_configENS1_38merge_sort_block_merge_config_selectorIjN6thrust23THRUST_200600_302600_NS5tupleIffNS6_9null_typeES8_S8_S8_S8_S8_S8_S8_EEEEZZNS1_27merge_sort_block_merge_implIS3_NS6_6detail15normal_iteratorINS6_10device_ptrIjEEEENSD_INSE_IS9_EEEEjNS1_19radix_merge_compareILb0ELb0EjNS0_19identity_decomposerEEEEE10hipError_tT0_T1_T2_jT3_P12ihipStream_tbPNSt15iterator_traitsISN_E10value_typeEPNST_ISO_E10value_typeEPSP_NS1_7vsmem_tEENKUlT_SN_SO_SP_E_clIPjSG_PS9_SI_EESM_S12_SN_SO_SP_EUlS12_E_NS1_11comp_targetILNS1_3genE9ELNS1_11target_archE1100ELNS1_3gpuE3ELNS1_3repE0EEENS1_48merge_mergepath_partition_config_static_selectorELNS0_4arch9wavefront6targetE0EEEvSO_,"axG",@progbits,_ZN7rocprim17ROCPRIM_400000_NS6detail17trampoline_kernelINS0_14default_configENS1_38merge_sort_block_merge_config_selectorIjN6thrust23THRUST_200600_302600_NS5tupleIffNS6_9null_typeES8_S8_S8_S8_S8_S8_S8_EEEEZZNS1_27merge_sort_block_merge_implIS3_NS6_6detail15normal_iteratorINS6_10device_ptrIjEEEENSD_INSE_IS9_EEEEjNS1_19radix_merge_compareILb0ELb0EjNS0_19identity_decomposerEEEEE10hipError_tT0_T1_T2_jT3_P12ihipStream_tbPNSt15iterator_traitsISN_E10value_typeEPNST_ISO_E10value_typeEPSP_NS1_7vsmem_tEENKUlT_SN_SO_SP_E_clIPjSG_PS9_SI_EESM_S12_SN_SO_SP_EUlS12_E_NS1_11comp_targetILNS1_3genE9ELNS1_11target_archE1100ELNS1_3gpuE3ELNS1_3repE0EEENS1_48merge_mergepath_partition_config_static_selectorELNS0_4arch9wavefront6targetE0EEEvSO_,comdat
.Lfunc_end31:
	.size	_ZN7rocprim17ROCPRIM_400000_NS6detail17trampoline_kernelINS0_14default_configENS1_38merge_sort_block_merge_config_selectorIjN6thrust23THRUST_200600_302600_NS5tupleIffNS6_9null_typeES8_S8_S8_S8_S8_S8_S8_EEEEZZNS1_27merge_sort_block_merge_implIS3_NS6_6detail15normal_iteratorINS6_10device_ptrIjEEEENSD_INSE_IS9_EEEEjNS1_19radix_merge_compareILb0ELb0EjNS0_19identity_decomposerEEEEE10hipError_tT0_T1_T2_jT3_P12ihipStream_tbPNSt15iterator_traitsISN_E10value_typeEPNST_ISO_E10value_typeEPSP_NS1_7vsmem_tEENKUlT_SN_SO_SP_E_clIPjSG_PS9_SI_EESM_S12_SN_SO_SP_EUlS12_E_NS1_11comp_targetILNS1_3genE9ELNS1_11target_archE1100ELNS1_3gpuE3ELNS1_3repE0EEENS1_48merge_mergepath_partition_config_static_selectorELNS0_4arch9wavefront6targetE0EEEvSO_, .Lfunc_end31-_ZN7rocprim17ROCPRIM_400000_NS6detail17trampoline_kernelINS0_14default_configENS1_38merge_sort_block_merge_config_selectorIjN6thrust23THRUST_200600_302600_NS5tupleIffNS6_9null_typeES8_S8_S8_S8_S8_S8_S8_EEEEZZNS1_27merge_sort_block_merge_implIS3_NS6_6detail15normal_iteratorINS6_10device_ptrIjEEEENSD_INSE_IS9_EEEEjNS1_19radix_merge_compareILb0ELb0EjNS0_19identity_decomposerEEEEE10hipError_tT0_T1_T2_jT3_P12ihipStream_tbPNSt15iterator_traitsISN_E10value_typeEPNST_ISO_E10value_typeEPSP_NS1_7vsmem_tEENKUlT_SN_SO_SP_E_clIPjSG_PS9_SI_EESM_S12_SN_SO_SP_EUlS12_E_NS1_11comp_targetILNS1_3genE9ELNS1_11target_archE1100ELNS1_3gpuE3ELNS1_3repE0EEENS1_48merge_mergepath_partition_config_static_selectorELNS0_4arch9wavefront6targetE0EEEvSO_
                                        ; -- End function
	.set _ZN7rocprim17ROCPRIM_400000_NS6detail17trampoline_kernelINS0_14default_configENS1_38merge_sort_block_merge_config_selectorIjN6thrust23THRUST_200600_302600_NS5tupleIffNS6_9null_typeES8_S8_S8_S8_S8_S8_S8_EEEEZZNS1_27merge_sort_block_merge_implIS3_NS6_6detail15normal_iteratorINS6_10device_ptrIjEEEENSD_INSE_IS9_EEEEjNS1_19radix_merge_compareILb0ELb0EjNS0_19identity_decomposerEEEEE10hipError_tT0_T1_T2_jT3_P12ihipStream_tbPNSt15iterator_traitsISN_E10value_typeEPNST_ISO_E10value_typeEPSP_NS1_7vsmem_tEENKUlT_SN_SO_SP_E_clIPjSG_PS9_SI_EESM_S12_SN_SO_SP_EUlS12_E_NS1_11comp_targetILNS1_3genE9ELNS1_11target_archE1100ELNS1_3gpuE3ELNS1_3repE0EEENS1_48merge_mergepath_partition_config_static_selectorELNS0_4arch9wavefront6targetE0EEEvSO_.num_vgpr, 0
	.set _ZN7rocprim17ROCPRIM_400000_NS6detail17trampoline_kernelINS0_14default_configENS1_38merge_sort_block_merge_config_selectorIjN6thrust23THRUST_200600_302600_NS5tupleIffNS6_9null_typeES8_S8_S8_S8_S8_S8_S8_EEEEZZNS1_27merge_sort_block_merge_implIS3_NS6_6detail15normal_iteratorINS6_10device_ptrIjEEEENSD_INSE_IS9_EEEEjNS1_19radix_merge_compareILb0ELb0EjNS0_19identity_decomposerEEEEE10hipError_tT0_T1_T2_jT3_P12ihipStream_tbPNSt15iterator_traitsISN_E10value_typeEPNST_ISO_E10value_typeEPSP_NS1_7vsmem_tEENKUlT_SN_SO_SP_E_clIPjSG_PS9_SI_EESM_S12_SN_SO_SP_EUlS12_E_NS1_11comp_targetILNS1_3genE9ELNS1_11target_archE1100ELNS1_3gpuE3ELNS1_3repE0EEENS1_48merge_mergepath_partition_config_static_selectorELNS0_4arch9wavefront6targetE0EEEvSO_.num_agpr, 0
	.set _ZN7rocprim17ROCPRIM_400000_NS6detail17trampoline_kernelINS0_14default_configENS1_38merge_sort_block_merge_config_selectorIjN6thrust23THRUST_200600_302600_NS5tupleIffNS6_9null_typeES8_S8_S8_S8_S8_S8_S8_EEEEZZNS1_27merge_sort_block_merge_implIS3_NS6_6detail15normal_iteratorINS6_10device_ptrIjEEEENSD_INSE_IS9_EEEEjNS1_19radix_merge_compareILb0ELb0EjNS0_19identity_decomposerEEEEE10hipError_tT0_T1_T2_jT3_P12ihipStream_tbPNSt15iterator_traitsISN_E10value_typeEPNST_ISO_E10value_typeEPSP_NS1_7vsmem_tEENKUlT_SN_SO_SP_E_clIPjSG_PS9_SI_EESM_S12_SN_SO_SP_EUlS12_E_NS1_11comp_targetILNS1_3genE9ELNS1_11target_archE1100ELNS1_3gpuE3ELNS1_3repE0EEENS1_48merge_mergepath_partition_config_static_selectorELNS0_4arch9wavefront6targetE0EEEvSO_.numbered_sgpr, 0
	.set _ZN7rocprim17ROCPRIM_400000_NS6detail17trampoline_kernelINS0_14default_configENS1_38merge_sort_block_merge_config_selectorIjN6thrust23THRUST_200600_302600_NS5tupleIffNS6_9null_typeES8_S8_S8_S8_S8_S8_S8_EEEEZZNS1_27merge_sort_block_merge_implIS3_NS6_6detail15normal_iteratorINS6_10device_ptrIjEEEENSD_INSE_IS9_EEEEjNS1_19radix_merge_compareILb0ELb0EjNS0_19identity_decomposerEEEEE10hipError_tT0_T1_T2_jT3_P12ihipStream_tbPNSt15iterator_traitsISN_E10value_typeEPNST_ISO_E10value_typeEPSP_NS1_7vsmem_tEENKUlT_SN_SO_SP_E_clIPjSG_PS9_SI_EESM_S12_SN_SO_SP_EUlS12_E_NS1_11comp_targetILNS1_3genE9ELNS1_11target_archE1100ELNS1_3gpuE3ELNS1_3repE0EEENS1_48merge_mergepath_partition_config_static_selectorELNS0_4arch9wavefront6targetE0EEEvSO_.num_named_barrier, 0
	.set _ZN7rocprim17ROCPRIM_400000_NS6detail17trampoline_kernelINS0_14default_configENS1_38merge_sort_block_merge_config_selectorIjN6thrust23THRUST_200600_302600_NS5tupleIffNS6_9null_typeES8_S8_S8_S8_S8_S8_S8_EEEEZZNS1_27merge_sort_block_merge_implIS3_NS6_6detail15normal_iteratorINS6_10device_ptrIjEEEENSD_INSE_IS9_EEEEjNS1_19radix_merge_compareILb0ELb0EjNS0_19identity_decomposerEEEEE10hipError_tT0_T1_T2_jT3_P12ihipStream_tbPNSt15iterator_traitsISN_E10value_typeEPNST_ISO_E10value_typeEPSP_NS1_7vsmem_tEENKUlT_SN_SO_SP_E_clIPjSG_PS9_SI_EESM_S12_SN_SO_SP_EUlS12_E_NS1_11comp_targetILNS1_3genE9ELNS1_11target_archE1100ELNS1_3gpuE3ELNS1_3repE0EEENS1_48merge_mergepath_partition_config_static_selectorELNS0_4arch9wavefront6targetE0EEEvSO_.private_seg_size, 0
	.set _ZN7rocprim17ROCPRIM_400000_NS6detail17trampoline_kernelINS0_14default_configENS1_38merge_sort_block_merge_config_selectorIjN6thrust23THRUST_200600_302600_NS5tupleIffNS6_9null_typeES8_S8_S8_S8_S8_S8_S8_EEEEZZNS1_27merge_sort_block_merge_implIS3_NS6_6detail15normal_iteratorINS6_10device_ptrIjEEEENSD_INSE_IS9_EEEEjNS1_19radix_merge_compareILb0ELb0EjNS0_19identity_decomposerEEEEE10hipError_tT0_T1_T2_jT3_P12ihipStream_tbPNSt15iterator_traitsISN_E10value_typeEPNST_ISO_E10value_typeEPSP_NS1_7vsmem_tEENKUlT_SN_SO_SP_E_clIPjSG_PS9_SI_EESM_S12_SN_SO_SP_EUlS12_E_NS1_11comp_targetILNS1_3genE9ELNS1_11target_archE1100ELNS1_3gpuE3ELNS1_3repE0EEENS1_48merge_mergepath_partition_config_static_selectorELNS0_4arch9wavefront6targetE0EEEvSO_.uses_vcc, 0
	.set _ZN7rocprim17ROCPRIM_400000_NS6detail17trampoline_kernelINS0_14default_configENS1_38merge_sort_block_merge_config_selectorIjN6thrust23THRUST_200600_302600_NS5tupleIffNS6_9null_typeES8_S8_S8_S8_S8_S8_S8_EEEEZZNS1_27merge_sort_block_merge_implIS3_NS6_6detail15normal_iteratorINS6_10device_ptrIjEEEENSD_INSE_IS9_EEEEjNS1_19radix_merge_compareILb0ELb0EjNS0_19identity_decomposerEEEEE10hipError_tT0_T1_T2_jT3_P12ihipStream_tbPNSt15iterator_traitsISN_E10value_typeEPNST_ISO_E10value_typeEPSP_NS1_7vsmem_tEENKUlT_SN_SO_SP_E_clIPjSG_PS9_SI_EESM_S12_SN_SO_SP_EUlS12_E_NS1_11comp_targetILNS1_3genE9ELNS1_11target_archE1100ELNS1_3gpuE3ELNS1_3repE0EEENS1_48merge_mergepath_partition_config_static_selectorELNS0_4arch9wavefront6targetE0EEEvSO_.uses_flat_scratch, 0
	.set _ZN7rocprim17ROCPRIM_400000_NS6detail17trampoline_kernelINS0_14default_configENS1_38merge_sort_block_merge_config_selectorIjN6thrust23THRUST_200600_302600_NS5tupleIffNS6_9null_typeES8_S8_S8_S8_S8_S8_S8_EEEEZZNS1_27merge_sort_block_merge_implIS3_NS6_6detail15normal_iteratorINS6_10device_ptrIjEEEENSD_INSE_IS9_EEEEjNS1_19radix_merge_compareILb0ELb0EjNS0_19identity_decomposerEEEEE10hipError_tT0_T1_T2_jT3_P12ihipStream_tbPNSt15iterator_traitsISN_E10value_typeEPNST_ISO_E10value_typeEPSP_NS1_7vsmem_tEENKUlT_SN_SO_SP_E_clIPjSG_PS9_SI_EESM_S12_SN_SO_SP_EUlS12_E_NS1_11comp_targetILNS1_3genE9ELNS1_11target_archE1100ELNS1_3gpuE3ELNS1_3repE0EEENS1_48merge_mergepath_partition_config_static_selectorELNS0_4arch9wavefront6targetE0EEEvSO_.has_dyn_sized_stack, 0
	.set _ZN7rocprim17ROCPRIM_400000_NS6detail17trampoline_kernelINS0_14default_configENS1_38merge_sort_block_merge_config_selectorIjN6thrust23THRUST_200600_302600_NS5tupleIffNS6_9null_typeES8_S8_S8_S8_S8_S8_S8_EEEEZZNS1_27merge_sort_block_merge_implIS3_NS6_6detail15normal_iteratorINS6_10device_ptrIjEEEENSD_INSE_IS9_EEEEjNS1_19radix_merge_compareILb0ELb0EjNS0_19identity_decomposerEEEEE10hipError_tT0_T1_T2_jT3_P12ihipStream_tbPNSt15iterator_traitsISN_E10value_typeEPNST_ISO_E10value_typeEPSP_NS1_7vsmem_tEENKUlT_SN_SO_SP_E_clIPjSG_PS9_SI_EESM_S12_SN_SO_SP_EUlS12_E_NS1_11comp_targetILNS1_3genE9ELNS1_11target_archE1100ELNS1_3gpuE3ELNS1_3repE0EEENS1_48merge_mergepath_partition_config_static_selectorELNS0_4arch9wavefront6targetE0EEEvSO_.has_recursion, 0
	.set _ZN7rocprim17ROCPRIM_400000_NS6detail17trampoline_kernelINS0_14default_configENS1_38merge_sort_block_merge_config_selectorIjN6thrust23THRUST_200600_302600_NS5tupleIffNS6_9null_typeES8_S8_S8_S8_S8_S8_S8_EEEEZZNS1_27merge_sort_block_merge_implIS3_NS6_6detail15normal_iteratorINS6_10device_ptrIjEEEENSD_INSE_IS9_EEEEjNS1_19radix_merge_compareILb0ELb0EjNS0_19identity_decomposerEEEEE10hipError_tT0_T1_T2_jT3_P12ihipStream_tbPNSt15iterator_traitsISN_E10value_typeEPNST_ISO_E10value_typeEPSP_NS1_7vsmem_tEENKUlT_SN_SO_SP_E_clIPjSG_PS9_SI_EESM_S12_SN_SO_SP_EUlS12_E_NS1_11comp_targetILNS1_3genE9ELNS1_11target_archE1100ELNS1_3gpuE3ELNS1_3repE0EEENS1_48merge_mergepath_partition_config_static_selectorELNS0_4arch9wavefront6targetE0EEEvSO_.has_indirect_call, 0
	.section	.AMDGPU.csdata,"",@progbits
; Kernel info:
; codeLenInByte = 0
; TotalNumSgprs: 0
; NumVgprs: 0
; ScratchSize: 0
; MemoryBound: 0
; FloatMode: 240
; IeeeMode: 1
; LDSByteSize: 0 bytes/workgroup (compile time only)
; SGPRBlocks: 0
; VGPRBlocks: 0
; NumSGPRsForWavesPerEU: 1
; NumVGPRsForWavesPerEU: 1
; Occupancy: 16
; WaveLimiterHint : 0
; COMPUTE_PGM_RSRC2:SCRATCH_EN: 0
; COMPUTE_PGM_RSRC2:USER_SGPR: 6
; COMPUTE_PGM_RSRC2:TRAP_HANDLER: 0
; COMPUTE_PGM_RSRC2:TGID_X_EN: 1
; COMPUTE_PGM_RSRC2:TGID_Y_EN: 0
; COMPUTE_PGM_RSRC2:TGID_Z_EN: 0
; COMPUTE_PGM_RSRC2:TIDIG_COMP_CNT: 0
	.section	.text._ZN7rocprim17ROCPRIM_400000_NS6detail17trampoline_kernelINS0_14default_configENS1_38merge_sort_block_merge_config_selectorIjN6thrust23THRUST_200600_302600_NS5tupleIffNS6_9null_typeES8_S8_S8_S8_S8_S8_S8_EEEEZZNS1_27merge_sort_block_merge_implIS3_NS6_6detail15normal_iteratorINS6_10device_ptrIjEEEENSD_INSE_IS9_EEEEjNS1_19radix_merge_compareILb0ELb0EjNS0_19identity_decomposerEEEEE10hipError_tT0_T1_T2_jT3_P12ihipStream_tbPNSt15iterator_traitsISN_E10value_typeEPNST_ISO_E10value_typeEPSP_NS1_7vsmem_tEENKUlT_SN_SO_SP_E_clIPjSG_PS9_SI_EESM_S12_SN_SO_SP_EUlS12_E_NS1_11comp_targetILNS1_3genE8ELNS1_11target_archE1030ELNS1_3gpuE2ELNS1_3repE0EEENS1_48merge_mergepath_partition_config_static_selectorELNS0_4arch9wavefront6targetE0EEEvSO_,"axG",@progbits,_ZN7rocprim17ROCPRIM_400000_NS6detail17trampoline_kernelINS0_14default_configENS1_38merge_sort_block_merge_config_selectorIjN6thrust23THRUST_200600_302600_NS5tupleIffNS6_9null_typeES8_S8_S8_S8_S8_S8_S8_EEEEZZNS1_27merge_sort_block_merge_implIS3_NS6_6detail15normal_iteratorINS6_10device_ptrIjEEEENSD_INSE_IS9_EEEEjNS1_19radix_merge_compareILb0ELb0EjNS0_19identity_decomposerEEEEE10hipError_tT0_T1_T2_jT3_P12ihipStream_tbPNSt15iterator_traitsISN_E10value_typeEPNST_ISO_E10value_typeEPSP_NS1_7vsmem_tEENKUlT_SN_SO_SP_E_clIPjSG_PS9_SI_EESM_S12_SN_SO_SP_EUlS12_E_NS1_11comp_targetILNS1_3genE8ELNS1_11target_archE1030ELNS1_3gpuE2ELNS1_3repE0EEENS1_48merge_mergepath_partition_config_static_selectorELNS0_4arch9wavefront6targetE0EEEvSO_,comdat
	.protected	_ZN7rocprim17ROCPRIM_400000_NS6detail17trampoline_kernelINS0_14default_configENS1_38merge_sort_block_merge_config_selectorIjN6thrust23THRUST_200600_302600_NS5tupleIffNS6_9null_typeES8_S8_S8_S8_S8_S8_S8_EEEEZZNS1_27merge_sort_block_merge_implIS3_NS6_6detail15normal_iteratorINS6_10device_ptrIjEEEENSD_INSE_IS9_EEEEjNS1_19radix_merge_compareILb0ELb0EjNS0_19identity_decomposerEEEEE10hipError_tT0_T1_T2_jT3_P12ihipStream_tbPNSt15iterator_traitsISN_E10value_typeEPNST_ISO_E10value_typeEPSP_NS1_7vsmem_tEENKUlT_SN_SO_SP_E_clIPjSG_PS9_SI_EESM_S12_SN_SO_SP_EUlS12_E_NS1_11comp_targetILNS1_3genE8ELNS1_11target_archE1030ELNS1_3gpuE2ELNS1_3repE0EEENS1_48merge_mergepath_partition_config_static_selectorELNS0_4arch9wavefront6targetE0EEEvSO_ ; -- Begin function _ZN7rocprim17ROCPRIM_400000_NS6detail17trampoline_kernelINS0_14default_configENS1_38merge_sort_block_merge_config_selectorIjN6thrust23THRUST_200600_302600_NS5tupleIffNS6_9null_typeES8_S8_S8_S8_S8_S8_S8_EEEEZZNS1_27merge_sort_block_merge_implIS3_NS6_6detail15normal_iteratorINS6_10device_ptrIjEEEENSD_INSE_IS9_EEEEjNS1_19radix_merge_compareILb0ELb0EjNS0_19identity_decomposerEEEEE10hipError_tT0_T1_T2_jT3_P12ihipStream_tbPNSt15iterator_traitsISN_E10value_typeEPNST_ISO_E10value_typeEPSP_NS1_7vsmem_tEENKUlT_SN_SO_SP_E_clIPjSG_PS9_SI_EESM_S12_SN_SO_SP_EUlS12_E_NS1_11comp_targetILNS1_3genE8ELNS1_11target_archE1030ELNS1_3gpuE2ELNS1_3repE0EEENS1_48merge_mergepath_partition_config_static_selectorELNS0_4arch9wavefront6targetE0EEEvSO_
	.globl	_ZN7rocprim17ROCPRIM_400000_NS6detail17trampoline_kernelINS0_14default_configENS1_38merge_sort_block_merge_config_selectorIjN6thrust23THRUST_200600_302600_NS5tupleIffNS6_9null_typeES8_S8_S8_S8_S8_S8_S8_EEEEZZNS1_27merge_sort_block_merge_implIS3_NS6_6detail15normal_iteratorINS6_10device_ptrIjEEEENSD_INSE_IS9_EEEEjNS1_19radix_merge_compareILb0ELb0EjNS0_19identity_decomposerEEEEE10hipError_tT0_T1_T2_jT3_P12ihipStream_tbPNSt15iterator_traitsISN_E10value_typeEPNST_ISO_E10value_typeEPSP_NS1_7vsmem_tEENKUlT_SN_SO_SP_E_clIPjSG_PS9_SI_EESM_S12_SN_SO_SP_EUlS12_E_NS1_11comp_targetILNS1_3genE8ELNS1_11target_archE1030ELNS1_3gpuE2ELNS1_3repE0EEENS1_48merge_mergepath_partition_config_static_selectorELNS0_4arch9wavefront6targetE0EEEvSO_
	.p2align	8
	.type	_ZN7rocprim17ROCPRIM_400000_NS6detail17trampoline_kernelINS0_14default_configENS1_38merge_sort_block_merge_config_selectorIjN6thrust23THRUST_200600_302600_NS5tupleIffNS6_9null_typeES8_S8_S8_S8_S8_S8_S8_EEEEZZNS1_27merge_sort_block_merge_implIS3_NS6_6detail15normal_iteratorINS6_10device_ptrIjEEEENSD_INSE_IS9_EEEEjNS1_19radix_merge_compareILb0ELb0EjNS0_19identity_decomposerEEEEE10hipError_tT0_T1_T2_jT3_P12ihipStream_tbPNSt15iterator_traitsISN_E10value_typeEPNST_ISO_E10value_typeEPSP_NS1_7vsmem_tEENKUlT_SN_SO_SP_E_clIPjSG_PS9_SI_EESM_S12_SN_SO_SP_EUlS12_E_NS1_11comp_targetILNS1_3genE8ELNS1_11target_archE1030ELNS1_3gpuE2ELNS1_3repE0EEENS1_48merge_mergepath_partition_config_static_selectorELNS0_4arch9wavefront6targetE0EEEvSO_,@function
_ZN7rocprim17ROCPRIM_400000_NS6detail17trampoline_kernelINS0_14default_configENS1_38merge_sort_block_merge_config_selectorIjN6thrust23THRUST_200600_302600_NS5tupleIffNS6_9null_typeES8_S8_S8_S8_S8_S8_S8_EEEEZZNS1_27merge_sort_block_merge_implIS3_NS6_6detail15normal_iteratorINS6_10device_ptrIjEEEENSD_INSE_IS9_EEEEjNS1_19radix_merge_compareILb0ELb0EjNS0_19identity_decomposerEEEEE10hipError_tT0_T1_T2_jT3_P12ihipStream_tbPNSt15iterator_traitsISN_E10value_typeEPNST_ISO_E10value_typeEPSP_NS1_7vsmem_tEENKUlT_SN_SO_SP_E_clIPjSG_PS9_SI_EESM_S12_SN_SO_SP_EUlS12_E_NS1_11comp_targetILNS1_3genE8ELNS1_11target_archE1030ELNS1_3gpuE2ELNS1_3repE0EEENS1_48merge_mergepath_partition_config_static_selectorELNS0_4arch9wavefront6targetE0EEEvSO_: ; @_ZN7rocprim17ROCPRIM_400000_NS6detail17trampoline_kernelINS0_14default_configENS1_38merge_sort_block_merge_config_selectorIjN6thrust23THRUST_200600_302600_NS5tupleIffNS6_9null_typeES8_S8_S8_S8_S8_S8_S8_EEEEZZNS1_27merge_sort_block_merge_implIS3_NS6_6detail15normal_iteratorINS6_10device_ptrIjEEEENSD_INSE_IS9_EEEEjNS1_19radix_merge_compareILb0ELb0EjNS0_19identity_decomposerEEEEE10hipError_tT0_T1_T2_jT3_P12ihipStream_tbPNSt15iterator_traitsISN_E10value_typeEPNST_ISO_E10value_typeEPSP_NS1_7vsmem_tEENKUlT_SN_SO_SP_E_clIPjSG_PS9_SI_EESM_S12_SN_SO_SP_EUlS12_E_NS1_11comp_targetILNS1_3genE8ELNS1_11target_archE1030ELNS1_3gpuE2ELNS1_3repE0EEENS1_48merge_mergepath_partition_config_static_selectorELNS0_4arch9wavefront6targetE0EEEvSO_
; %bb.0:
	s_load_dword s0, s[4:5], 0x0
	v_lshl_or_b32 v0, s6, 7, v0
	s_waitcnt lgkmcnt(0)
	v_cmp_gt_u32_e32 vcc_lo, s0, v0
	s_and_saveexec_b32 s0, vcc_lo
	s_cbranch_execz .LBB32_6
; %bb.1:
	s_load_dwordx2 s[0:1], s[4:5], 0x4
	s_waitcnt lgkmcnt(0)
	s_lshr_b32 s2, s0, 9
	s_and_b32 s2, s2, 0x7ffffe
	s_sub_i32 s3, 0, s2
	s_add_i32 s2, s2, -1
	v_and_b32_e32 v1, s3, v0
	v_and_b32_e32 v5, s2, v0
	s_mov_b32 s3, 0
	s_mov_b32 s2, exec_lo
	v_lshlrev_b32_e32 v1, 10, v1
	v_add_nc_u32_e32 v2, s0, v1
	v_min_u32_e32 v4, s1, v2
	v_min_u32_e32 v2, s1, v1
	v_add_nc_u32_e32 v3, s0, v4
	v_min_u32_e32 v1, s1, v3
	s_load_dwordx2 s[0:1], s[4:5], 0x20
	v_lshlrev_b32_e32 v3, 10, v5
	v_sub_nc_u32_e32 v5, v1, v2
	v_sub_nc_u32_e32 v6, v1, v4
	v_min_u32_e32 v1, v5, v3
	v_sub_nc_u32_e32 v3, v4, v2
	v_sub_nc_u32_e64 v6, v1, v6 clamp
	v_min_u32_e32 v7, v1, v3
	v_cmpx_lt_u32_e64 v6, v7
	s_cbranch_execz .LBB32_5
; %bb.2:
	s_load_dwordx2 s[4:5], s[4:5], 0x10
	v_mov_b32_e32 v5, 0
	v_mov_b32_e32 v3, v5
	v_lshlrev_b64 v[10:11], 2, v[4:5]
	v_lshlrev_b64 v[8:9], 2, v[2:3]
	s_waitcnt lgkmcnt(0)
	v_add_co_u32 v3, vcc_lo, s4, v8
	v_add_co_ci_u32_e64 v8, null, s5, v9, vcc_lo
	v_add_co_u32 v9, vcc_lo, s4, v10
	v_add_co_ci_u32_e64 v10, null, s5, v11, vcc_lo
	.p2align	6
.LBB32_3:                               ; =>This Inner Loop Header: Depth=1
	v_add_nc_u32_e32 v4, v7, v6
	v_mov_b32_e32 v12, v5
	v_lshrrev_b32_e32 v4, 1, v4
	v_xad_u32 v11, v4, -1, v1
	v_lshlrev_b64 v[13:14], 2, v[4:5]
	v_lshlrev_b64 v[11:12], 2, v[11:12]
	v_add_co_u32 v13, vcc_lo, v3, v13
	v_add_co_ci_u32_e64 v14, null, v8, v14, vcc_lo
	v_add_co_u32 v11, vcc_lo, v9, v11
	v_add_co_ci_u32_e64 v12, null, v10, v12, vcc_lo
	s_clause 0x1
	global_load_dword v13, v[13:14], off
	global_load_dword v11, v[11:12], off
	v_add_nc_u32_e32 v12, 1, v4
	s_waitcnt vmcnt(0)
	v_cmp_gt_u32_e32 vcc_lo, v13, v11
	v_cndmask_b32_e32 v7, v7, v4, vcc_lo
	v_cndmask_b32_e32 v6, v12, v6, vcc_lo
	v_cmp_ge_u32_e32 vcc_lo, v6, v7
	s_or_b32 s3, vcc_lo, s3
	s_andn2_b32 exec_lo, exec_lo, s3
	s_cbranch_execnz .LBB32_3
; %bb.4:
	s_or_b32 exec_lo, exec_lo, s3
.LBB32_5:
	s_or_b32 exec_lo, exec_lo, s2
	v_mov_b32_e32 v1, 0
	v_add_nc_u32_e32 v2, v6, v2
	v_lshlrev_b64 v[0:1], 2, v[0:1]
	s_waitcnt lgkmcnt(0)
	v_add_co_u32 v0, vcc_lo, s0, v0
	v_add_co_ci_u32_e64 v1, null, s1, v1, vcc_lo
	global_store_dword v[0:1], v2, off
.LBB32_6:
	s_endpgm
	.section	.rodata,"a",@progbits
	.p2align	6, 0x0
	.amdhsa_kernel _ZN7rocprim17ROCPRIM_400000_NS6detail17trampoline_kernelINS0_14default_configENS1_38merge_sort_block_merge_config_selectorIjN6thrust23THRUST_200600_302600_NS5tupleIffNS6_9null_typeES8_S8_S8_S8_S8_S8_S8_EEEEZZNS1_27merge_sort_block_merge_implIS3_NS6_6detail15normal_iteratorINS6_10device_ptrIjEEEENSD_INSE_IS9_EEEEjNS1_19radix_merge_compareILb0ELb0EjNS0_19identity_decomposerEEEEE10hipError_tT0_T1_T2_jT3_P12ihipStream_tbPNSt15iterator_traitsISN_E10value_typeEPNST_ISO_E10value_typeEPSP_NS1_7vsmem_tEENKUlT_SN_SO_SP_E_clIPjSG_PS9_SI_EESM_S12_SN_SO_SP_EUlS12_E_NS1_11comp_targetILNS1_3genE8ELNS1_11target_archE1030ELNS1_3gpuE2ELNS1_3repE0EEENS1_48merge_mergepath_partition_config_static_selectorELNS0_4arch9wavefront6targetE0EEEvSO_
		.amdhsa_group_segment_fixed_size 0
		.amdhsa_private_segment_fixed_size 0
		.amdhsa_kernarg_size 40
		.amdhsa_user_sgpr_count 6
		.amdhsa_user_sgpr_private_segment_buffer 1
		.amdhsa_user_sgpr_dispatch_ptr 0
		.amdhsa_user_sgpr_queue_ptr 0
		.amdhsa_user_sgpr_kernarg_segment_ptr 1
		.amdhsa_user_sgpr_dispatch_id 0
		.amdhsa_user_sgpr_flat_scratch_init 0
		.amdhsa_user_sgpr_private_segment_size 0
		.amdhsa_wavefront_size32 1
		.amdhsa_uses_dynamic_stack 0
		.amdhsa_system_sgpr_private_segment_wavefront_offset 0
		.amdhsa_system_sgpr_workgroup_id_x 1
		.amdhsa_system_sgpr_workgroup_id_y 0
		.amdhsa_system_sgpr_workgroup_id_z 0
		.amdhsa_system_sgpr_workgroup_info 0
		.amdhsa_system_vgpr_workitem_id 0
		.amdhsa_next_free_vgpr 15
		.amdhsa_next_free_sgpr 7
		.amdhsa_reserve_vcc 1
		.amdhsa_reserve_flat_scratch 0
		.amdhsa_float_round_mode_32 0
		.amdhsa_float_round_mode_16_64 0
		.amdhsa_float_denorm_mode_32 3
		.amdhsa_float_denorm_mode_16_64 3
		.amdhsa_dx10_clamp 1
		.amdhsa_ieee_mode 1
		.amdhsa_fp16_overflow 0
		.amdhsa_workgroup_processor_mode 1
		.amdhsa_memory_ordered 1
		.amdhsa_forward_progress 1
		.amdhsa_shared_vgpr_count 0
		.amdhsa_exception_fp_ieee_invalid_op 0
		.amdhsa_exception_fp_denorm_src 0
		.amdhsa_exception_fp_ieee_div_zero 0
		.amdhsa_exception_fp_ieee_overflow 0
		.amdhsa_exception_fp_ieee_underflow 0
		.amdhsa_exception_fp_ieee_inexact 0
		.amdhsa_exception_int_div_zero 0
	.end_amdhsa_kernel
	.section	.text._ZN7rocprim17ROCPRIM_400000_NS6detail17trampoline_kernelINS0_14default_configENS1_38merge_sort_block_merge_config_selectorIjN6thrust23THRUST_200600_302600_NS5tupleIffNS6_9null_typeES8_S8_S8_S8_S8_S8_S8_EEEEZZNS1_27merge_sort_block_merge_implIS3_NS6_6detail15normal_iteratorINS6_10device_ptrIjEEEENSD_INSE_IS9_EEEEjNS1_19radix_merge_compareILb0ELb0EjNS0_19identity_decomposerEEEEE10hipError_tT0_T1_T2_jT3_P12ihipStream_tbPNSt15iterator_traitsISN_E10value_typeEPNST_ISO_E10value_typeEPSP_NS1_7vsmem_tEENKUlT_SN_SO_SP_E_clIPjSG_PS9_SI_EESM_S12_SN_SO_SP_EUlS12_E_NS1_11comp_targetILNS1_3genE8ELNS1_11target_archE1030ELNS1_3gpuE2ELNS1_3repE0EEENS1_48merge_mergepath_partition_config_static_selectorELNS0_4arch9wavefront6targetE0EEEvSO_,"axG",@progbits,_ZN7rocprim17ROCPRIM_400000_NS6detail17trampoline_kernelINS0_14default_configENS1_38merge_sort_block_merge_config_selectorIjN6thrust23THRUST_200600_302600_NS5tupleIffNS6_9null_typeES8_S8_S8_S8_S8_S8_S8_EEEEZZNS1_27merge_sort_block_merge_implIS3_NS6_6detail15normal_iteratorINS6_10device_ptrIjEEEENSD_INSE_IS9_EEEEjNS1_19radix_merge_compareILb0ELb0EjNS0_19identity_decomposerEEEEE10hipError_tT0_T1_T2_jT3_P12ihipStream_tbPNSt15iterator_traitsISN_E10value_typeEPNST_ISO_E10value_typeEPSP_NS1_7vsmem_tEENKUlT_SN_SO_SP_E_clIPjSG_PS9_SI_EESM_S12_SN_SO_SP_EUlS12_E_NS1_11comp_targetILNS1_3genE8ELNS1_11target_archE1030ELNS1_3gpuE2ELNS1_3repE0EEENS1_48merge_mergepath_partition_config_static_selectorELNS0_4arch9wavefront6targetE0EEEvSO_,comdat
.Lfunc_end32:
	.size	_ZN7rocprim17ROCPRIM_400000_NS6detail17trampoline_kernelINS0_14default_configENS1_38merge_sort_block_merge_config_selectorIjN6thrust23THRUST_200600_302600_NS5tupleIffNS6_9null_typeES8_S8_S8_S8_S8_S8_S8_EEEEZZNS1_27merge_sort_block_merge_implIS3_NS6_6detail15normal_iteratorINS6_10device_ptrIjEEEENSD_INSE_IS9_EEEEjNS1_19radix_merge_compareILb0ELb0EjNS0_19identity_decomposerEEEEE10hipError_tT0_T1_T2_jT3_P12ihipStream_tbPNSt15iterator_traitsISN_E10value_typeEPNST_ISO_E10value_typeEPSP_NS1_7vsmem_tEENKUlT_SN_SO_SP_E_clIPjSG_PS9_SI_EESM_S12_SN_SO_SP_EUlS12_E_NS1_11comp_targetILNS1_3genE8ELNS1_11target_archE1030ELNS1_3gpuE2ELNS1_3repE0EEENS1_48merge_mergepath_partition_config_static_selectorELNS0_4arch9wavefront6targetE0EEEvSO_, .Lfunc_end32-_ZN7rocprim17ROCPRIM_400000_NS6detail17trampoline_kernelINS0_14default_configENS1_38merge_sort_block_merge_config_selectorIjN6thrust23THRUST_200600_302600_NS5tupleIffNS6_9null_typeES8_S8_S8_S8_S8_S8_S8_EEEEZZNS1_27merge_sort_block_merge_implIS3_NS6_6detail15normal_iteratorINS6_10device_ptrIjEEEENSD_INSE_IS9_EEEEjNS1_19radix_merge_compareILb0ELb0EjNS0_19identity_decomposerEEEEE10hipError_tT0_T1_T2_jT3_P12ihipStream_tbPNSt15iterator_traitsISN_E10value_typeEPNST_ISO_E10value_typeEPSP_NS1_7vsmem_tEENKUlT_SN_SO_SP_E_clIPjSG_PS9_SI_EESM_S12_SN_SO_SP_EUlS12_E_NS1_11comp_targetILNS1_3genE8ELNS1_11target_archE1030ELNS1_3gpuE2ELNS1_3repE0EEENS1_48merge_mergepath_partition_config_static_selectorELNS0_4arch9wavefront6targetE0EEEvSO_
                                        ; -- End function
	.set _ZN7rocprim17ROCPRIM_400000_NS6detail17trampoline_kernelINS0_14default_configENS1_38merge_sort_block_merge_config_selectorIjN6thrust23THRUST_200600_302600_NS5tupleIffNS6_9null_typeES8_S8_S8_S8_S8_S8_S8_EEEEZZNS1_27merge_sort_block_merge_implIS3_NS6_6detail15normal_iteratorINS6_10device_ptrIjEEEENSD_INSE_IS9_EEEEjNS1_19radix_merge_compareILb0ELb0EjNS0_19identity_decomposerEEEEE10hipError_tT0_T1_T2_jT3_P12ihipStream_tbPNSt15iterator_traitsISN_E10value_typeEPNST_ISO_E10value_typeEPSP_NS1_7vsmem_tEENKUlT_SN_SO_SP_E_clIPjSG_PS9_SI_EESM_S12_SN_SO_SP_EUlS12_E_NS1_11comp_targetILNS1_3genE8ELNS1_11target_archE1030ELNS1_3gpuE2ELNS1_3repE0EEENS1_48merge_mergepath_partition_config_static_selectorELNS0_4arch9wavefront6targetE0EEEvSO_.num_vgpr, 15
	.set _ZN7rocprim17ROCPRIM_400000_NS6detail17trampoline_kernelINS0_14default_configENS1_38merge_sort_block_merge_config_selectorIjN6thrust23THRUST_200600_302600_NS5tupleIffNS6_9null_typeES8_S8_S8_S8_S8_S8_S8_EEEEZZNS1_27merge_sort_block_merge_implIS3_NS6_6detail15normal_iteratorINS6_10device_ptrIjEEEENSD_INSE_IS9_EEEEjNS1_19radix_merge_compareILb0ELb0EjNS0_19identity_decomposerEEEEE10hipError_tT0_T1_T2_jT3_P12ihipStream_tbPNSt15iterator_traitsISN_E10value_typeEPNST_ISO_E10value_typeEPSP_NS1_7vsmem_tEENKUlT_SN_SO_SP_E_clIPjSG_PS9_SI_EESM_S12_SN_SO_SP_EUlS12_E_NS1_11comp_targetILNS1_3genE8ELNS1_11target_archE1030ELNS1_3gpuE2ELNS1_3repE0EEENS1_48merge_mergepath_partition_config_static_selectorELNS0_4arch9wavefront6targetE0EEEvSO_.num_agpr, 0
	.set _ZN7rocprim17ROCPRIM_400000_NS6detail17trampoline_kernelINS0_14default_configENS1_38merge_sort_block_merge_config_selectorIjN6thrust23THRUST_200600_302600_NS5tupleIffNS6_9null_typeES8_S8_S8_S8_S8_S8_S8_EEEEZZNS1_27merge_sort_block_merge_implIS3_NS6_6detail15normal_iteratorINS6_10device_ptrIjEEEENSD_INSE_IS9_EEEEjNS1_19radix_merge_compareILb0ELb0EjNS0_19identity_decomposerEEEEE10hipError_tT0_T1_T2_jT3_P12ihipStream_tbPNSt15iterator_traitsISN_E10value_typeEPNST_ISO_E10value_typeEPSP_NS1_7vsmem_tEENKUlT_SN_SO_SP_E_clIPjSG_PS9_SI_EESM_S12_SN_SO_SP_EUlS12_E_NS1_11comp_targetILNS1_3genE8ELNS1_11target_archE1030ELNS1_3gpuE2ELNS1_3repE0EEENS1_48merge_mergepath_partition_config_static_selectorELNS0_4arch9wavefront6targetE0EEEvSO_.numbered_sgpr, 7
	.set _ZN7rocprim17ROCPRIM_400000_NS6detail17trampoline_kernelINS0_14default_configENS1_38merge_sort_block_merge_config_selectorIjN6thrust23THRUST_200600_302600_NS5tupleIffNS6_9null_typeES8_S8_S8_S8_S8_S8_S8_EEEEZZNS1_27merge_sort_block_merge_implIS3_NS6_6detail15normal_iteratorINS6_10device_ptrIjEEEENSD_INSE_IS9_EEEEjNS1_19radix_merge_compareILb0ELb0EjNS0_19identity_decomposerEEEEE10hipError_tT0_T1_T2_jT3_P12ihipStream_tbPNSt15iterator_traitsISN_E10value_typeEPNST_ISO_E10value_typeEPSP_NS1_7vsmem_tEENKUlT_SN_SO_SP_E_clIPjSG_PS9_SI_EESM_S12_SN_SO_SP_EUlS12_E_NS1_11comp_targetILNS1_3genE8ELNS1_11target_archE1030ELNS1_3gpuE2ELNS1_3repE0EEENS1_48merge_mergepath_partition_config_static_selectorELNS0_4arch9wavefront6targetE0EEEvSO_.num_named_barrier, 0
	.set _ZN7rocprim17ROCPRIM_400000_NS6detail17trampoline_kernelINS0_14default_configENS1_38merge_sort_block_merge_config_selectorIjN6thrust23THRUST_200600_302600_NS5tupleIffNS6_9null_typeES8_S8_S8_S8_S8_S8_S8_EEEEZZNS1_27merge_sort_block_merge_implIS3_NS6_6detail15normal_iteratorINS6_10device_ptrIjEEEENSD_INSE_IS9_EEEEjNS1_19radix_merge_compareILb0ELb0EjNS0_19identity_decomposerEEEEE10hipError_tT0_T1_T2_jT3_P12ihipStream_tbPNSt15iterator_traitsISN_E10value_typeEPNST_ISO_E10value_typeEPSP_NS1_7vsmem_tEENKUlT_SN_SO_SP_E_clIPjSG_PS9_SI_EESM_S12_SN_SO_SP_EUlS12_E_NS1_11comp_targetILNS1_3genE8ELNS1_11target_archE1030ELNS1_3gpuE2ELNS1_3repE0EEENS1_48merge_mergepath_partition_config_static_selectorELNS0_4arch9wavefront6targetE0EEEvSO_.private_seg_size, 0
	.set _ZN7rocprim17ROCPRIM_400000_NS6detail17trampoline_kernelINS0_14default_configENS1_38merge_sort_block_merge_config_selectorIjN6thrust23THRUST_200600_302600_NS5tupleIffNS6_9null_typeES8_S8_S8_S8_S8_S8_S8_EEEEZZNS1_27merge_sort_block_merge_implIS3_NS6_6detail15normal_iteratorINS6_10device_ptrIjEEEENSD_INSE_IS9_EEEEjNS1_19radix_merge_compareILb0ELb0EjNS0_19identity_decomposerEEEEE10hipError_tT0_T1_T2_jT3_P12ihipStream_tbPNSt15iterator_traitsISN_E10value_typeEPNST_ISO_E10value_typeEPSP_NS1_7vsmem_tEENKUlT_SN_SO_SP_E_clIPjSG_PS9_SI_EESM_S12_SN_SO_SP_EUlS12_E_NS1_11comp_targetILNS1_3genE8ELNS1_11target_archE1030ELNS1_3gpuE2ELNS1_3repE0EEENS1_48merge_mergepath_partition_config_static_selectorELNS0_4arch9wavefront6targetE0EEEvSO_.uses_vcc, 1
	.set _ZN7rocprim17ROCPRIM_400000_NS6detail17trampoline_kernelINS0_14default_configENS1_38merge_sort_block_merge_config_selectorIjN6thrust23THRUST_200600_302600_NS5tupleIffNS6_9null_typeES8_S8_S8_S8_S8_S8_S8_EEEEZZNS1_27merge_sort_block_merge_implIS3_NS6_6detail15normal_iteratorINS6_10device_ptrIjEEEENSD_INSE_IS9_EEEEjNS1_19radix_merge_compareILb0ELb0EjNS0_19identity_decomposerEEEEE10hipError_tT0_T1_T2_jT3_P12ihipStream_tbPNSt15iterator_traitsISN_E10value_typeEPNST_ISO_E10value_typeEPSP_NS1_7vsmem_tEENKUlT_SN_SO_SP_E_clIPjSG_PS9_SI_EESM_S12_SN_SO_SP_EUlS12_E_NS1_11comp_targetILNS1_3genE8ELNS1_11target_archE1030ELNS1_3gpuE2ELNS1_3repE0EEENS1_48merge_mergepath_partition_config_static_selectorELNS0_4arch9wavefront6targetE0EEEvSO_.uses_flat_scratch, 0
	.set _ZN7rocprim17ROCPRIM_400000_NS6detail17trampoline_kernelINS0_14default_configENS1_38merge_sort_block_merge_config_selectorIjN6thrust23THRUST_200600_302600_NS5tupleIffNS6_9null_typeES8_S8_S8_S8_S8_S8_S8_EEEEZZNS1_27merge_sort_block_merge_implIS3_NS6_6detail15normal_iteratorINS6_10device_ptrIjEEEENSD_INSE_IS9_EEEEjNS1_19radix_merge_compareILb0ELb0EjNS0_19identity_decomposerEEEEE10hipError_tT0_T1_T2_jT3_P12ihipStream_tbPNSt15iterator_traitsISN_E10value_typeEPNST_ISO_E10value_typeEPSP_NS1_7vsmem_tEENKUlT_SN_SO_SP_E_clIPjSG_PS9_SI_EESM_S12_SN_SO_SP_EUlS12_E_NS1_11comp_targetILNS1_3genE8ELNS1_11target_archE1030ELNS1_3gpuE2ELNS1_3repE0EEENS1_48merge_mergepath_partition_config_static_selectorELNS0_4arch9wavefront6targetE0EEEvSO_.has_dyn_sized_stack, 0
	.set _ZN7rocprim17ROCPRIM_400000_NS6detail17trampoline_kernelINS0_14default_configENS1_38merge_sort_block_merge_config_selectorIjN6thrust23THRUST_200600_302600_NS5tupleIffNS6_9null_typeES8_S8_S8_S8_S8_S8_S8_EEEEZZNS1_27merge_sort_block_merge_implIS3_NS6_6detail15normal_iteratorINS6_10device_ptrIjEEEENSD_INSE_IS9_EEEEjNS1_19radix_merge_compareILb0ELb0EjNS0_19identity_decomposerEEEEE10hipError_tT0_T1_T2_jT3_P12ihipStream_tbPNSt15iterator_traitsISN_E10value_typeEPNST_ISO_E10value_typeEPSP_NS1_7vsmem_tEENKUlT_SN_SO_SP_E_clIPjSG_PS9_SI_EESM_S12_SN_SO_SP_EUlS12_E_NS1_11comp_targetILNS1_3genE8ELNS1_11target_archE1030ELNS1_3gpuE2ELNS1_3repE0EEENS1_48merge_mergepath_partition_config_static_selectorELNS0_4arch9wavefront6targetE0EEEvSO_.has_recursion, 0
	.set _ZN7rocprim17ROCPRIM_400000_NS6detail17trampoline_kernelINS0_14default_configENS1_38merge_sort_block_merge_config_selectorIjN6thrust23THRUST_200600_302600_NS5tupleIffNS6_9null_typeES8_S8_S8_S8_S8_S8_S8_EEEEZZNS1_27merge_sort_block_merge_implIS3_NS6_6detail15normal_iteratorINS6_10device_ptrIjEEEENSD_INSE_IS9_EEEEjNS1_19radix_merge_compareILb0ELb0EjNS0_19identity_decomposerEEEEE10hipError_tT0_T1_T2_jT3_P12ihipStream_tbPNSt15iterator_traitsISN_E10value_typeEPNST_ISO_E10value_typeEPSP_NS1_7vsmem_tEENKUlT_SN_SO_SP_E_clIPjSG_PS9_SI_EESM_S12_SN_SO_SP_EUlS12_E_NS1_11comp_targetILNS1_3genE8ELNS1_11target_archE1030ELNS1_3gpuE2ELNS1_3repE0EEENS1_48merge_mergepath_partition_config_static_selectorELNS0_4arch9wavefront6targetE0EEEvSO_.has_indirect_call, 0
	.section	.AMDGPU.csdata,"",@progbits
; Kernel info:
; codeLenInByte = 436
; TotalNumSgprs: 9
; NumVgprs: 15
; ScratchSize: 0
; MemoryBound: 0
; FloatMode: 240
; IeeeMode: 1
; LDSByteSize: 0 bytes/workgroup (compile time only)
; SGPRBlocks: 0
; VGPRBlocks: 1
; NumSGPRsForWavesPerEU: 9
; NumVGPRsForWavesPerEU: 15
; Occupancy: 16
; WaveLimiterHint : 0
; COMPUTE_PGM_RSRC2:SCRATCH_EN: 0
; COMPUTE_PGM_RSRC2:USER_SGPR: 6
; COMPUTE_PGM_RSRC2:TRAP_HANDLER: 0
; COMPUTE_PGM_RSRC2:TGID_X_EN: 1
; COMPUTE_PGM_RSRC2:TGID_Y_EN: 0
; COMPUTE_PGM_RSRC2:TGID_Z_EN: 0
; COMPUTE_PGM_RSRC2:TIDIG_COMP_CNT: 0
	.section	.text._ZN7rocprim17ROCPRIM_400000_NS6detail17trampoline_kernelINS0_14default_configENS1_38merge_sort_block_merge_config_selectorIjN6thrust23THRUST_200600_302600_NS5tupleIffNS6_9null_typeES8_S8_S8_S8_S8_S8_S8_EEEEZZNS1_27merge_sort_block_merge_implIS3_NS6_6detail15normal_iteratorINS6_10device_ptrIjEEEENSD_INSE_IS9_EEEEjNS1_19radix_merge_compareILb0ELb0EjNS0_19identity_decomposerEEEEE10hipError_tT0_T1_T2_jT3_P12ihipStream_tbPNSt15iterator_traitsISN_E10value_typeEPNST_ISO_E10value_typeEPSP_NS1_7vsmem_tEENKUlT_SN_SO_SP_E_clIPjSG_PS9_SI_EESM_S12_SN_SO_SP_EUlS12_E0_NS1_11comp_targetILNS1_3genE0ELNS1_11target_archE4294967295ELNS1_3gpuE0ELNS1_3repE0EEENS1_38merge_mergepath_config_static_selectorELNS0_4arch9wavefront6targetE0EEEvSO_,"axG",@progbits,_ZN7rocprim17ROCPRIM_400000_NS6detail17trampoline_kernelINS0_14default_configENS1_38merge_sort_block_merge_config_selectorIjN6thrust23THRUST_200600_302600_NS5tupleIffNS6_9null_typeES8_S8_S8_S8_S8_S8_S8_EEEEZZNS1_27merge_sort_block_merge_implIS3_NS6_6detail15normal_iteratorINS6_10device_ptrIjEEEENSD_INSE_IS9_EEEEjNS1_19radix_merge_compareILb0ELb0EjNS0_19identity_decomposerEEEEE10hipError_tT0_T1_T2_jT3_P12ihipStream_tbPNSt15iterator_traitsISN_E10value_typeEPNST_ISO_E10value_typeEPSP_NS1_7vsmem_tEENKUlT_SN_SO_SP_E_clIPjSG_PS9_SI_EESM_S12_SN_SO_SP_EUlS12_E0_NS1_11comp_targetILNS1_3genE0ELNS1_11target_archE4294967295ELNS1_3gpuE0ELNS1_3repE0EEENS1_38merge_mergepath_config_static_selectorELNS0_4arch9wavefront6targetE0EEEvSO_,comdat
	.protected	_ZN7rocprim17ROCPRIM_400000_NS6detail17trampoline_kernelINS0_14default_configENS1_38merge_sort_block_merge_config_selectorIjN6thrust23THRUST_200600_302600_NS5tupleIffNS6_9null_typeES8_S8_S8_S8_S8_S8_S8_EEEEZZNS1_27merge_sort_block_merge_implIS3_NS6_6detail15normal_iteratorINS6_10device_ptrIjEEEENSD_INSE_IS9_EEEEjNS1_19radix_merge_compareILb0ELb0EjNS0_19identity_decomposerEEEEE10hipError_tT0_T1_T2_jT3_P12ihipStream_tbPNSt15iterator_traitsISN_E10value_typeEPNST_ISO_E10value_typeEPSP_NS1_7vsmem_tEENKUlT_SN_SO_SP_E_clIPjSG_PS9_SI_EESM_S12_SN_SO_SP_EUlS12_E0_NS1_11comp_targetILNS1_3genE0ELNS1_11target_archE4294967295ELNS1_3gpuE0ELNS1_3repE0EEENS1_38merge_mergepath_config_static_selectorELNS0_4arch9wavefront6targetE0EEEvSO_ ; -- Begin function _ZN7rocprim17ROCPRIM_400000_NS6detail17trampoline_kernelINS0_14default_configENS1_38merge_sort_block_merge_config_selectorIjN6thrust23THRUST_200600_302600_NS5tupleIffNS6_9null_typeES8_S8_S8_S8_S8_S8_S8_EEEEZZNS1_27merge_sort_block_merge_implIS3_NS6_6detail15normal_iteratorINS6_10device_ptrIjEEEENSD_INSE_IS9_EEEEjNS1_19radix_merge_compareILb0ELb0EjNS0_19identity_decomposerEEEEE10hipError_tT0_T1_T2_jT3_P12ihipStream_tbPNSt15iterator_traitsISN_E10value_typeEPNST_ISO_E10value_typeEPSP_NS1_7vsmem_tEENKUlT_SN_SO_SP_E_clIPjSG_PS9_SI_EESM_S12_SN_SO_SP_EUlS12_E0_NS1_11comp_targetILNS1_3genE0ELNS1_11target_archE4294967295ELNS1_3gpuE0ELNS1_3repE0EEENS1_38merge_mergepath_config_static_selectorELNS0_4arch9wavefront6targetE0EEEvSO_
	.globl	_ZN7rocprim17ROCPRIM_400000_NS6detail17trampoline_kernelINS0_14default_configENS1_38merge_sort_block_merge_config_selectorIjN6thrust23THRUST_200600_302600_NS5tupleIffNS6_9null_typeES8_S8_S8_S8_S8_S8_S8_EEEEZZNS1_27merge_sort_block_merge_implIS3_NS6_6detail15normal_iteratorINS6_10device_ptrIjEEEENSD_INSE_IS9_EEEEjNS1_19radix_merge_compareILb0ELb0EjNS0_19identity_decomposerEEEEE10hipError_tT0_T1_T2_jT3_P12ihipStream_tbPNSt15iterator_traitsISN_E10value_typeEPNST_ISO_E10value_typeEPSP_NS1_7vsmem_tEENKUlT_SN_SO_SP_E_clIPjSG_PS9_SI_EESM_S12_SN_SO_SP_EUlS12_E0_NS1_11comp_targetILNS1_3genE0ELNS1_11target_archE4294967295ELNS1_3gpuE0ELNS1_3repE0EEENS1_38merge_mergepath_config_static_selectorELNS0_4arch9wavefront6targetE0EEEvSO_
	.p2align	8
	.type	_ZN7rocprim17ROCPRIM_400000_NS6detail17trampoline_kernelINS0_14default_configENS1_38merge_sort_block_merge_config_selectorIjN6thrust23THRUST_200600_302600_NS5tupleIffNS6_9null_typeES8_S8_S8_S8_S8_S8_S8_EEEEZZNS1_27merge_sort_block_merge_implIS3_NS6_6detail15normal_iteratorINS6_10device_ptrIjEEEENSD_INSE_IS9_EEEEjNS1_19radix_merge_compareILb0ELb0EjNS0_19identity_decomposerEEEEE10hipError_tT0_T1_T2_jT3_P12ihipStream_tbPNSt15iterator_traitsISN_E10value_typeEPNST_ISO_E10value_typeEPSP_NS1_7vsmem_tEENKUlT_SN_SO_SP_E_clIPjSG_PS9_SI_EESM_S12_SN_SO_SP_EUlS12_E0_NS1_11comp_targetILNS1_3genE0ELNS1_11target_archE4294967295ELNS1_3gpuE0ELNS1_3repE0EEENS1_38merge_mergepath_config_static_selectorELNS0_4arch9wavefront6targetE0EEEvSO_,@function
_ZN7rocprim17ROCPRIM_400000_NS6detail17trampoline_kernelINS0_14default_configENS1_38merge_sort_block_merge_config_selectorIjN6thrust23THRUST_200600_302600_NS5tupleIffNS6_9null_typeES8_S8_S8_S8_S8_S8_S8_EEEEZZNS1_27merge_sort_block_merge_implIS3_NS6_6detail15normal_iteratorINS6_10device_ptrIjEEEENSD_INSE_IS9_EEEEjNS1_19radix_merge_compareILb0ELb0EjNS0_19identity_decomposerEEEEE10hipError_tT0_T1_T2_jT3_P12ihipStream_tbPNSt15iterator_traitsISN_E10value_typeEPNST_ISO_E10value_typeEPSP_NS1_7vsmem_tEENKUlT_SN_SO_SP_E_clIPjSG_PS9_SI_EESM_S12_SN_SO_SP_EUlS12_E0_NS1_11comp_targetILNS1_3genE0ELNS1_11target_archE4294967295ELNS1_3gpuE0ELNS1_3repE0EEENS1_38merge_mergepath_config_static_selectorELNS0_4arch9wavefront6targetE0EEEvSO_: ; @_ZN7rocprim17ROCPRIM_400000_NS6detail17trampoline_kernelINS0_14default_configENS1_38merge_sort_block_merge_config_selectorIjN6thrust23THRUST_200600_302600_NS5tupleIffNS6_9null_typeES8_S8_S8_S8_S8_S8_S8_EEEEZZNS1_27merge_sort_block_merge_implIS3_NS6_6detail15normal_iteratorINS6_10device_ptrIjEEEENSD_INSE_IS9_EEEEjNS1_19radix_merge_compareILb0ELb0EjNS0_19identity_decomposerEEEEE10hipError_tT0_T1_T2_jT3_P12ihipStream_tbPNSt15iterator_traitsISN_E10value_typeEPNST_ISO_E10value_typeEPSP_NS1_7vsmem_tEENKUlT_SN_SO_SP_E_clIPjSG_PS9_SI_EESM_S12_SN_SO_SP_EUlS12_E0_NS1_11comp_targetILNS1_3genE0ELNS1_11target_archE4294967295ELNS1_3gpuE0ELNS1_3repE0EEENS1_38merge_mergepath_config_static_selectorELNS0_4arch9wavefront6targetE0EEEvSO_
; %bb.0:
	.section	.rodata,"a",@progbits
	.p2align	6, 0x0
	.amdhsa_kernel _ZN7rocprim17ROCPRIM_400000_NS6detail17trampoline_kernelINS0_14default_configENS1_38merge_sort_block_merge_config_selectorIjN6thrust23THRUST_200600_302600_NS5tupleIffNS6_9null_typeES8_S8_S8_S8_S8_S8_S8_EEEEZZNS1_27merge_sort_block_merge_implIS3_NS6_6detail15normal_iteratorINS6_10device_ptrIjEEEENSD_INSE_IS9_EEEEjNS1_19radix_merge_compareILb0ELb0EjNS0_19identity_decomposerEEEEE10hipError_tT0_T1_T2_jT3_P12ihipStream_tbPNSt15iterator_traitsISN_E10value_typeEPNST_ISO_E10value_typeEPSP_NS1_7vsmem_tEENKUlT_SN_SO_SP_E_clIPjSG_PS9_SI_EESM_S12_SN_SO_SP_EUlS12_E0_NS1_11comp_targetILNS1_3genE0ELNS1_11target_archE4294967295ELNS1_3gpuE0ELNS1_3repE0EEENS1_38merge_mergepath_config_static_selectorELNS0_4arch9wavefront6targetE0EEEvSO_
		.amdhsa_group_segment_fixed_size 0
		.amdhsa_private_segment_fixed_size 0
		.amdhsa_kernarg_size 64
		.amdhsa_user_sgpr_count 6
		.amdhsa_user_sgpr_private_segment_buffer 1
		.amdhsa_user_sgpr_dispatch_ptr 0
		.amdhsa_user_sgpr_queue_ptr 0
		.amdhsa_user_sgpr_kernarg_segment_ptr 1
		.amdhsa_user_sgpr_dispatch_id 0
		.amdhsa_user_sgpr_flat_scratch_init 0
		.amdhsa_user_sgpr_private_segment_size 0
		.amdhsa_wavefront_size32 1
		.amdhsa_uses_dynamic_stack 0
		.amdhsa_system_sgpr_private_segment_wavefront_offset 0
		.amdhsa_system_sgpr_workgroup_id_x 1
		.amdhsa_system_sgpr_workgroup_id_y 0
		.amdhsa_system_sgpr_workgroup_id_z 0
		.amdhsa_system_sgpr_workgroup_info 0
		.amdhsa_system_vgpr_workitem_id 0
		.amdhsa_next_free_vgpr 1
		.amdhsa_next_free_sgpr 1
		.amdhsa_reserve_vcc 0
		.amdhsa_reserve_flat_scratch 0
		.amdhsa_float_round_mode_32 0
		.amdhsa_float_round_mode_16_64 0
		.amdhsa_float_denorm_mode_32 3
		.amdhsa_float_denorm_mode_16_64 3
		.amdhsa_dx10_clamp 1
		.amdhsa_ieee_mode 1
		.amdhsa_fp16_overflow 0
		.amdhsa_workgroup_processor_mode 1
		.amdhsa_memory_ordered 1
		.amdhsa_forward_progress 1
		.amdhsa_shared_vgpr_count 0
		.amdhsa_exception_fp_ieee_invalid_op 0
		.amdhsa_exception_fp_denorm_src 0
		.amdhsa_exception_fp_ieee_div_zero 0
		.amdhsa_exception_fp_ieee_overflow 0
		.amdhsa_exception_fp_ieee_underflow 0
		.amdhsa_exception_fp_ieee_inexact 0
		.amdhsa_exception_int_div_zero 0
	.end_amdhsa_kernel
	.section	.text._ZN7rocprim17ROCPRIM_400000_NS6detail17trampoline_kernelINS0_14default_configENS1_38merge_sort_block_merge_config_selectorIjN6thrust23THRUST_200600_302600_NS5tupleIffNS6_9null_typeES8_S8_S8_S8_S8_S8_S8_EEEEZZNS1_27merge_sort_block_merge_implIS3_NS6_6detail15normal_iteratorINS6_10device_ptrIjEEEENSD_INSE_IS9_EEEEjNS1_19radix_merge_compareILb0ELb0EjNS0_19identity_decomposerEEEEE10hipError_tT0_T1_T2_jT3_P12ihipStream_tbPNSt15iterator_traitsISN_E10value_typeEPNST_ISO_E10value_typeEPSP_NS1_7vsmem_tEENKUlT_SN_SO_SP_E_clIPjSG_PS9_SI_EESM_S12_SN_SO_SP_EUlS12_E0_NS1_11comp_targetILNS1_3genE0ELNS1_11target_archE4294967295ELNS1_3gpuE0ELNS1_3repE0EEENS1_38merge_mergepath_config_static_selectorELNS0_4arch9wavefront6targetE0EEEvSO_,"axG",@progbits,_ZN7rocprim17ROCPRIM_400000_NS6detail17trampoline_kernelINS0_14default_configENS1_38merge_sort_block_merge_config_selectorIjN6thrust23THRUST_200600_302600_NS5tupleIffNS6_9null_typeES8_S8_S8_S8_S8_S8_S8_EEEEZZNS1_27merge_sort_block_merge_implIS3_NS6_6detail15normal_iteratorINS6_10device_ptrIjEEEENSD_INSE_IS9_EEEEjNS1_19radix_merge_compareILb0ELb0EjNS0_19identity_decomposerEEEEE10hipError_tT0_T1_T2_jT3_P12ihipStream_tbPNSt15iterator_traitsISN_E10value_typeEPNST_ISO_E10value_typeEPSP_NS1_7vsmem_tEENKUlT_SN_SO_SP_E_clIPjSG_PS9_SI_EESM_S12_SN_SO_SP_EUlS12_E0_NS1_11comp_targetILNS1_3genE0ELNS1_11target_archE4294967295ELNS1_3gpuE0ELNS1_3repE0EEENS1_38merge_mergepath_config_static_selectorELNS0_4arch9wavefront6targetE0EEEvSO_,comdat
.Lfunc_end33:
	.size	_ZN7rocprim17ROCPRIM_400000_NS6detail17trampoline_kernelINS0_14default_configENS1_38merge_sort_block_merge_config_selectorIjN6thrust23THRUST_200600_302600_NS5tupleIffNS6_9null_typeES8_S8_S8_S8_S8_S8_S8_EEEEZZNS1_27merge_sort_block_merge_implIS3_NS6_6detail15normal_iteratorINS6_10device_ptrIjEEEENSD_INSE_IS9_EEEEjNS1_19radix_merge_compareILb0ELb0EjNS0_19identity_decomposerEEEEE10hipError_tT0_T1_T2_jT3_P12ihipStream_tbPNSt15iterator_traitsISN_E10value_typeEPNST_ISO_E10value_typeEPSP_NS1_7vsmem_tEENKUlT_SN_SO_SP_E_clIPjSG_PS9_SI_EESM_S12_SN_SO_SP_EUlS12_E0_NS1_11comp_targetILNS1_3genE0ELNS1_11target_archE4294967295ELNS1_3gpuE0ELNS1_3repE0EEENS1_38merge_mergepath_config_static_selectorELNS0_4arch9wavefront6targetE0EEEvSO_, .Lfunc_end33-_ZN7rocprim17ROCPRIM_400000_NS6detail17trampoline_kernelINS0_14default_configENS1_38merge_sort_block_merge_config_selectorIjN6thrust23THRUST_200600_302600_NS5tupleIffNS6_9null_typeES8_S8_S8_S8_S8_S8_S8_EEEEZZNS1_27merge_sort_block_merge_implIS3_NS6_6detail15normal_iteratorINS6_10device_ptrIjEEEENSD_INSE_IS9_EEEEjNS1_19radix_merge_compareILb0ELb0EjNS0_19identity_decomposerEEEEE10hipError_tT0_T1_T2_jT3_P12ihipStream_tbPNSt15iterator_traitsISN_E10value_typeEPNST_ISO_E10value_typeEPSP_NS1_7vsmem_tEENKUlT_SN_SO_SP_E_clIPjSG_PS9_SI_EESM_S12_SN_SO_SP_EUlS12_E0_NS1_11comp_targetILNS1_3genE0ELNS1_11target_archE4294967295ELNS1_3gpuE0ELNS1_3repE0EEENS1_38merge_mergepath_config_static_selectorELNS0_4arch9wavefront6targetE0EEEvSO_
                                        ; -- End function
	.set _ZN7rocprim17ROCPRIM_400000_NS6detail17trampoline_kernelINS0_14default_configENS1_38merge_sort_block_merge_config_selectorIjN6thrust23THRUST_200600_302600_NS5tupleIffNS6_9null_typeES8_S8_S8_S8_S8_S8_S8_EEEEZZNS1_27merge_sort_block_merge_implIS3_NS6_6detail15normal_iteratorINS6_10device_ptrIjEEEENSD_INSE_IS9_EEEEjNS1_19radix_merge_compareILb0ELb0EjNS0_19identity_decomposerEEEEE10hipError_tT0_T1_T2_jT3_P12ihipStream_tbPNSt15iterator_traitsISN_E10value_typeEPNST_ISO_E10value_typeEPSP_NS1_7vsmem_tEENKUlT_SN_SO_SP_E_clIPjSG_PS9_SI_EESM_S12_SN_SO_SP_EUlS12_E0_NS1_11comp_targetILNS1_3genE0ELNS1_11target_archE4294967295ELNS1_3gpuE0ELNS1_3repE0EEENS1_38merge_mergepath_config_static_selectorELNS0_4arch9wavefront6targetE0EEEvSO_.num_vgpr, 0
	.set _ZN7rocprim17ROCPRIM_400000_NS6detail17trampoline_kernelINS0_14default_configENS1_38merge_sort_block_merge_config_selectorIjN6thrust23THRUST_200600_302600_NS5tupleIffNS6_9null_typeES8_S8_S8_S8_S8_S8_S8_EEEEZZNS1_27merge_sort_block_merge_implIS3_NS6_6detail15normal_iteratorINS6_10device_ptrIjEEEENSD_INSE_IS9_EEEEjNS1_19radix_merge_compareILb0ELb0EjNS0_19identity_decomposerEEEEE10hipError_tT0_T1_T2_jT3_P12ihipStream_tbPNSt15iterator_traitsISN_E10value_typeEPNST_ISO_E10value_typeEPSP_NS1_7vsmem_tEENKUlT_SN_SO_SP_E_clIPjSG_PS9_SI_EESM_S12_SN_SO_SP_EUlS12_E0_NS1_11comp_targetILNS1_3genE0ELNS1_11target_archE4294967295ELNS1_3gpuE0ELNS1_3repE0EEENS1_38merge_mergepath_config_static_selectorELNS0_4arch9wavefront6targetE0EEEvSO_.num_agpr, 0
	.set _ZN7rocprim17ROCPRIM_400000_NS6detail17trampoline_kernelINS0_14default_configENS1_38merge_sort_block_merge_config_selectorIjN6thrust23THRUST_200600_302600_NS5tupleIffNS6_9null_typeES8_S8_S8_S8_S8_S8_S8_EEEEZZNS1_27merge_sort_block_merge_implIS3_NS6_6detail15normal_iteratorINS6_10device_ptrIjEEEENSD_INSE_IS9_EEEEjNS1_19radix_merge_compareILb0ELb0EjNS0_19identity_decomposerEEEEE10hipError_tT0_T1_T2_jT3_P12ihipStream_tbPNSt15iterator_traitsISN_E10value_typeEPNST_ISO_E10value_typeEPSP_NS1_7vsmem_tEENKUlT_SN_SO_SP_E_clIPjSG_PS9_SI_EESM_S12_SN_SO_SP_EUlS12_E0_NS1_11comp_targetILNS1_3genE0ELNS1_11target_archE4294967295ELNS1_3gpuE0ELNS1_3repE0EEENS1_38merge_mergepath_config_static_selectorELNS0_4arch9wavefront6targetE0EEEvSO_.numbered_sgpr, 0
	.set _ZN7rocprim17ROCPRIM_400000_NS6detail17trampoline_kernelINS0_14default_configENS1_38merge_sort_block_merge_config_selectorIjN6thrust23THRUST_200600_302600_NS5tupleIffNS6_9null_typeES8_S8_S8_S8_S8_S8_S8_EEEEZZNS1_27merge_sort_block_merge_implIS3_NS6_6detail15normal_iteratorINS6_10device_ptrIjEEEENSD_INSE_IS9_EEEEjNS1_19radix_merge_compareILb0ELb0EjNS0_19identity_decomposerEEEEE10hipError_tT0_T1_T2_jT3_P12ihipStream_tbPNSt15iterator_traitsISN_E10value_typeEPNST_ISO_E10value_typeEPSP_NS1_7vsmem_tEENKUlT_SN_SO_SP_E_clIPjSG_PS9_SI_EESM_S12_SN_SO_SP_EUlS12_E0_NS1_11comp_targetILNS1_3genE0ELNS1_11target_archE4294967295ELNS1_3gpuE0ELNS1_3repE0EEENS1_38merge_mergepath_config_static_selectorELNS0_4arch9wavefront6targetE0EEEvSO_.num_named_barrier, 0
	.set _ZN7rocprim17ROCPRIM_400000_NS6detail17trampoline_kernelINS0_14default_configENS1_38merge_sort_block_merge_config_selectorIjN6thrust23THRUST_200600_302600_NS5tupleIffNS6_9null_typeES8_S8_S8_S8_S8_S8_S8_EEEEZZNS1_27merge_sort_block_merge_implIS3_NS6_6detail15normal_iteratorINS6_10device_ptrIjEEEENSD_INSE_IS9_EEEEjNS1_19radix_merge_compareILb0ELb0EjNS0_19identity_decomposerEEEEE10hipError_tT0_T1_T2_jT3_P12ihipStream_tbPNSt15iterator_traitsISN_E10value_typeEPNST_ISO_E10value_typeEPSP_NS1_7vsmem_tEENKUlT_SN_SO_SP_E_clIPjSG_PS9_SI_EESM_S12_SN_SO_SP_EUlS12_E0_NS1_11comp_targetILNS1_3genE0ELNS1_11target_archE4294967295ELNS1_3gpuE0ELNS1_3repE0EEENS1_38merge_mergepath_config_static_selectorELNS0_4arch9wavefront6targetE0EEEvSO_.private_seg_size, 0
	.set _ZN7rocprim17ROCPRIM_400000_NS6detail17trampoline_kernelINS0_14default_configENS1_38merge_sort_block_merge_config_selectorIjN6thrust23THRUST_200600_302600_NS5tupleIffNS6_9null_typeES8_S8_S8_S8_S8_S8_S8_EEEEZZNS1_27merge_sort_block_merge_implIS3_NS6_6detail15normal_iteratorINS6_10device_ptrIjEEEENSD_INSE_IS9_EEEEjNS1_19radix_merge_compareILb0ELb0EjNS0_19identity_decomposerEEEEE10hipError_tT0_T1_T2_jT3_P12ihipStream_tbPNSt15iterator_traitsISN_E10value_typeEPNST_ISO_E10value_typeEPSP_NS1_7vsmem_tEENKUlT_SN_SO_SP_E_clIPjSG_PS9_SI_EESM_S12_SN_SO_SP_EUlS12_E0_NS1_11comp_targetILNS1_3genE0ELNS1_11target_archE4294967295ELNS1_3gpuE0ELNS1_3repE0EEENS1_38merge_mergepath_config_static_selectorELNS0_4arch9wavefront6targetE0EEEvSO_.uses_vcc, 0
	.set _ZN7rocprim17ROCPRIM_400000_NS6detail17trampoline_kernelINS0_14default_configENS1_38merge_sort_block_merge_config_selectorIjN6thrust23THRUST_200600_302600_NS5tupleIffNS6_9null_typeES8_S8_S8_S8_S8_S8_S8_EEEEZZNS1_27merge_sort_block_merge_implIS3_NS6_6detail15normal_iteratorINS6_10device_ptrIjEEEENSD_INSE_IS9_EEEEjNS1_19radix_merge_compareILb0ELb0EjNS0_19identity_decomposerEEEEE10hipError_tT0_T1_T2_jT3_P12ihipStream_tbPNSt15iterator_traitsISN_E10value_typeEPNST_ISO_E10value_typeEPSP_NS1_7vsmem_tEENKUlT_SN_SO_SP_E_clIPjSG_PS9_SI_EESM_S12_SN_SO_SP_EUlS12_E0_NS1_11comp_targetILNS1_3genE0ELNS1_11target_archE4294967295ELNS1_3gpuE0ELNS1_3repE0EEENS1_38merge_mergepath_config_static_selectorELNS0_4arch9wavefront6targetE0EEEvSO_.uses_flat_scratch, 0
	.set _ZN7rocprim17ROCPRIM_400000_NS6detail17trampoline_kernelINS0_14default_configENS1_38merge_sort_block_merge_config_selectorIjN6thrust23THRUST_200600_302600_NS5tupleIffNS6_9null_typeES8_S8_S8_S8_S8_S8_S8_EEEEZZNS1_27merge_sort_block_merge_implIS3_NS6_6detail15normal_iteratorINS6_10device_ptrIjEEEENSD_INSE_IS9_EEEEjNS1_19radix_merge_compareILb0ELb0EjNS0_19identity_decomposerEEEEE10hipError_tT0_T1_T2_jT3_P12ihipStream_tbPNSt15iterator_traitsISN_E10value_typeEPNST_ISO_E10value_typeEPSP_NS1_7vsmem_tEENKUlT_SN_SO_SP_E_clIPjSG_PS9_SI_EESM_S12_SN_SO_SP_EUlS12_E0_NS1_11comp_targetILNS1_3genE0ELNS1_11target_archE4294967295ELNS1_3gpuE0ELNS1_3repE0EEENS1_38merge_mergepath_config_static_selectorELNS0_4arch9wavefront6targetE0EEEvSO_.has_dyn_sized_stack, 0
	.set _ZN7rocprim17ROCPRIM_400000_NS6detail17trampoline_kernelINS0_14default_configENS1_38merge_sort_block_merge_config_selectorIjN6thrust23THRUST_200600_302600_NS5tupleIffNS6_9null_typeES8_S8_S8_S8_S8_S8_S8_EEEEZZNS1_27merge_sort_block_merge_implIS3_NS6_6detail15normal_iteratorINS6_10device_ptrIjEEEENSD_INSE_IS9_EEEEjNS1_19radix_merge_compareILb0ELb0EjNS0_19identity_decomposerEEEEE10hipError_tT0_T1_T2_jT3_P12ihipStream_tbPNSt15iterator_traitsISN_E10value_typeEPNST_ISO_E10value_typeEPSP_NS1_7vsmem_tEENKUlT_SN_SO_SP_E_clIPjSG_PS9_SI_EESM_S12_SN_SO_SP_EUlS12_E0_NS1_11comp_targetILNS1_3genE0ELNS1_11target_archE4294967295ELNS1_3gpuE0ELNS1_3repE0EEENS1_38merge_mergepath_config_static_selectorELNS0_4arch9wavefront6targetE0EEEvSO_.has_recursion, 0
	.set _ZN7rocprim17ROCPRIM_400000_NS6detail17trampoline_kernelINS0_14default_configENS1_38merge_sort_block_merge_config_selectorIjN6thrust23THRUST_200600_302600_NS5tupleIffNS6_9null_typeES8_S8_S8_S8_S8_S8_S8_EEEEZZNS1_27merge_sort_block_merge_implIS3_NS6_6detail15normal_iteratorINS6_10device_ptrIjEEEENSD_INSE_IS9_EEEEjNS1_19radix_merge_compareILb0ELb0EjNS0_19identity_decomposerEEEEE10hipError_tT0_T1_T2_jT3_P12ihipStream_tbPNSt15iterator_traitsISN_E10value_typeEPNST_ISO_E10value_typeEPSP_NS1_7vsmem_tEENKUlT_SN_SO_SP_E_clIPjSG_PS9_SI_EESM_S12_SN_SO_SP_EUlS12_E0_NS1_11comp_targetILNS1_3genE0ELNS1_11target_archE4294967295ELNS1_3gpuE0ELNS1_3repE0EEENS1_38merge_mergepath_config_static_selectorELNS0_4arch9wavefront6targetE0EEEvSO_.has_indirect_call, 0
	.section	.AMDGPU.csdata,"",@progbits
; Kernel info:
; codeLenInByte = 0
; TotalNumSgprs: 0
; NumVgprs: 0
; ScratchSize: 0
; MemoryBound: 0
; FloatMode: 240
; IeeeMode: 1
; LDSByteSize: 0 bytes/workgroup (compile time only)
; SGPRBlocks: 0
; VGPRBlocks: 0
; NumSGPRsForWavesPerEU: 1
; NumVGPRsForWavesPerEU: 1
; Occupancy: 16
; WaveLimiterHint : 0
; COMPUTE_PGM_RSRC2:SCRATCH_EN: 0
; COMPUTE_PGM_RSRC2:USER_SGPR: 6
; COMPUTE_PGM_RSRC2:TRAP_HANDLER: 0
; COMPUTE_PGM_RSRC2:TGID_X_EN: 1
; COMPUTE_PGM_RSRC2:TGID_Y_EN: 0
; COMPUTE_PGM_RSRC2:TGID_Z_EN: 0
; COMPUTE_PGM_RSRC2:TIDIG_COMP_CNT: 0
	.section	.text._ZN7rocprim17ROCPRIM_400000_NS6detail17trampoline_kernelINS0_14default_configENS1_38merge_sort_block_merge_config_selectorIjN6thrust23THRUST_200600_302600_NS5tupleIffNS6_9null_typeES8_S8_S8_S8_S8_S8_S8_EEEEZZNS1_27merge_sort_block_merge_implIS3_NS6_6detail15normal_iteratorINS6_10device_ptrIjEEEENSD_INSE_IS9_EEEEjNS1_19radix_merge_compareILb0ELb0EjNS0_19identity_decomposerEEEEE10hipError_tT0_T1_T2_jT3_P12ihipStream_tbPNSt15iterator_traitsISN_E10value_typeEPNST_ISO_E10value_typeEPSP_NS1_7vsmem_tEENKUlT_SN_SO_SP_E_clIPjSG_PS9_SI_EESM_S12_SN_SO_SP_EUlS12_E0_NS1_11comp_targetILNS1_3genE10ELNS1_11target_archE1201ELNS1_3gpuE5ELNS1_3repE0EEENS1_38merge_mergepath_config_static_selectorELNS0_4arch9wavefront6targetE0EEEvSO_,"axG",@progbits,_ZN7rocprim17ROCPRIM_400000_NS6detail17trampoline_kernelINS0_14default_configENS1_38merge_sort_block_merge_config_selectorIjN6thrust23THRUST_200600_302600_NS5tupleIffNS6_9null_typeES8_S8_S8_S8_S8_S8_S8_EEEEZZNS1_27merge_sort_block_merge_implIS3_NS6_6detail15normal_iteratorINS6_10device_ptrIjEEEENSD_INSE_IS9_EEEEjNS1_19radix_merge_compareILb0ELb0EjNS0_19identity_decomposerEEEEE10hipError_tT0_T1_T2_jT3_P12ihipStream_tbPNSt15iterator_traitsISN_E10value_typeEPNST_ISO_E10value_typeEPSP_NS1_7vsmem_tEENKUlT_SN_SO_SP_E_clIPjSG_PS9_SI_EESM_S12_SN_SO_SP_EUlS12_E0_NS1_11comp_targetILNS1_3genE10ELNS1_11target_archE1201ELNS1_3gpuE5ELNS1_3repE0EEENS1_38merge_mergepath_config_static_selectorELNS0_4arch9wavefront6targetE0EEEvSO_,comdat
	.protected	_ZN7rocprim17ROCPRIM_400000_NS6detail17trampoline_kernelINS0_14default_configENS1_38merge_sort_block_merge_config_selectorIjN6thrust23THRUST_200600_302600_NS5tupleIffNS6_9null_typeES8_S8_S8_S8_S8_S8_S8_EEEEZZNS1_27merge_sort_block_merge_implIS3_NS6_6detail15normal_iteratorINS6_10device_ptrIjEEEENSD_INSE_IS9_EEEEjNS1_19radix_merge_compareILb0ELb0EjNS0_19identity_decomposerEEEEE10hipError_tT0_T1_T2_jT3_P12ihipStream_tbPNSt15iterator_traitsISN_E10value_typeEPNST_ISO_E10value_typeEPSP_NS1_7vsmem_tEENKUlT_SN_SO_SP_E_clIPjSG_PS9_SI_EESM_S12_SN_SO_SP_EUlS12_E0_NS1_11comp_targetILNS1_3genE10ELNS1_11target_archE1201ELNS1_3gpuE5ELNS1_3repE0EEENS1_38merge_mergepath_config_static_selectorELNS0_4arch9wavefront6targetE0EEEvSO_ ; -- Begin function _ZN7rocprim17ROCPRIM_400000_NS6detail17trampoline_kernelINS0_14default_configENS1_38merge_sort_block_merge_config_selectorIjN6thrust23THRUST_200600_302600_NS5tupleIffNS6_9null_typeES8_S8_S8_S8_S8_S8_S8_EEEEZZNS1_27merge_sort_block_merge_implIS3_NS6_6detail15normal_iteratorINS6_10device_ptrIjEEEENSD_INSE_IS9_EEEEjNS1_19radix_merge_compareILb0ELb0EjNS0_19identity_decomposerEEEEE10hipError_tT0_T1_T2_jT3_P12ihipStream_tbPNSt15iterator_traitsISN_E10value_typeEPNST_ISO_E10value_typeEPSP_NS1_7vsmem_tEENKUlT_SN_SO_SP_E_clIPjSG_PS9_SI_EESM_S12_SN_SO_SP_EUlS12_E0_NS1_11comp_targetILNS1_3genE10ELNS1_11target_archE1201ELNS1_3gpuE5ELNS1_3repE0EEENS1_38merge_mergepath_config_static_selectorELNS0_4arch9wavefront6targetE0EEEvSO_
	.globl	_ZN7rocprim17ROCPRIM_400000_NS6detail17trampoline_kernelINS0_14default_configENS1_38merge_sort_block_merge_config_selectorIjN6thrust23THRUST_200600_302600_NS5tupleIffNS6_9null_typeES8_S8_S8_S8_S8_S8_S8_EEEEZZNS1_27merge_sort_block_merge_implIS3_NS6_6detail15normal_iteratorINS6_10device_ptrIjEEEENSD_INSE_IS9_EEEEjNS1_19radix_merge_compareILb0ELb0EjNS0_19identity_decomposerEEEEE10hipError_tT0_T1_T2_jT3_P12ihipStream_tbPNSt15iterator_traitsISN_E10value_typeEPNST_ISO_E10value_typeEPSP_NS1_7vsmem_tEENKUlT_SN_SO_SP_E_clIPjSG_PS9_SI_EESM_S12_SN_SO_SP_EUlS12_E0_NS1_11comp_targetILNS1_3genE10ELNS1_11target_archE1201ELNS1_3gpuE5ELNS1_3repE0EEENS1_38merge_mergepath_config_static_selectorELNS0_4arch9wavefront6targetE0EEEvSO_
	.p2align	8
	.type	_ZN7rocprim17ROCPRIM_400000_NS6detail17trampoline_kernelINS0_14default_configENS1_38merge_sort_block_merge_config_selectorIjN6thrust23THRUST_200600_302600_NS5tupleIffNS6_9null_typeES8_S8_S8_S8_S8_S8_S8_EEEEZZNS1_27merge_sort_block_merge_implIS3_NS6_6detail15normal_iteratorINS6_10device_ptrIjEEEENSD_INSE_IS9_EEEEjNS1_19radix_merge_compareILb0ELb0EjNS0_19identity_decomposerEEEEE10hipError_tT0_T1_T2_jT3_P12ihipStream_tbPNSt15iterator_traitsISN_E10value_typeEPNST_ISO_E10value_typeEPSP_NS1_7vsmem_tEENKUlT_SN_SO_SP_E_clIPjSG_PS9_SI_EESM_S12_SN_SO_SP_EUlS12_E0_NS1_11comp_targetILNS1_3genE10ELNS1_11target_archE1201ELNS1_3gpuE5ELNS1_3repE0EEENS1_38merge_mergepath_config_static_selectorELNS0_4arch9wavefront6targetE0EEEvSO_,@function
_ZN7rocprim17ROCPRIM_400000_NS6detail17trampoline_kernelINS0_14default_configENS1_38merge_sort_block_merge_config_selectorIjN6thrust23THRUST_200600_302600_NS5tupleIffNS6_9null_typeES8_S8_S8_S8_S8_S8_S8_EEEEZZNS1_27merge_sort_block_merge_implIS3_NS6_6detail15normal_iteratorINS6_10device_ptrIjEEEENSD_INSE_IS9_EEEEjNS1_19radix_merge_compareILb0ELb0EjNS0_19identity_decomposerEEEEE10hipError_tT0_T1_T2_jT3_P12ihipStream_tbPNSt15iterator_traitsISN_E10value_typeEPNST_ISO_E10value_typeEPSP_NS1_7vsmem_tEENKUlT_SN_SO_SP_E_clIPjSG_PS9_SI_EESM_S12_SN_SO_SP_EUlS12_E0_NS1_11comp_targetILNS1_3genE10ELNS1_11target_archE1201ELNS1_3gpuE5ELNS1_3repE0EEENS1_38merge_mergepath_config_static_selectorELNS0_4arch9wavefront6targetE0EEEvSO_: ; @_ZN7rocprim17ROCPRIM_400000_NS6detail17trampoline_kernelINS0_14default_configENS1_38merge_sort_block_merge_config_selectorIjN6thrust23THRUST_200600_302600_NS5tupleIffNS6_9null_typeES8_S8_S8_S8_S8_S8_S8_EEEEZZNS1_27merge_sort_block_merge_implIS3_NS6_6detail15normal_iteratorINS6_10device_ptrIjEEEENSD_INSE_IS9_EEEEjNS1_19radix_merge_compareILb0ELb0EjNS0_19identity_decomposerEEEEE10hipError_tT0_T1_T2_jT3_P12ihipStream_tbPNSt15iterator_traitsISN_E10value_typeEPNST_ISO_E10value_typeEPSP_NS1_7vsmem_tEENKUlT_SN_SO_SP_E_clIPjSG_PS9_SI_EESM_S12_SN_SO_SP_EUlS12_E0_NS1_11comp_targetILNS1_3genE10ELNS1_11target_archE1201ELNS1_3gpuE5ELNS1_3repE0EEENS1_38merge_mergepath_config_static_selectorELNS0_4arch9wavefront6targetE0EEEvSO_
; %bb.0:
	.section	.rodata,"a",@progbits
	.p2align	6, 0x0
	.amdhsa_kernel _ZN7rocprim17ROCPRIM_400000_NS6detail17trampoline_kernelINS0_14default_configENS1_38merge_sort_block_merge_config_selectorIjN6thrust23THRUST_200600_302600_NS5tupleIffNS6_9null_typeES8_S8_S8_S8_S8_S8_S8_EEEEZZNS1_27merge_sort_block_merge_implIS3_NS6_6detail15normal_iteratorINS6_10device_ptrIjEEEENSD_INSE_IS9_EEEEjNS1_19radix_merge_compareILb0ELb0EjNS0_19identity_decomposerEEEEE10hipError_tT0_T1_T2_jT3_P12ihipStream_tbPNSt15iterator_traitsISN_E10value_typeEPNST_ISO_E10value_typeEPSP_NS1_7vsmem_tEENKUlT_SN_SO_SP_E_clIPjSG_PS9_SI_EESM_S12_SN_SO_SP_EUlS12_E0_NS1_11comp_targetILNS1_3genE10ELNS1_11target_archE1201ELNS1_3gpuE5ELNS1_3repE0EEENS1_38merge_mergepath_config_static_selectorELNS0_4arch9wavefront6targetE0EEEvSO_
		.amdhsa_group_segment_fixed_size 0
		.amdhsa_private_segment_fixed_size 0
		.amdhsa_kernarg_size 64
		.amdhsa_user_sgpr_count 6
		.amdhsa_user_sgpr_private_segment_buffer 1
		.amdhsa_user_sgpr_dispatch_ptr 0
		.amdhsa_user_sgpr_queue_ptr 0
		.amdhsa_user_sgpr_kernarg_segment_ptr 1
		.amdhsa_user_sgpr_dispatch_id 0
		.amdhsa_user_sgpr_flat_scratch_init 0
		.amdhsa_user_sgpr_private_segment_size 0
		.amdhsa_wavefront_size32 1
		.amdhsa_uses_dynamic_stack 0
		.amdhsa_system_sgpr_private_segment_wavefront_offset 0
		.amdhsa_system_sgpr_workgroup_id_x 1
		.amdhsa_system_sgpr_workgroup_id_y 0
		.amdhsa_system_sgpr_workgroup_id_z 0
		.amdhsa_system_sgpr_workgroup_info 0
		.amdhsa_system_vgpr_workitem_id 0
		.amdhsa_next_free_vgpr 1
		.amdhsa_next_free_sgpr 1
		.amdhsa_reserve_vcc 0
		.amdhsa_reserve_flat_scratch 0
		.amdhsa_float_round_mode_32 0
		.amdhsa_float_round_mode_16_64 0
		.amdhsa_float_denorm_mode_32 3
		.amdhsa_float_denorm_mode_16_64 3
		.amdhsa_dx10_clamp 1
		.amdhsa_ieee_mode 1
		.amdhsa_fp16_overflow 0
		.amdhsa_workgroup_processor_mode 1
		.amdhsa_memory_ordered 1
		.amdhsa_forward_progress 1
		.amdhsa_shared_vgpr_count 0
		.amdhsa_exception_fp_ieee_invalid_op 0
		.amdhsa_exception_fp_denorm_src 0
		.amdhsa_exception_fp_ieee_div_zero 0
		.amdhsa_exception_fp_ieee_overflow 0
		.amdhsa_exception_fp_ieee_underflow 0
		.amdhsa_exception_fp_ieee_inexact 0
		.amdhsa_exception_int_div_zero 0
	.end_amdhsa_kernel
	.section	.text._ZN7rocprim17ROCPRIM_400000_NS6detail17trampoline_kernelINS0_14default_configENS1_38merge_sort_block_merge_config_selectorIjN6thrust23THRUST_200600_302600_NS5tupleIffNS6_9null_typeES8_S8_S8_S8_S8_S8_S8_EEEEZZNS1_27merge_sort_block_merge_implIS3_NS6_6detail15normal_iteratorINS6_10device_ptrIjEEEENSD_INSE_IS9_EEEEjNS1_19radix_merge_compareILb0ELb0EjNS0_19identity_decomposerEEEEE10hipError_tT0_T1_T2_jT3_P12ihipStream_tbPNSt15iterator_traitsISN_E10value_typeEPNST_ISO_E10value_typeEPSP_NS1_7vsmem_tEENKUlT_SN_SO_SP_E_clIPjSG_PS9_SI_EESM_S12_SN_SO_SP_EUlS12_E0_NS1_11comp_targetILNS1_3genE10ELNS1_11target_archE1201ELNS1_3gpuE5ELNS1_3repE0EEENS1_38merge_mergepath_config_static_selectorELNS0_4arch9wavefront6targetE0EEEvSO_,"axG",@progbits,_ZN7rocprim17ROCPRIM_400000_NS6detail17trampoline_kernelINS0_14default_configENS1_38merge_sort_block_merge_config_selectorIjN6thrust23THRUST_200600_302600_NS5tupleIffNS6_9null_typeES8_S8_S8_S8_S8_S8_S8_EEEEZZNS1_27merge_sort_block_merge_implIS3_NS6_6detail15normal_iteratorINS6_10device_ptrIjEEEENSD_INSE_IS9_EEEEjNS1_19radix_merge_compareILb0ELb0EjNS0_19identity_decomposerEEEEE10hipError_tT0_T1_T2_jT3_P12ihipStream_tbPNSt15iterator_traitsISN_E10value_typeEPNST_ISO_E10value_typeEPSP_NS1_7vsmem_tEENKUlT_SN_SO_SP_E_clIPjSG_PS9_SI_EESM_S12_SN_SO_SP_EUlS12_E0_NS1_11comp_targetILNS1_3genE10ELNS1_11target_archE1201ELNS1_3gpuE5ELNS1_3repE0EEENS1_38merge_mergepath_config_static_selectorELNS0_4arch9wavefront6targetE0EEEvSO_,comdat
.Lfunc_end34:
	.size	_ZN7rocprim17ROCPRIM_400000_NS6detail17trampoline_kernelINS0_14default_configENS1_38merge_sort_block_merge_config_selectorIjN6thrust23THRUST_200600_302600_NS5tupleIffNS6_9null_typeES8_S8_S8_S8_S8_S8_S8_EEEEZZNS1_27merge_sort_block_merge_implIS3_NS6_6detail15normal_iteratorINS6_10device_ptrIjEEEENSD_INSE_IS9_EEEEjNS1_19radix_merge_compareILb0ELb0EjNS0_19identity_decomposerEEEEE10hipError_tT0_T1_T2_jT3_P12ihipStream_tbPNSt15iterator_traitsISN_E10value_typeEPNST_ISO_E10value_typeEPSP_NS1_7vsmem_tEENKUlT_SN_SO_SP_E_clIPjSG_PS9_SI_EESM_S12_SN_SO_SP_EUlS12_E0_NS1_11comp_targetILNS1_3genE10ELNS1_11target_archE1201ELNS1_3gpuE5ELNS1_3repE0EEENS1_38merge_mergepath_config_static_selectorELNS0_4arch9wavefront6targetE0EEEvSO_, .Lfunc_end34-_ZN7rocprim17ROCPRIM_400000_NS6detail17trampoline_kernelINS0_14default_configENS1_38merge_sort_block_merge_config_selectorIjN6thrust23THRUST_200600_302600_NS5tupleIffNS6_9null_typeES8_S8_S8_S8_S8_S8_S8_EEEEZZNS1_27merge_sort_block_merge_implIS3_NS6_6detail15normal_iteratorINS6_10device_ptrIjEEEENSD_INSE_IS9_EEEEjNS1_19radix_merge_compareILb0ELb0EjNS0_19identity_decomposerEEEEE10hipError_tT0_T1_T2_jT3_P12ihipStream_tbPNSt15iterator_traitsISN_E10value_typeEPNST_ISO_E10value_typeEPSP_NS1_7vsmem_tEENKUlT_SN_SO_SP_E_clIPjSG_PS9_SI_EESM_S12_SN_SO_SP_EUlS12_E0_NS1_11comp_targetILNS1_3genE10ELNS1_11target_archE1201ELNS1_3gpuE5ELNS1_3repE0EEENS1_38merge_mergepath_config_static_selectorELNS0_4arch9wavefront6targetE0EEEvSO_
                                        ; -- End function
	.set _ZN7rocprim17ROCPRIM_400000_NS6detail17trampoline_kernelINS0_14default_configENS1_38merge_sort_block_merge_config_selectorIjN6thrust23THRUST_200600_302600_NS5tupleIffNS6_9null_typeES8_S8_S8_S8_S8_S8_S8_EEEEZZNS1_27merge_sort_block_merge_implIS3_NS6_6detail15normal_iteratorINS6_10device_ptrIjEEEENSD_INSE_IS9_EEEEjNS1_19radix_merge_compareILb0ELb0EjNS0_19identity_decomposerEEEEE10hipError_tT0_T1_T2_jT3_P12ihipStream_tbPNSt15iterator_traitsISN_E10value_typeEPNST_ISO_E10value_typeEPSP_NS1_7vsmem_tEENKUlT_SN_SO_SP_E_clIPjSG_PS9_SI_EESM_S12_SN_SO_SP_EUlS12_E0_NS1_11comp_targetILNS1_3genE10ELNS1_11target_archE1201ELNS1_3gpuE5ELNS1_3repE0EEENS1_38merge_mergepath_config_static_selectorELNS0_4arch9wavefront6targetE0EEEvSO_.num_vgpr, 0
	.set _ZN7rocprim17ROCPRIM_400000_NS6detail17trampoline_kernelINS0_14default_configENS1_38merge_sort_block_merge_config_selectorIjN6thrust23THRUST_200600_302600_NS5tupleIffNS6_9null_typeES8_S8_S8_S8_S8_S8_S8_EEEEZZNS1_27merge_sort_block_merge_implIS3_NS6_6detail15normal_iteratorINS6_10device_ptrIjEEEENSD_INSE_IS9_EEEEjNS1_19radix_merge_compareILb0ELb0EjNS0_19identity_decomposerEEEEE10hipError_tT0_T1_T2_jT3_P12ihipStream_tbPNSt15iterator_traitsISN_E10value_typeEPNST_ISO_E10value_typeEPSP_NS1_7vsmem_tEENKUlT_SN_SO_SP_E_clIPjSG_PS9_SI_EESM_S12_SN_SO_SP_EUlS12_E0_NS1_11comp_targetILNS1_3genE10ELNS1_11target_archE1201ELNS1_3gpuE5ELNS1_3repE0EEENS1_38merge_mergepath_config_static_selectorELNS0_4arch9wavefront6targetE0EEEvSO_.num_agpr, 0
	.set _ZN7rocprim17ROCPRIM_400000_NS6detail17trampoline_kernelINS0_14default_configENS1_38merge_sort_block_merge_config_selectorIjN6thrust23THRUST_200600_302600_NS5tupleIffNS6_9null_typeES8_S8_S8_S8_S8_S8_S8_EEEEZZNS1_27merge_sort_block_merge_implIS3_NS6_6detail15normal_iteratorINS6_10device_ptrIjEEEENSD_INSE_IS9_EEEEjNS1_19radix_merge_compareILb0ELb0EjNS0_19identity_decomposerEEEEE10hipError_tT0_T1_T2_jT3_P12ihipStream_tbPNSt15iterator_traitsISN_E10value_typeEPNST_ISO_E10value_typeEPSP_NS1_7vsmem_tEENKUlT_SN_SO_SP_E_clIPjSG_PS9_SI_EESM_S12_SN_SO_SP_EUlS12_E0_NS1_11comp_targetILNS1_3genE10ELNS1_11target_archE1201ELNS1_3gpuE5ELNS1_3repE0EEENS1_38merge_mergepath_config_static_selectorELNS0_4arch9wavefront6targetE0EEEvSO_.numbered_sgpr, 0
	.set _ZN7rocprim17ROCPRIM_400000_NS6detail17trampoline_kernelINS0_14default_configENS1_38merge_sort_block_merge_config_selectorIjN6thrust23THRUST_200600_302600_NS5tupleIffNS6_9null_typeES8_S8_S8_S8_S8_S8_S8_EEEEZZNS1_27merge_sort_block_merge_implIS3_NS6_6detail15normal_iteratorINS6_10device_ptrIjEEEENSD_INSE_IS9_EEEEjNS1_19radix_merge_compareILb0ELb0EjNS0_19identity_decomposerEEEEE10hipError_tT0_T1_T2_jT3_P12ihipStream_tbPNSt15iterator_traitsISN_E10value_typeEPNST_ISO_E10value_typeEPSP_NS1_7vsmem_tEENKUlT_SN_SO_SP_E_clIPjSG_PS9_SI_EESM_S12_SN_SO_SP_EUlS12_E0_NS1_11comp_targetILNS1_3genE10ELNS1_11target_archE1201ELNS1_3gpuE5ELNS1_3repE0EEENS1_38merge_mergepath_config_static_selectorELNS0_4arch9wavefront6targetE0EEEvSO_.num_named_barrier, 0
	.set _ZN7rocprim17ROCPRIM_400000_NS6detail17trampoline_kernelINS0_14default_configENS1_38merge_sort_block_merge_config_selectorIjN6thrust23THRUST_200600_302600_NS5tupleIffNS6_9null_typeES8_S8_S8_S8_S8_S8_S8_EEEEZZNS1_27merge_sort_block_merge_implIS3_NS6_6detail15normal_iteratorINS6_10device_ptrIjEEEENSD_INSE_IS9_EEEEjNS1_19radix_merge_compareILb0ELb0EjNS0_19identity_decomposerEEEEE10hipError_tT0_T1_T2_jT3_P12ihipStream_tbPNSt15iterator_traitsISN_E10value_typeEPNST_ISO_E10value_typeEPSP_NS1_7vsmem_tEENKUlT_SN_SO_SP_E_clIPjSG_PS9_SI_EESM_S12_SN_SO_SP_EUlS12_E0_NS1_11comp_targetILNS1_3genE10ELNS1_11target_archE1201ELNS1_3gpuE5ELNS1_3repE0EEENS1_38merge_mergepath_config_static_selectorELNS0_4arch9wavefront6targetE0EEEvSO_.private_seg_size, 0
	.set _ZN7rocprim17ROCPRIM_400000_NS6detail17trampoline_kernelINS0_14default_configENS1_38merge_sort_block_merge_config_selectorIjN6thrust23THRUST_200600_302600_NS5tupleIffNS6_9null_typeES8_S8_S8_S8_S8_S8_S8_EEEEZZNS1_27merge_sort_block_merge_implIS3_NS6_6detail15normal_iteratorINS6_10device_ptrIjEEEENSD_INSE_IS9_EEEEjNS1_19radix_merge_compareILb0ELb0EjNS0_19identity_decomposerEEEEE10hipError_tT0_T1_T2_jT3_P12ihipStream_tbPNSt15iterator_traitsISN_E10value_typeEPNST_ISO_E10value_typeEPSP_NS1_7vsmem_tEENKUlT_SN_SO_SP_E_clIPjSG_PS9_SI_EESM_S12_SN_SO_SP_EUlS12_E0_NS1_11comp_targetILNS1_3genE10ELNS1_11target_archE1201ELNS1_3gpuE5ELNS1_3repE0EEENS1_38merge_mergepath_config_static_selectorELNS0_4arch9wavefront6targetE0EEEvSO_.uses_vcc, 0
	.set _ZN7rocprim17ROCPRIM_400000_NS6detail17trampoline_kernelINS0_14default_configENS1_38merge_sort_block_merge_config_selectorIjN6thrust23THRUST_200600_302600_NS5tupleIffNS6_9null_typeES8_S8_S8_S8_S8_S8_S8_EEEEZZNS1_27merge_sort_block_merge_implIS3_NS6_6detail15normal_iteratorINS6_10device_ptrIjEEEENSD_INSE_IS9_EEEEjNS1_19radix_merge_compareILb0ELb0EjNS0_19identity_decomposerEEEEE10hipError_tT0_T1_T2_jT3_P12ihipStream_tbPNSt15iterator_traitsISN_E10value_typeEPNST_ISO_E10value_typeEPSP_NS1_7vsmem_tEENKUlT_SN_SO_SP_E_clIPjSG_PS9_SI_EESM_S12_SN_SO_SP_EUlS12_E0_NS1_11comp_targetILNS1_3genE10ELNS1_11target_archE1201ELNS1_3gpuE5ELNS1_3repE0EEENS1_38merge_mergepath_config_static_selectorELNS0_4arch9wavefront6targetE0EEEvSO_.uses_flat_scratch, 0
	.set _ZN7rocprim17ROCPRIM_400000_NS6detail17trampoline_kernelINS0_14default_configENS1_38merge_sort_block_merge_config_selectorIjN6thrust23THRUST_200600_302600_NS5tupleIffNS6_9null_typeES8_S8_S8_S8_S8_S8_S8_EEEEZZNS1_27merge_sort_block_merge_implIS3_NS6_6detail15normal_iteratorINS6_10device_ptrIjEEEENSD_INSE_IS9_EEEEjNS1_19radix_merge_compareILb0ELb0EjNS0_19identity_decomposerEEEEE10hipError_tT0_T1_T2_jT3_P12ihipStream_tbPNSt15iterator_traitsISN_E10value_typeEPNST_ISO_E10value_typeEPSP_NS1_7vsmem_tEENKUlT_SN_SO_SP_E_clIPjSG_PS9_SI_EESM_S12_SN_SO_SP_EUlS12_E0_NS1_11comp_targetILNS1_3genE10ELNS1_11target_archE1201ELNS1_3gpuE5ELNS1_3repE0EEENS1_38merge_mergepath_config_static_selectorELNS0_4arch9wavefront6targetE0EEEvSO_.has_dyn_sized_stack, 0
	.set _ZN7rocprim17ROCPRIM_400000_NS6detail17trampoline_kernelINS0_14default_configENS1_38merge_sort_block_merge_config_selectorIjN6thrust23THRUST_200600_302600_NS5tupleIffNS6_9null_typeES8_S8_S8_S8_S8_S8_S8_EEEEZZNS1_27merge_sort_block_merge_implIS3_NS6_6detail15normal_iteratorINS6_10device_ptrIjEEEENSD_INSE_IS9_EEEEjNS1_19radix_merge_compareILb0ELb0EjNS0_19identity_decomposerEEEEE10hipError_tT0_T1_T2_jT3_P12ihipStream_tbPNSt15iterator_traitsISN_E10value_typeEPNST_ISO_E10value_typeEPSP_NS1_7vsmem_tEENKUlT_SN_SO_SP_E_clIPjSG_PS9_SI_EESM_S12_SN_SO_SP_EUlS12_E0_NS1_11comp_targetILNS1_3genE10ELNS1_11target_archE1201ELNS1_3gpuE5ELNS1_3repE0EEENS1_38merge_mergepath_config_static_selectorELNS0_4arch9wavefront6targetE0EEEvSO_.has_recursion, 0
	.set _ZN7rocprim17ROCPRIM_400000_NS6detail17trampoline_kernelINS0_14default_configENS1_38merge_sort_block_merge_config_selectorIjN6thrust23THRUST_200600_302600_NS5tupleIffNS6_9null_typeES8_S8_S8_S8_S8_S8_S8_EEEEZZNS1_27merge_sort_block_merge_implIS3_NS6_6detail15normal_iteratorINS6_10device_ptrIjEEEENSD_INSE_IS9_EEEEjNS1_19radix_merge_compareILb0ELb0EjNS0_19identity_decomposerEEEEE10hipError_tT0_T1_T2_jT3_P12ihipStream_tbPNSt15iterator_traitsISN_E10value_typeEPNST_ISO_E10value_typeEPSP_NS1_7vsmem_tEENKUlT_SN_SO_SP_E_clIPjSG_PS9_SI_EESM_S12_SN_SO_SP_EUlS12_E0_NS1_11comp_targetILNS1_3genE10ELNS1_11target_archE1201ELNS1_3gpuE5ELNS1_3repE0EEENS1_38merge_mergepath_config_static_selectorELNS0_4arch9wavefront6targetE0EEEvSO_.has_indirect_call, 0
	.section	.AMDGPU.csdata,"",@progbits
; Kernel info:
; codeLenInByte = 0
; TotalNumSgprs: 0
; NumVgprs: 0
; ScratchSize: 0
; MemoryBound: 0
; FloatMode: 240
; IeeeMode: 1
; LDSByteSize: 0 bytes/workgroup (compile time only)
; SGPRBlocks: 0
; VGPRBlocks: 0
; NumSGPRsForWavesPerEU: 1
; NumVGPRsForWavesPerEU: 1
; Occupancy: 16
; WaveLimiterHint : 0
; COMPUTE_PGM_RSRC2:SCRATCH_EN: 0
; COMPUTE_PGM_RSRC2:USER_SGPR: 6
; COMPUTE_PGM_RSRC2:TRAP_HANDLER: 0
; COMPUTE_PGM_RSRC2:TGID_X_EN: 1
; COMPUTE_PGM_RSRC2:TGID_Y_EN: 0
; COMPUTE_PGM_RSRC2:TGID_Z_EN: 0
; COMPUTE_PGM_RSRC2:TIDIG_COMP_CNT: 0
	.section	.text._ZN7rocprim17ROCPRIM_400000_NS6detail17trampoline_kernelINS0_14default_configENS1_38merge_sort_block_merge_config_selectorIjN6thrust23THRUST_200600_302600_NS5tupleIffNS6_9null_typeES8_S8_S8_S8_S8_S8_S8_EEEEZZNS1_27merge_sort_block_merge_implIS3_NS6_6detail15normal_iteratorINS6_10device_ptrIjEEEENSD_INSE_IS9_EEEEjNS1_19radix_merge_compareILb0ELb0EjNS0_19identity_decomposerEEEEE10hipError_tT0_T1_T2_jT3_P12ihipStream_tbPNSt15iterator_traitsISN_E10value_typeEPNST_ISO_E10value_typeEPSP_NS1_7vsmem_tEENKUlT_SN_SO_SP_E_clIPjSG_PS9_SI_EESM_S12_SN_SO_SP_EUlS12_E0_NS1_11comp_targetILNS1_3genE5ELNS1_11target_archE942ELNS1_3gpuE9ELNS1_3repE0EEENS1_38merge_mergepath_config_static_selectorELNS0_4arch9wavefront6targetE0EEEvSO_,"axG",@progbits,_ZN7rocprim17ROCPRIM_400000_NS6detail17trampoline_kernelINS0_14default_configENS1_38merge_sort_block_merge_config_selectorIjN6thrust23THRUST_200600_302600_NS5tupleIffNS6_9null_typeES8_S8_S8_S8_S8_S8_S8_EEEEZZNS1_27merge_sort_block_merge_implIS3_NS6_6detail15normal_iteratorINS6_10device_ptrIjEEEENSD_INSE_IS9_EEEEjNS1_19radix_merge_compareILb0ELb0EjNS0_19identity_decomposerEEEEE10hipError_tT0_T1_T2_jT3_P12ihipStream_tbPNSt15iterator_traitsISN_E10value_typeEPNST_ISO_E10value_typeEPSP_NS1_7vsmem_tEENKUlT_SN_SO_SP_E_clIPjSG_PS9_SI_EESM_S12_SN_SO_SP_EUlS12_E0_NS1_11comp_targetILNS1_3genE5ELNS1_11target_archE942ELNS1_3gpuE9ELNS1_3repE0EEENS1_38merge_mergepath_config_static_selectorELNS0_4arch9wavefront6targetE0EEEvSO_,comdat
	.protected	_ZN7rocprim17ROCPRIM_400000_NS6detail17trampoline_kernelINS0_14default_configENS1_38merge_sort_block_merge_config_selectorIjN6thrust23THRUST_200600_302600_NS5tupleIffNS6_9null_typeES8_S8_S8_S8_S8_S8_S8_EEEEZZNS1_27merge_sort_block_merge_implIS3_NS6_6detail15normal_iteratorINS6_10device_ptrIjEEEENSD_INSE_IS9_EEEEjNS1_19radix_merge_compareILb0ELb0EjNS0_19identity_decomposerEEEEE10hipError_tT0_T1_T2_jT3_P12ihipStream_tbPNSt15iterator_traitsISN_E10value_typeEPNST_ISO_E10value_typeEPSP_NS1_7vsmem_tEENKUlT_SN_SO_SP_E_clIPjSG_PS9_SI_EESM_S12_SN_SO_SP_EUlS12_E0_NS1_11comp_targetILNS1_3genE5ELNS1_11target_archE942ELNS1_3gpuE9ELNS1_3repE0EEENS1_38merge_mergepath_config_static_selectorELNS0_4arch9wavefront6targetE0EEEvSO_ ; -- Begin function _ZN7rocprim17ROCPRIM_400000_NS6detail17trampoline_kernelINS0_14default_configENS1_38merge_sort_block_merge_config_selectorIjN6thrust23THRUST_200600_302600_NS5tupleIffNS6_9null_typeES8_S8_S8_S8_S8_S8_S8_EEEEZZNS1_27merge_sort_block_merge_implIS3_NS6_6detail15normal_iteratorINS6_10device_ptrIjEEEENSD_INSE_IS9_EEEEjNS1_19radix_merge_compareILb0ELb0EjNS0_19identity_decomposerEEEEE10hipError_tT0_T1_T2_jT3_P12ihipStream_tbPNSt15iterator_traitsISN_E10value_typeEPNST_ISO_E10value_typeEPSP_NS1_7vsmem_tEENKUlT_SN_SO_SP_E_clIPjSG_PS9_SI_EESM_S12_SN_SO_SP_EUlS12_E0_NS1_11comp_targetILNS1_3genE5ELNS1_11target_archE942ELNS1_3gpuE9ELNS1_3repE0EEENS1_38merge_mergepath_config_static_selectorELNS0_4arch9wavefront6targetE0EEEvSO_
	.globl	_ZN7rocprim17ROCPRIM_400000_NS6detail17trampoline_kernelINS0_14default_configENS1_38merge_sort_block_merge_config_selectorIjN6thrust23THRUST_200600_302600_NS5tupleIffNS6_9null_typeES8_S8_S8_S8_S8_S8_S8_EEEEZZNS1_27merge_sort_block_merge_implIS3_NS6_6detail15normal_iteratorINS6_10device_ptrIjEEEENSD_INSE_IS9_EEEEjNS1_19radix_merge_compareILb0ELb0EjNS0_19identity_decomposerEEEEE10hipError_tT0_T1_T2_jT3_P12ihipStream_tbPNSt15iterator_traitsISN_E10value_typeEPNST_ISO_E10value_typeEPSP_NS1_7vsmem_tEENKUlT_SN_SO_SP_E_clIPjSG_PS9_SI_EESM_S12_SN_SO_SP_EUlS12_E0_NS1_11comp_targetILNS1_3genE5ELNS1_11target_archE942ELNS1_3gpuE9ELNS1_3repE0EEENS1_38merge_mergepath_config_static_selectorELNS0_4arch9wavefront6targetE0EEEvSO_
	.p2align	8
	.type	_ZN7rocprim17ROCPRIM_400000_NS6detail17trampoline_kernelINS0_14default_configENS1_38merge_sort_block_merge_config_selectorIjN6thrust23THRUST_200600_302600_NS5tupleIffNS6_9null_typeES8_S8_S8_S8_S8_S8_S8_EEEEZZNS1_27merge_sort_block_merge_implIS3_NS6_6detail15normal_iteratorINS6_10device_ptrIjEEEENSD_INSE_IS9_EEEEjNS1_19radix_merge_compareILb0ELb0EjNS0_19identity_decomposerEEEEE10hipError_tT0_T1_T2_jT3_P12ihipStream_tbPNSt15iterator_traitsISN_E10value_typeEPNST_ISO_E10value_typeEPSP_NS1_7vsmem_tEENKUlT_SN_SO_SP_E_clIPjSG_PS9_SI_EESM_S12_SN_SO_SP_EUlS12_E0_NS1_11comp_targetILNS1_3genE5ELNS1_11target_archE942ELNS1_3gpuE9ELNS1_3repE0EEENS1_38merge_mergepath_config_static_selectorELNS0_4arch9wavefront6targetE0EEEvSO_,@function
_ZN7rocprim17ROCPRIM_400000_NS6detail17trampoline_kernelINS0_14default_configENS1_38merge_sort_block_merge_config_selectorIjN6thrust23THRUST_200600_302600_NS5tupleIffNS6_9null_typeES8_S8_S8_S8_S8_S8_S8_EEEEZZNS1_27merge_sort_block_merge_implIS3_NS6_6detail15normal_iteratorINS6_10device_ptrIjEEEENSD_INSE_IS9_EEEEjNS1_19radix_merge_compareILb0ELb0EjNS0_19identity_decomposerEEEEE10hipError_tT0_T1_T2_jT3_P12ihipStream_tbPNSt15iterator_traitsISN_E10value_typeEPNST_ISO_E10value_typeEPSP_NS1_7vsmem_tEENKUlT_SN_SO_SP_E_clIPjSG_PS9_SI_EESM_S12_SN_SO_SP_EUlS12_E0_NS1_11comp_targetILNS1_3genE5ELNS1_11target_archE942ELNS1_3gpuE9ELNS1_3repE0EEENS1_38merge_mergepath_config_static_selectorELNS0_4arch9wavefront6targetE0EEEvSO_: ; @_ZN7rocprim17ROCPRIM_400000_NS6detail17trampoline_kernelINS0_14default_configENS1_38merge_sort_block_merge_config_selectorIjN6thrust23THRUST_200600_302600_NS5tupleIffNS6_9null_typeES8_S8_S8_S8_S8_S8_S8_EEEEZZNS1_27merge_sort_block_merge_implIS3_NS6_6detail15normal_iteratorINS6_10device_ptrIjEEEENSD_INSE_IS9_EEEEjNS1_19radix_merge_compareILb0ELb0EjNS0_19identity_decomposerEEEEE10hipError_tT0_T1_T2_jT3_P12ihipStream_tbPNSt15iterator_traitsISN_E10value_typeEPNST_ISO_E10value_typeEPSP_NS1_7vsmem_tEENKUlT_SN_SO_SP_E_clIPjSG_PS9_SI_EESM_S12_SN_SO_SP_EUlS12_E0_NS1_11comp_targetILNS1_3genE5ELNS1_11target_archE942ELNS1_3gpuE9ELNS1_3repE0EEENS1_38merge_mergepath_config_static_selectorELNS0_4arch9wavefront6targetE0EEEvSO_
; %bb.0:
	.section	.rodata,"a",@progbits
	.p2align	6, 0x0
	.amdhsa_kernel _ZN7rocprim17ROCPRIM_400000_NS6detail17trampoline_kernelINS0_14default_configENS1_38merge_sort_block_merge_config_selectorIjN6thrust23THRUST_200600_302600_NS5tupleIffNS6_9null_typeES8_S8_S8_S8_S8_S8_S8_EEEEZZNS1_27merge_sort_block_merge_implIS3_NS6_6detail15normal_iteratorINS6_10device_ptrIjEEEENSD_INSE_IS9_EEEEjNS1_19radix_merge_compareILb0ELb0EjNS0_19identity_decomposerEEEEE10hipError_tT0_T1_T2_jT3_P12ihipStream_tbPNSt15iterator_traitsISN_E10value_typeEPNST_ISO_E10value_typeEPSP_NS1_7vsmem_tEENKUlT_SN_SO_SP_E_clIPjSG_PS9_SI_EESM_S12_SN_SO_SP_EUlS12_E0_NS1_11comp_targetILNS1_3genE5ELNS1_11target_archE942ELNS1_3gpuE9ELNS1_3repE0EEENS1_38merge_mergepath_config_static_selectorELNS0_4arch9wavefront6targetE0EEEvSO_
		.amdhsa_group_segment_fixed_size 0
		.amdhsa_private_segment_fixed_size 0
		.amdhsa_kernarg_size 64
		.amdhsa_user_sgpr_count 6
		.amdhsa_user_sgpr_private_segment_buffer 1
		.amdhsa_user_sgpr_dispatch_ptr 0
		.amdhsa_user_sgpr_queue_ptr 0
		.amdhsa_user_sgpr_kernarg_segment_ptr 1
		.amdhsa_user_sgpr_dispatch_id 0
		.amdhsa_user_sgpr_flat_scratch_init 0
		.amdhsa_user_sgpr_private_segment_size 0
		.amdhsa_wavefront_size32 1
		.amdhsa_uses_dynamic_stack 0
		.amdhsa_system_sgpr_private_segment_wavefront_offset 0
		.amdhsa_system_sgpr_workgroup_id_x 1
		.amdhsa_system_sgpr_workgroup_id_y 0
		.amdhsa_system_sgpr_workgroup_id_z 0
		.amdhsa_system_sgpr_workgroup_info 0
		.amdhsa_system_vgpr_workitem_id 0
		.amdhsa_next_free_vgpr 1
		.amdhsa_next_free_sgpr 1
		.amdhsa_reserve_vcc 0
		.amdhsa_reserve_flat_scratch 0
		.amdhsa_float_round_mode_32 0
		.amdhsa_float_round_mode_16_64 0
		.amdhsa_float_denorm_mode_32 3
		.amdhsa_float_denorm_mode_16_64 3
		.amdhsa_dx10_clamp 1
		.amdhsa_ieee_mode 1
		.amdhsa_fp16_overflow 0
		.amdhsa_workgroup_processor_mode 1
		.amdhsa_memory_ordered 1
		.amdhsa_forward_progress 1
		.amdhsa_shared_vgpr_count 0
		.amdhsa_exception_fp_ieee_invalid_op 0
		.amdhsa_exception_fp_denorm_src 0
		.amdhsa_exception_fp_ieee_div_zero 0
		.amdhsa_exception_fp_ieee_overflow 0
		.amdhsa_exception_fp_ieee_underflow 0
		.amdhsa_exception_fp_ieee_inexact 0
		.amdhsa_exception_int_div_zero 0
	.end_amdhsa_kernel
	.section	.text._ZN7rocprim17ROCPRIM_400000_NS6detail17trampoline_kernelINS0_14default_configENS1_38merge_sort_block_merge_config_selectorIjN6thrust23THRUST_200600_302600_NS5tupleIffNS6_9null_typeES8_S8_S8_S8_S8_S8_S8_EEEEZZNS1_27merge_sort_block_merge_implIS3_NS6_6detail15normal_iteratorINS6_10device_ptrIjEEEENSD_INSE_IS9_EEEEjNS1_19radix_merge_compareILb0ELb0EjNS0_19identity_decomposerEEEEE10hipError_tT0_T1_T2_jT3_P12ihipStream_tbPNSt15iterator_traitsISN_E10value_typeEPNST_ISO_E10value_typeEPSP_NS1_7vsmem_tEENKUlT_SN_SO_SP_E_clIPjSG_PS9_SI_EESM_S12_SN_SO_SP_EUlS12_E0_NS1_11comp_targetILNS1_3genE5ELNS1_11target_archE942ELNS1_3gpuE9ELNS1_3repE0EEENS1_38merge_mergepath_config_static_selectorELNS0_4arch9wavefront6targetE0EEEvSO_,"axG",@progbits,_ZN7rocprim17ROCPRIM_400000_NS6detail17trampoline_kernelINS0_14default_configENS1_38merge_sort_block_merge_config_selectorIjN6thrust23THRUST_200600_302600_NS5tupleIffNS6_9null_typeES8_S8_S8_S8_S8_S8_S8_EEEEZZNS1_27merge_sort_block_merge_implIS3_NS6_6detail15normal_iteratorINS6_10device_ptrIjEEEENSD_INSE_IS9_EEEEjNS1_19radix_merge_compareILb0ELb0EjNS0_19identity_decomposerEEEEE10hipError_tT0_T1_T2_jT3_P12ihipStream_tbPNSt15iterator_traitsISN_E10value_typeEPNST_ISO_E10value_typeEPSP_NS1_7vsmem_tEENKUlT_SN_SO_SP_E_clIPjSG_PS9_SI_EESM_S12_SN_SO_SP_EUlS12_E0_NS1_11comp_targetILNS1_3genE5ELNS1_11target_archE942ELNS1_3gpuE9ELNS1_3repE0EEENS1_38merge_mergepath_config_static_selectorELNS0_4arch9wavefront6targetE0EEEvSO_,comdat
.Lfunc_end35:
	.size	_ZN7rocprim17ROCPRIM_400000_NS6detail17trampoline_kernelINS0_14default_configENS1_38merge_sort_block_merge_config_selectorIjN6thrust23THRUST_200600_302600_NS5tupleIffNS6_9null_typeES8_S8_S8_S8_S8_S8_S8_EEEEZZNS1_27merge_sort_block_merge_implIS3_NS6_6detail15normal_iteratorINS6_10device_ptrIjEEEENSD_INSE_IS9_EEEEjNS1_19radix_merge_compareILb0ELb0EjNS0_19identity_decomposerEEEEE10hipError_tT0_T1_T2_jT3_P12ihipStream_tbPNSt15iterator_traitsISN_E10value_typeEPNST_ISO_E10value_typeEPSP_NS1_7vsmem_tEENKUlT_SN_SO_SP_E_clIPjSG_PS9_SI_EESM_S12_SN_SO_SP_EUlS12_E0_NS1_11comp_targetILNS1_3genE5ELNS1_11target_archE942ELNS1_3gpuE9ELNS1_3repE0EEENS1_38merge_mergepath_config_static_selectorELNS0_4arch9wavefront6targetE0EEEvSO_, .Lfunc_end35-_ZN7rocprim17ROCPRIM_400000_NS6detail17trampoline_kernelINS0_14default_configENS1_38merge_sort_block_merge_config_selectorIjN6thrust23THRUST_200600_302600_NS5tupleIffNS6_9null_typeES8_S8_S8_S8_S8_S8_S8_EEEEZZNS1_27merge_sort_block_merge_implIS3_NS6_6detail15normal_iteratorINS6_10device_ptrIjEEEENSD_INSE_IS9_EEEEjNS1_19radix_merge_compareILb0ELb0EjNS0_19identity_decomposerEEEEE10hipError_tT0_T1_T2_jT3_P12ihipStream_tbPNSt15iterator_traitsISN_E10value_typeEPNST_ISO_E10value_typeEPSP_NS1_7vsmem_tEENKUlT_SN_SO_SP_E_clIPjSG_PS9_SI_EESM_S12_SN_SO_SP_EUlS12_E0_NS1_11comp_targetILNS1_3genE5ELNS1_11target_archE942ELNS1_3gpuE9ELNS1_3repE0EEENS1_38merge_mergepath_config_static_selectorELNS0_4arch9wavefront6targetE0EEEvSO_
                                        ; -- End function
	.set _ZN7rocprim17ROCPRIM_400000_NS6detail17trampoline_kernelINS0_14default_configENS1_38merge_sort_block_merge_config_selectorIjN6thrust23THRUST_200600_302600_NS5tupleIffNS6_9null_typeES8_S8_S8_S8_S8_S8_S8_EEEEZZNS1_27merge_sort_block_merge_implIS3_NS6_6detail15normal_iteratorINS6_10device_ptrIjEEEENSD_INSE_IS9_EEEEjNS1_19radix_merge_compareILb0ELb0EjNS0_19identity_decomposerEEEEE10hipError_tT0_T1_T2_jT3_P12ihipStream_tbPNSt15iterator_traitsISN_E10value_typeEPNST_ISO_E10value_typeEPSP_NS1_7vsmem_tEENKUlT_SN_SO_SP_E_clIPjSG_PS9_SI_EESM_S12_SN_SO_SP_EUlS12_E0_NS1_11comp_targetILNS1_3genE5ELNS1_11target_archE942ELNS1_3gpuE9ELNS1_3repE0EEENS1_38merge_mergepath_config_static_selectorELNS0_4arch9wavefront6targetE0EEEvSO_.num_vgpr, 0
	.set _ZN7rocprim17ROCPRIM_400000_NS6detail17trampoline_kernelINS0_14default_configENS1_38merge_sort_block_merge_config_selectorIjN6thrust23THRUST_200600_302600_NS5tupleIffNS6_9null_typeES8_S8_S8_S8_S8_S8_S8_EEEEZZNS1_27merge_sort_block_merge_implIS3_NS6_6detail15normal_iteratorINS6_10device_ptrIjEEEENSD_INSE_IS9_EEEEjNS1_19radix_merge_compareILb0ELb0EjNS0_19identity_decomposerEEEEE10hipError_tT0_T1_T2_jT3_P12ihipStream_tbPNSt15iterator_traitsISN_E10value_typeEPNST_ISO_E10value_typeEPSP_NS1_7vsmem_tEENKUlT_SN_SO_SP_E_clIPjSG_PS9_SI_EESM_S12_SN_SO_SP_EUlS12_E0_NS1_11comp_targetILNS1_3genE5ELNS1_11target_archE942ELNS1_3gpuE9ELNS1_3repE0EEENS1_38merge_mergepath_config_static_selectorELNS0_4arch9wavefront6targetE0EEEvSO_.num_agpr, 0
	.set _ZN7rocprim17ROCPRIM_400000_NS6detail17trampoline_kernelINS0_14default_configENS1_38merge_sort_block_merge_config_selectorIjN6thrust23THRUST_200600_302600_NS5tupleIffNS6_9null_typeES8_S8_S8_S8_S8_S8_S8_EEEEZZNS1_27merge_sort_block_merge_implIS3_NS6_6detail15normal_iteratorINS6_10device_ptrIjEEEENSD_INSE_IS9_EEEEjNS1_19radix_merge_compareILb0ELb0EjNS0_19identity_decomposerEEEEE10hipError_tT0_T1_T2_jT3_P12ihipStream_tbPNSt15iterator_traitsISN_E10value_typeEPNST_ISO_E10value_typeEPSP_NS1_7vsmem_tEENKUlT_SN_SO_SP_E_clIPjSG_PS9_SI_EESM_S12_SN_SO_SP_EUlS12_E0_NS1_11comp_targetILNS1_3genE5ELNS1_11target_archE942ELNS1_3gpuE9ELNS1_3repE0EEENS1_38merge_mergepath_config_static_selectorELNS0_4arch9wavefront6targetE0EEEvSO_.numbered_sgpr, 0
	.set _ZN7rocprim17ROCPRIM_400000_NS6detail17trampoline_kernelINS0_14default_configENS1_38merge_sort_block_merge_config_selectorIjN6thrust23THRUST_200600_302600_NS5tupleIffNS6_9null_typeES8_S8_S8_S8_S8_S8_S8_EEEEZZNS1_27merge_sort_block_merge_implIS3_NS6_6detail15normal_iteratorINS6_10device_ptrIjEEEENSD_INSE_IS9_EEEEjNS1_19radix_merge_compareILb0ELb0EjNS0_19identity_decomposerEEEEE10hipError_tT0_T1_T2_jT3_P12ihipStream_tbPNSt15iterator_traitsISN_E10value_typeEPNST_ISO_E10value_typeEPSP_NS1_7vsmem_tEENKUlT_SN_SO_SP_E_clIPjSG_PS9_SI_EESM_S12_SN_SO_SP_EUlS12_E0_NS1_11comp_targetILNS1_3genE5ELNS1_11target_archE942ELNS1_3gpuE9ELNS1_3repE0EEENS1_38merge_mergepath_config_static_selectorELNS0_4arch9wavefront6targetE0EEEvSO_.num_named_barrier, 0
	.set _ZN7rocprim17ROCPRIM_400000_NS6detail17trampoline_kernelINS0_14default_configENS1_38merge_sort_block_merge_config_selectorIjN6thrust23THRUST_200600_302600_NS5tupleIffNS6_9null_typeES8_S8_S8_S8_S8_S8_S8_EEEEZZNS1_27merge_sort_block_merge_implIS3_NS6_6detail15normal_iteratorINS6_10device_ptrIjEEEENSD_INSE_IS9_EEEEjNS1_19radix_merge_compareILb0ELb0EjNS0_19identity_decomposerEEEEE10hipError_tT0_T1_T2_jT3_P12ihipStream_tbPNSt15iterator_traitsISN_E10value_typeEPNST_ISO_E10value_typeEPSP_NS1_7vsmem_tEENKUlT_SN_SO_SP_E_clIPjSG_PS9_SI_EESM_S12_SN_SO_SP_EUlS12_E0_NS1_11comp_targetILNS1_3genE5ELNS1_11target_archE942ELNS1_3gpuE9ELNS1_3repE0EEENS1_38merge_mergepath_config_static_selectorELNS0_4arch9wavefront6targetE0EEEvSO_.private_seg_size, 0
	.set _ZN7rocprim17ROCPRIM_400000_NS6detail17trampoline_kernelINS0_14default_configENS1_38merge_sort_block_merge_config_selectorIjN6thrust23THRUST_200600_302600_NS5tupleIffNS6_9null_typeES8_S8_S8_S8_S8_S8_S8_EEEEZZNS1_27merge_sort_block_merge_implIS3_NS6_6detail15normal_iteratorINS6_10device_ptrIjEEEENSD_INSE_IS9_EEEEjNS1_19radix_merge_compareILb0ELb0EjNS0_19identity_decomposerEEEEE10hipError_tT0_T1_T2_jT3_P12ihipStream_tbPNSt15iterator_traitsISN_E10value_typeEPNST_ISO_E10value_typeEPSP_NS1_7vsmem_tEENKUlT_SN_SO_SP_E_clIPjSG_PS9_SI_EESM_S12_SN_SO_SP_EUlS12_E0_NS1_11comp_targetILNS1_3genE5ELNS1_11target_archE942ELNS1_3gpuE9ELNS1_3repE0EEENS1_38merge_mergepath_config_static_selectorELNS0_4arch9wavefront6targetE0EEEvSO_.uses_vcc, 0
	.set _ZN7rocprim17ROCPRIM_400000_NS6detail17trampoline_kernelINS0_14default_configENS1_38merge_sort_block_merge_config_selectorIjN6thrust23THRUST_200600_302600_NS5tupleIffNS6_9null_typeES8_S8_S8_S8_S8_S8_S8_EEEEZZNS1_27merge_sort_block_merge_implIS3_NS6_6detail15normal_iteratorINS6_10device_ptrIjEEEENSD_INSE_IS9_EEEEjNS1_19radix_merge_compareILb0ELb0EjNS0_19identity_decomposerEEEEE10hipError_tT0_T1_T2_jT3_P12ihipStream_tbPNSt15iterator_traitsISN_E10value_typeEPNST_ISO_E10value_typeEPSP_NS1_7vsmem_tEENKUlT_SN_SO_SP_E_clIPjSG_PS9_SI_EESM_S12_SN_SO_SP_EUlS12_E0_NS1_11comp_targetILNS1_3genE5ELNS1_11target_archE942ELNS1_3gpuE9ELNS1_3repE0EEENS1_38merge_mergepath_config_static_selectorELNS0_4arch9wavefront6targetE0EEEvSO_.uses_flat_scratch, 0
	.set _ZN7rocprim17ROCPRIM_400000_NS6detail17trampoline_kernelINS0_14default_configENS1_38merge_sort_block_merge_config_selectorIjN6thrust23THRUST_200600_302600_NS5tupleIffNS6_9null_typeES8_S8_S8_S8_S8_S8_S8_EEEEZZNS1_27merge_sort_block_merge_implIS3_NS6_6detail15normal_iteratorINS6_10device_ptrIjEEEENSD_INSE_IS9_EEEEjNS1_19radix_merge_compareILb0ELb0EjNS0_19identity_decomposerEEEEE10hipError_tT0_T1_T2_jT3_P12ihipStream_tbPNSt15iterator_traitsISN_E10value_typeEPNST_ISO_E10value_typeEPSP_NS1_7vsmem_tEENKUlT_SN_SO_SP_E_clIPjSG_PS9_SI_EESM_S12_SN_SO_SP_EUlS12_E0_NS1_11comp_targetILNS1_3genE5ELNS1_11target_archE942ELNS1_3gpuE9ELNS1_3repE0EEENS1_38merge_mergepath_config_static_selectorELNS0_4arch9wavefront6targetE0EEEvSO_.has_dyn_sized_stack, 0
	.set _ZN7rocprim17ROCPRIM_400000_NS6detail17trampoline_kernelINS0_14default_configENS1_38merge_sort_block_merge_config_selectorIjN6thrust23THRUST_200600_302600_NS5tupleIffNS6_9null_typeES8_S8_S8_S8_S8_S8_S8_EEEEZZNS1_27merge_sort_block_merge_implIS3_NS6_6detail15normal_iteratorINS6_10device_ptrIjEEEENSD_INSE_IS9_EEEEjNS1_19radix_merge_compareILb0ELb0EjNS0_19identity_decomposerEEEEE10hipError_tT0_T1_T2_jT3_P12ihipStream_tbPNSt15iterator_traitsISN_E10value_typeEPNST_ISO_E10value_typeEPSP_NS1_7vsmem_tEENKUlT_SN_SO_SP_E_clIPjSG_PS9_SI_EESM_S12_SN_SO_SP_EUlS12_E0_NS1_11comp_targetILNS1_3genE5ELNS1_11target_archE942ELNS1_3gpuE9ELNS1_3repE0EEENS1_38merge_mergepath_config_static_selectorELNS0_4arch9wavefront6targetE0EEEvSO_.has_recursion, 0
	.set _ZN7rocprim17ROCPRIM_400000_NS6detail17trampoline_kernelINS0_14default_configENS1_38merge_sort_block_merge_config_selectorIjN6thrust23THRUST_200600_302600_NS5tupleIffNS6_9null_typeES8_S8_S8_S8_S8_S8_S8_EEEEZZNS1_27merge_sort_block_merge_implIS3_NS6_6detail15normal_iteratorINS6_10device_ptrIjEEEENSD_INSE_IS9_EEEEjNS1_19radix_merge_compareILb0ELb0EjNS0_19identity_decomposerEEEEE10hipError_tT0_T1_T2_jT3_P12ihipStream_tbPNSt15iterator_traitsISN_E10value_typeEPNST_ISO_E10value_typeEPSP_NS1_7vsmem_tEENKUlT_SN_SO_SP_E_clIPjSG_PS9_SI_EESM_S12_SN_SO_SP_EUlS12_E0_NS1_11comp_targetILNS1_3genE5ELNS1_11target_archE942ELNS1_3gpuE9ELNS1_3repE0EEENS1_38merge_mergepath_config_static_selectorELNS0_4arch9wavefront6targetE0EEEvSO_.has_indirect_call, 0
	.section	.AMDGPU.csdata,"",@progbits
; Kernel info:
; codeLenInByte = 0
; TotalNumSgprs: 0
; NumVgprs: 0
; ScratchSize: 0
; MemoryBound: 0
; FloatMode: 240
; IeeeMode: 1
; LDSByteSize: 0 bytes/workgroup (compile time only)
; SGPRBlocks: 0
; VGPRBlocks: 0
; NumSGPRsForWavesPerEU: 1
; NumVGPRsForWavesPerEU: 1
; Occupancy: 16
; WaveLimiterHint : 0
; COMPUTE_PGM_RSRC2:SCRATCH_EN: 0
; COMPUTE_PGM_RSRC2:USER_SGPR: 6
; COMPUTE_PGM_RSRC2:TRAP_HANDLER: 0
; COMPUTE_PGM_RSRC2:TGID_X_EN: 1
; COMPUTE_PGM_RSRC2:TGID_Y_EN: 0
; COMPUTE_PGM_RSRC2:TGID_Z_EN: 0
; COMPUTE_PGM_RSRC2:TIDIG_COMP_CNT: 0
	.section	.text._ZN7rocprim17ROCPRIM_400000_NS6detail17trampoline_kernelINS0_14default_configENS1_38merge_sort_block_merge_config_selectorIjN6thrust23THRUST_200600_302600_NS5tupleIffNS6_9null_typeES8_S8_S8_S8_S8_S8_S8_EEEEZZNS1_27merge_sort_block_merge_implIS3_NS6_6detail15normal_iteratorINS6_10device_ptrIjEEEENSD_INSE_IS9_EEEEjNS1_19radix_merge_compareILb0ELb0EjNS0_19identity_decomposerEEEEE10hipError_tT0_T1_T2_jT3_P12ihipStream_tbPNSt15iterator_traitsISN_E10value_typeEPNST_ISO_E10value_typeEPSP_NS1_7vsmem_tEENKUlT_SN_SO_SP_E_clIPjSG_PS9_SI_EESM_S12_SN_SO_SP_EUlS12_E0_NS1_11comp_targetILNS1_3genE4ELNS1_11target_archE910ELNS1_3gpuE8ELNS1_3repE0EEENS1_38merge_mergepath_config_static_selectorELNS0_4arch9wavefront6targetE0EEEvSO_,"axG",@progbits,_ZN7rocprim17ROCPRIM_400000_NS6detail17trampoline_kernelINS0_14default_configENS1_38merge_sort_block_merge_config_selectorIjN6thrust23THRUST_200600_302600_NS5tupleIffNS6_9null_typeES8_S8_S8_S8_S8_S8_S8_EEEEZZNS1_27merge_sort_block_merge_implIS3_NS6_6detail15normal_iteratorINS6_10device_ptrIjEEEENSD_INSE_IS9_EEEEjNS1_19radix_merge_compareILb0ELb0EjNS0_19identity_decomposerEEEEE10hipError_tT0_T1_T2_jT3_P12ihipStream_tbPNSt15iterator_traitsISN_E10value_typeEPNST_ISO_E10value_typeEPSP_NS1_7vsmem_tEENKUlT_SN_SO_SP_E_clIPjSG_PS9_SI_EESM_S12_SN_SO_SP_EUlS12_E0_NS1_11comp_targetILNS1_3genE4ELNS1_11target_archE910ELNS1_3gpuE8ELNS1_3repE0EEENS1_38merge_mergepath_config_static_selectorELNS0_4arch9wavefront6targetE0EEEvSO_,comdat
	.protected	_ZN7rocprim17ROCPRIM_400000_NS6detail17trampoline_kernelINS0_14default_configENS1_38merge_sort_block_merge_config_selectorIjN6thrust23THRUST_200600_302600_NS5tupleIffNS6_9null_typeES8_S8_S8_S8_S8_S8_S8_EEEEZZNS1_27merge_sort_block_merge_implIS3_NS6_6detail15normal_iteratorINS6_10device_ptrIjEEEENSD_INSE_IS9_EEEEjNS1_19radix_merge_compareILb0ELb0EjNS0_19identity_decomposerEEEEE10hipError_tT0_T1_T2_jT3_P12ihipStream_tbPNSt15iterator_traitsISN_E10value_typeEPNST_ISO_E10value_typeEPSP_NS1_7vsmem_tEENKUlT_SN_SO_SP_E_clIPjSG_PS9_SI_EESM_S12_SN_SO_SP_EUlS12_E0_NS1_11comp_targetILNS1_3genE4ELNS1_11target_archE910ELNS1_3gpuE8ELNS1_3repE0EEENS1_38merge_mergepath_config_static_selectorELNS0_4arch9wavefront6targetE0EEEvSO_ ; -- Begin function _ZN7rocprim17ROCPRIM_400000_NS6detail17trampoline_kernelINS0_14default_configENS1_38merge_sort_block_merge_config_selectorIjN6thrust23THRUST_200600_302600_NS5tupleIffNS6_9null_typeES8_S8_S8_S8_S8_S8_S8_EEEEZZNS1_27merge_sort_block_merge_implIS3_NS6_6detail15normal_iteratorINS6_10device_ptrIjEEEENSD_INSE_IS9_EEEEjNS1_19radix_merge_compareILb0ELb0EjNS0_19identity_decomposerEEEEE10hipError_tT0_T1_T2_jT3_P12ihipStream_tbPNSt15iterator_traitsISN_E10value_typeEPNST_ISO_E10value_typeEPSP_NS1_7vsmem_tEENKUlT_SN_SO_SP_E_clIPjSG_PS9_SI_EESM_S12_SN_SO_SP_EUlS12_E0_NS1_11comp_targetILNS1_3genE4ELNS1_11target_archE910ELNS1_3gpuE8ELNS1_3repE0EEENS1_38merge_mergepath_config_static_selectorELNS0_4arch9wavefront6targetE0EEEvSO_
	.globl	_ZN7rocprim17ROCPRIM_400000_NS6detail17trampoline_kernelINS0_14default_configENS1_38merge_sort_block_merge_config_selectorIjN6thrust23THRUST_200600_302600_NS5tupleIffNS6_9null_typeES8_S8_S8_S8_S8_S8_S8_EEEEZZNS1_27merge_sort_block_merge_implIS3_NS6_6detail15normal_iteratorINS6_10device_ptrIjEEEENSD_INSE_IS9_EEEEjNS1_19radix_merge_compareILb0ELb0EjNS0_19identity_decomposerEEEEE10hipError_tT0_T1_T2_jT3_P12ihipStream_tbPNSt15iterator_traitsISN_E10value_typeEPNST_ISO_E10value_typeEPSP_NS1_7vsmem_tEENKUlT_SN_SO_SP_E_clIPjSG_PS9_SI_EESM_S12_SN_SO_SP_EUlS12_E0_NS1_11comp_targetILNS1_3genE4ELNS1_11target_archE910ELNS1_3gpuE8ELNS1_3repE0EEENS1_38merge_mergepath_config_static_selectorELNS0_4arch9wavefront6targetE0EEEvSO_
	.p2align	8
	.type	_ZN7rocprim17ROCPRIM_400000_NS6detail17trampoline_kernelINS0_14default_configENS1_38merge_sort_block_merge_config_selectorIjN6thrust23THRUST_200600_302600_NS5tupleIffNS6_9null_typeES8_S8_S8_S8_S8_S8_S8_EEEEZZNS1_27merge_sort_block_merge_implIS3_NS6_6detail15normal_iteratorINS6_10device_ptrIjEEEENSD_INSE_IS9_EEEEjNS1_19radix_merge_compareILb0ELb0EjNS0_19identity_decomposerEEEEE10hipError_tT0_T1_T2_jT3_P12ihipStream_tbPNSt15iterator_traitsISN_E10value_typeEPNST_ISO_E10value_typeEPSP_NS1_7vsmem_tEENKUlT_SN_SO_SP_E_clIPjSG_PS9_SI_EESM_S12_SN_SO_SP_EUlS12_E0_NS1_11comp_targetILNS1_3genE4ELNS1_11target_archE910ELNS1_3gpuE8ELNS1_3repE0EEENS1_38merge_mergepath_config_static_selectorELNS0_4arch9wavefront6targetE0EEEvSO_,@function
_ZN7rocprim17ROCPRIM_400000_NS6detail17trampoline_kernelINS0_14default_configENS1_38merge_sort_block_merge_config_selectorIjN6thrust23THRUST_200600_302600_NS5tupleIffNS6_9null_typeES8_S8_S8_S8_S8_S8_S8_EEEEZZNS1_27merge_sort_block_merge_implIS3_NS6_6detail15normal_iteratorINS6_10device_ptrIjEEEENSD_INSE_IS9_EEEEjNS1_19radix_merge_compareILb0ELb0EjNS0_19identity_decomposerEEEEE10hipError_tT0_T1_T2_jT3_P12ihipStream_tbPNSt15iterator_traitsISN_E10value_typeEPNST_ISO_E10value_typeEPSP_NS1_7vsmem_tEENKUlT_SN_SO_SP_E_clIPjSG_PS9_SI_EESM_S12_SN_SO_SP_EUlS12_E0_NS1_11comp_targetILNS1_3genE4ELNS1_11target_archE910ELNS1_3gpuE8ELNS1_3repE0EEENS1_38merge_mergepath_config_static_selectorELNS0_4arch9wavefront6targetE0EEEvSO_: ; @_ZN7rocprim17ROCPRIM_400000_NS6detail17trampoline_kernelINS0_14default_configENS1_38merge_sort_block_merge_config_selectorIjN6thrust23THRUST_200600_302600_NS5tupleIffNS6_9null_typeES8_S8_S8_S8_S8_S8_S8_EEEEZZNS1_27merge_sort_block_merge_implIS3_NS6_6detail15normal_iteratorINS6_10device_ptrIjEEEENSD_INSE_IS9_EEEEjNS1_19radix_merge_compareILb0ELb0EjNS0_19identity_decomposerEEEEE10hipError_tT0_T1_T2_jT3_P12ihipStream_tbPNSt15iterator_traitsISN_E10value_typeEPNST_ISO_E10value_typeEPSP_NS1_7vsmem_tEENKUlT_SN_SO_SP_E_clIPjSG_PS9_SI_EESM_S12_SN_SO_SP_EUlS12_E0_NS1_11comp_targetILNS1_3genE4ELNS1_11target_archE910ELNS1_3gpuE8ELNS1_3repE0EEENS1_38merge_mergepath_config_static_selectorELNS0_4arch9wavefront6targetE0EEEvSO_
; %bb.0:
	.section	.rodata,"a",@progbits
	.p2align	6, 0x0
	.amdhsa_kernel _ZN7rocprim17ROCPRIM_400000_NS6detail17trampoline_kernelINS0_14default_configENS1_38merge_sort_block_merge_config_selectorIjN6thrust23THRUST_200600_302600_NS5tupleIffNS6_9null_typeES8_S8_S8_S8_S8_S8_S8_EEEEZZNS1_27merge_sort_block_merge_implIS3_NS6_6detail15normal_iteratorINS6_10device_ptrIjEEEENSD_INSE_IS9_EEEEjNS1_19radix_merge_compareILb0ELb0EjNS0_19identity_decomposerEEEEE10hipError_tT0_T1_T2_jT3_P12ihipStream_tbPNSt15iterator_traitsISN_E10value_typeEPNST_ISO_E10value_typeEPSP_NS1_7vsmem_tEENKUlT_SN_SO_SP_E_clIPjSG_PS9_SI_EESM_S12_SN_SO_SP_EUlS12_E0_NS1_11comp_targetILNS1_3genE4ELNS1_11target_archE910ELNS1_3gpuE8ELNS1_3repE0EEENS1_38merge_mergepath_config_static_selectorELNS0_4arch9wavefront6targetE0EEEvSO_
		.amdhsa_group_segment_fixed_size 0
		.amdhsa_private_segment_fixed_size 0
		.amdhsa_kernarg_size 64
		.amdhsa_user_sgpr_count 6
		.amdhsa_user_sgpr_private_segment_buffer 1
		.amdhsa_user_sgpr_dispatch_ptr 0
		.amdhsa_user_sgpr_queue_ptr 0
		.amdhsa_user_sgpr_kernarg_segment_ptr 1
		.amdhsa_user_sgpr_dispatch_id 0
		.amdhsa_user_sgpr_flat_scratch_init 0
		.amdhsa_user_sgpr_private_segment_size 0
		.amdhsa_wavefront_size32 1
		.amdhsa_uses_dynamic_stack 0
		.amdhsa_system_sgpr_private_segment_wavefront_offset 0
		.amdhsa_system_sgpr_workgroup_id_x 1
		.amdhsa_system_sgpr_workgroup_id_y 0
		.amdhsa_system_sgpr_workgroup_id_z 0
		.amdhsa_system_sgpr_workgroup_info 0
		.amdhsa_system_vgpr_workitem_id 0
		.amdhsa_next_free_vgpr 1
		.amdhsa_next_free_sgpr 1
		.amdhsa_reserve_vcc 0
		.amdhsa_reserve_flat_scratch 0
		.amdhsa_float_round_mode_32 0
		.amdhsa_float_round_mode_16_64 0
		.amdhsa_float_denorm_mode_32 3
		.amdhsa_float_denorm_mode_16_64 3
		.amdhsa_dx10_clamp 1
		.amdhsa_ieee_mode 1
		.amdhsa_fp16_overflow 0
		.amdhsa_workgroup_processor_mode 1
		.amdhsa_memory_ordered 1
		.amdhsa_forward_progress 1
		.amdhsa_shared_vgpr_count 0
		.amdhsa_exception_fp_ieee_invalid_op 0
		.amdhsa_exception_fp_denorm_src 0
		.amdhsa_exception_fp_ieee_div_zero 0
		.amdhsa_exception_fp_ieee_overflow 0
		.amdhsa_exception_fp_ieee_underflow 0
		.amdhsa_exception_fp_ieee_inexact 0
		.amdhsa_exception_int_div_zero 0
	.end_amdhsa_kernel
	.section	.text._ZN7rocprim17ROCPRIM_400000_NS6detail17trampoline_kernelINS0_14default_configENS1_38merge_sort_block_merge_config_selectorIjN6thrust23THRUST_200600_302600_NS5tupleIffNS6_9null_typeES8_S8_S8_S8_S8_S8_S8_EEEEZZNS1_27merge_sort_block_merge_implIS3_NS6_6detail15normal_iteratorINS6_10device_ptrIjEEEENSD_INSE_IS9_EEEEjNS1_19radix_merge_compareILb0ELb0EjNS0_19identity_decomposerEEEEE10hipError_tT0_T1_T2_jT3_P12ihipStream_tbPNSt15iterator_traitsISN_E10value_typeEPNST_ISO_E10value_typeEPSP_NS1_7vsmem_tEENKUlT_SN_SO_SP_E_clIPjSG_PS9_SI_EESM_S12_SN_SO_SP_EUlS12_E0_NS1_11comp_targetILNS1_3genE4ELNS1_11target_archE910ELNS1_3gpuE8ELNS1_3repE0EEENS1_38merge_mergepath_config_static_selectorELNS0_4arch9wavefront6targetE0EEEvSO_,"axG",@progbits,_ZN7rocprim17ROCPRIM_400000_NS6detail17trampoline_kernelINS0_14default_configENS1_38merge_sort_block_merge_config_selectorIjN6thrust23THRUST_200600_302600_NS5tupleIffNS6_9null_typeES8_S8_S8_S8_S8_S8_S8_EEEEZZNS1_27merge_sort_block_merge_implIS3_NS6_6detail15normal_iteratorINS6_10device_ptrIjEEEENSD_INSE_IS9_EEEEjNS1_19radix_merge_compareILb0ELb0EjNS0_19identity_decomposerEEEEE10hipError_tT0_T1_T2_jT3_P12ihipStream_tbPNSt15iterator_traitsISN_E10value_typeEPNST_ISO_E10value_typeEPSP_NS1_7vsmem_tEENKUlT_SN_SO_SP_E_clIPjSG_PS9_SI_EESM_S12_SN_SO_SP_EUlS12_E0_NS1_11comp_targetILNS1_3genE4ELNS1_11target_archE910ELNS1_3gpuE8ELNS1_3repE0EEENS1_38merge_mergepath_config_static_selectorELNS0_4arch9wavefront6targetE0EEEvSO_,comdat
.Lfunc_end36:
	.size	_ZN7rocprim17ROCPRIM_400000_NS6detail17trampoline_kernelINS0_14default_configENS1_38merge_sort_block_merge_config_selectorIjN6thrust23THRUST_200600_302600_NS5tupleIffNS6_9null_typeES8_S8_S8_S8_S8_S8_S8_EEEEZZNS1_27merge_sort_block_merge_implIS3_NS6_6detail15normal_iteratorINS6_10device_ptrIjEEEENSD_INSE_IS9_EEEEjNS1_19radix_merge_compareILb0ELb0EjNS0_19identity_decomposerEEEEE10hipError_tT0_T1_T2_jT3_P12ihipStream_tbPNSt15iterator_traitsISN_E10value_typeEPNST_ISO_E10value_typeEPSP_NS1_7vsmem_tEENKUlT_SN_SO_SP_E_clIPjSG_PS9_SI_EESM_S12_SN_SO_SP_EUlS12_E0_NS1_11comp_targetILNS1_3genE4ELNS1_11target_archE910ELNS1_3gpuE8ELNS1_3repE0EEENS1_38merge_mergepath_config_static_selectorELNS0_4arch9wavefront6targetE0EEEvSO_, .Lfunc_end36-_ZN7rocprim17ROCPRIM_400000_NS6detail17trampoline_kernelINS0_14default_configENS1_38merge_sort_block_merge_config_selectorIjN6thrust23THRUST_200600_302600_NS5tupleIffNS6_9null_typeES8_S8_S8_S8_S8_S8_S8_EEEEZZNS1_27merge_sort_block_merge_implIS3_NS6_6detail15normal_iteratorINS6_10device_ptrIjEEEENSD_INSE_IS9_EEEEjNS1_19radix_merge_compareILb0ELb0EjNS0_19identity_decomposerEEEEE10hipError_tT0_T1_T2_jT3_P12ihipStream_tbPNSt15iterator_traitsISN_E10value_typeEPNST_ISO_E10value_typeEPSP_NS1_7vsmem_tEENKUlT_SN_SO_SP_E_clIPjSG_PS9_SI_EESM_S12_SN_SO_SP_EUlS12_E0_NS1_11comp_targetILNS1_3genE4ELNS1_11target_archE910ELNS1_3gpuE8ELNS1_3repE0EEENS1_38merge_mergepath_config_static_selectorELNS0_4arch9wavefront6targetE0EEEvSO_
                                        ; -- End function
	.set _ZN7rocprim17ROCPRIM_400000_NS6detail17trampoline_kernelINS0_14default_configENS1_38merge_sort_block_merge_config_selectorIjN6thrust23THRUST_200600_302600_NS5tupleIffNS6_9null_typeES8_S8_S8_S8_S8_S8_S8_EEEEZZNS1_27merge_sort_block_merge_implIS3_NS6_6detail15normal_iteratorINS6_10device_ptrIjEEEENSD_INSE_IS9_EEEEjNS1_19radix_merge_compareILb0ELb0EjNS0_19identity_decomposerEEEEE10hipError_tT0_T1_T2_jT3_P12ihipStream_tbPNSt15iterator_traitsISN_E10value_typeEPNST_ISO_E10value_typeEPSP_NS1_7vsmem_tEENKUlT_SN_SO_SP_E_clIPjSG_PS9_SI_EESM_S12_SN_SO_SP_EUlS12_E0_NS1_11comp_targetILNS1_3genE4ELNS1_11target_archE910ELNS1_3gpuE8ELNS1_3repE0EEENS1_38merge_mergepath_config_static_selectorELNS0_4arch9wavefront6targetE0EEEvSO_.num_vgpr, 0
	.set _ZN7rocprim17ROCPRIM_400000_NS6detail17trampoline_kernelINS0_14default_configENS1_38merge_sort_block_merge_config_selectorIjN6thrust23THRUST_200600_302600_NS5tupleIffNS6_9null_typeES8_S8_S8_S8_S8_S8_S8_EEEEZZNS1_27merge_sort_block_merge_implIS3_NS6_6detail15normal_iteratorINS6_10device_ptrIjEEEENSD_INSE_IS9_EEEEjNS1_19radix_merge_compareILb0ELb0EjNS0_19identity_decomposerEEEEE10hipError_tT0_T1_T2_jT3_P12ihipStream_tbPNSt15iterator_traitsISN_E10value_typeEPNST_ISO_E10value_typeEPSP_NS1_7vsmem_tEENKUlT_SN_SO_SP_E_clIPjSG_PS9_SI_EESM_S12_SN_SO_SP_EUlS12_E0_NS1_11comp_targetILNS1_3genE4ELNS1_11target_archE910ELNS1_3gpuE8ELNS1_3repE0EEENS1_38merge_mergepath_config_static_selectorELNS0_4arch9wavefront6targetE0EEEvSO_.num_agpr, 0
	.set _ZN7rocprim17ROCPRIM_400000_NS6detail17trampoline_kernelINS0_14default_configENS1_38merge_sort_block_merge_config_selectorIjN6thrust23THRUST_200600_302600_NS5tupleIffNS6_9null_typeES8_S8_S8_S8_S8_S8_S8_EEEEZZNS1_27merge_sort_block_merge_implIS3_NS6_6detail15normal_iteratorINS6_10device_ptrIjEEEENSD_INSE_IS9_EEEEjNS1_19radix_merge_compareILb0ELb0EjNS0_19identity_decomposerEEEEE10hipError_tT0_T1_T2_jT3_P12ihipStream_tbPNSt15iterator_traitsISN_E10value_typeEPNST_ISO_E10value_typeEPSP_NS1_7vsmem_tEENKUlT_SN_SO_SP_E_clIPjSG_PS9_SI_EESM_S12_SN_SO_SP_EUlS12_E0_NS1_11comp_targetILNS1_3genE4ELNS1_11target_archE910ELNS1_3gpuE8ELNS1_3repE0EEENS1_38merge_mergepath_config_static_selectorELNS0_4arch9wavefront6targetE0EEEvSO_.numbered_sgpr, 0
	.set _ZN7rocprim17ROCPRIM_400000_NS6detail17trampoline_kernelINS0_14default_configENS1_38merge_sort_block_merge_config_selectorIjN6thrust23THRUST_200600_302600_NS5tupleIffNS6_9null_typeES8_S8_S8_S8_S8_S8_S8_EEEEZZNS1_27merge_sort_block_merge_implIS3_NS6_6detail15normal_iteratorINS6_10device_ptrIjEEEENSD_INSE_IS9_EEEEjNS1_19radix_merge_compareILb0ELb0EjNS0_19identity_decomposerEEEEE10hipError_tT0_T1_T2_jT3_P12ihipStream_tbPNSt15iterator_traitsISN_E10value_typeEPNST_ISO_E10value_typeEPSP_NS1_7vsmem_tEENKUlT_SN_SO_SP_E_clIPjSG_PS9_SI_EESM_S12_SN_SO_SP_EUlS12_E0_NS1_11comp_targetILNS1_3genE4ELNS1_11target_archE910ELNS1_3gpuE8ELNS1_3repE0EEENS1_38merge_mergepath_config_static_selectorELNS0_4arch9wavefront6targetE0EEEvSO_.num_named_barrier, 0
	.set _ZN7rocprim17ROCPRIM_400000_NS6detail17trampoline_kernelINS0_14default_configENS1_38merge_sort_block_merge_config_selectorIjN6thrust23THRUST_200600_302600_NS5tupleIffNS6_9null_typeES8_S8_S8_S8_S8_S8_S8_EEEEZZNS1_27merge_sort_block_merge_implIS3_NS6_6detail15normal_iteratorINS6_10device_ptrIjEEEENSD_INSE_IS9_EEEEjNS1_19radix_merge_compareILb0ELb0EjNS0_19identity_decomposerEEEEE10hipError_tT0_T1_T2_jT3_P12ihipStream_tbPNSt15iterator_traitsISN_E10value_typeEPNST_ISO_E10value_typeEPSP_NS1_7vsmem_tEENKUlT_SN_SO_SP_E_clIPjSG_PS9_SI_EESM_S12_SN_SO_SP_EUlS12_E0_NS1_11comp_targetILNS1_3genE4ELNS1_11target_archE910ELNS1_3gpuE8ELNS1_3repE0EEENS1_38merge_mergepath_config_static_selectorELNS0_4arch9wavefront6targetE0EEEvSO_.private_seg_size, 0
	.set _ZN7rocprim17ROCPRIM_400000_NS6detail17trampoline_kernelINS0_14default_configENS1_38merge_sort_block_merge_config_selectorIjN6thrust23THRUST_200600_302600_NS5tupleIffNS6_9null_typeES8_S8_S8_S8_S8_S8_S8_EEEEZZNS1_27merge_sort_block_merge_implIS3_NS6_6detail15normal_iteratorINS6_10device_ptrIjEEEENSD_INSE_IS9_EEEEjNS1_19radix_merge_compareILb0ELb0EjNS0_19identity_decomposerEEEEE10hipError_tT0_T1_T2_jT3_P12ihipStream_tbPNSt15iterator_traitsISN_E10value_typeEPNST_ISO_E10value_typeEPSP_NS1_7vsmem_tEENKUlT_SN_SO_SP_E_clIPjSG_PS9_SI_EESM_S12_SN_SO_SP_EUlS12_E0_NS1_11comp_targetILNS1_3genE4ELNS1_11target_archE910ELNS1_3gpuE8ELNS1_3repE0EEENS1_38merge_mergepath_config_static_selectorELNS0_4arch9wavefront6targetE0EEEvSO_.uses_vcc, 0
	.set _ZN7rocprim17ROCPRIM_400000_NS6detail17trampoline_kernelINS0_14default_configENS1_38merge_sort_block_merge_config_selectorIjN6thrust23THRUST_200600_302600_NS5tupleIffNS6_9null_typeES8_S8_S8_S8_S8_S8_S8_EEEEZZNS1_27merge_sort_block_merge_implIS3_NS6_6detail15normal_iteratorINS6_10device_ptrIjEEEENSD_INSE_IS9_EEEEjNS1_19radix_merge_compareILb0ELb0EjNS0_19identity_decomposerEEEEE10hipError_tT0_T1_T2_jT3_P12ihipStream_tbPNSt15iterator_traitsISN_E10value_typeEPNST_ISO_E10value_typeEPSP_NS1_7vsmem_tEENKUlT_SN_SO_SP_E_clIPjSG_PS9_SI_EESM_S12_SN_SO_SP_EUlS12_E0_NS1_11comp_targetILNS1_3genE4ELNS1_11target_archE910ELNS1_3gpuE8ELNS1_3repE0EEENS1_38merge_mergepath_config_static_selectorELNS0_4arch9wavefront6targetE0EEEvSO_.uses_flat_scratch, 0
	.set _ZN7rocprim17ROCPRIM_400000_NS6detail17trampoline_kernelINS0_14default_configENS1_38merge_sort_block_merge_config_selectorIjN6thrust23THRUST_200600_302600_NS5tupleIffNS6_9null_typeES8_S8_S8_S8_S8_S8_S8_EEEEZZNS1_27merge_sort_block_merge_implIS3_NS6_6detail15normal_iteratorINS6_10device_ptrIjEEEENSD_INSE_IS9_EEEEjNS1_19radix_merge_compareILb0ELb0EjNS0_19identity_decomposerEEEEE10hipError_tT0_T1_T2_jT3_P12ihipStream_tbPNSt15iterator_traitsISN_E10value_typeEPNST_ISO_E10value_typeEPSP_NS1_7vsmem_tEENKUlT_SN_SO_SP_E_clIPjSG_PS9_SI_EESM_S12_SN_SO_SP_EUlS12_E0_NS1_11comp_targetILNS1_3genE4ELNS1_11target_archE910ELNS1_3gpuE8ELNS1_3repE0EEENS1_38merge_mergepath_config_static_selectorELNS0_4arch9wavefront6targetE0EEEvSO_.has_dyn_sized_stack, 0
	.set _ZN7rocprim17ROCPRIM_400000_NS6detail17trampoline_kernelINS0_14default_configENS1_38merge_sort_block_merge_config_selectorIjN6thrust23THRUST_200600_302600_NS5tupleIffNS6_9null_typeES8_S8_S8_S8_S8_S8_S8_EEEEZZNS1_27merge_sort_block_merge_implIS3_NS6_6detail15normal_iteratorINS6_10device_ptrIjEEEENSD_INSE_IS9_EEEEjNS1_19radix_merge_compareILb0ELb0EjNS0_19identity_decomposerEEEEE10hipError_tT0_T1_T2_jT3_P12ihipStream_tbPNSt15iterator_traitsISN_E10value_typeEPNST_ISO_E10value_typeEPSP_NS1_7vsmem_tEENKUlT_SN_SO_SP_E_clIPjSG_PS9_SI_EESM_S12_SN_SO_SP_EUlS12_E0_NS1_11comp_targetILNS1_3genE4ELNS1_11target_archE910ELNS1_3gpuE8ELNS1_3repE0EEENS1_38merge_mergepath_config_static_selectorELNS0_4arch9wavefront6targetE0EEEvSO_.has_recursion, 0
	.set _ZN7rocprim17ROCPRIM_400000_NS6detail17trampoline_kernelINS0_14default_configENS1_38merge_sort_block_merge_config_selectorIjN6thrust23THRUST_200600_302600_NS5tupleIffNS6_9null_typeES8_S8_S8_S8_S8_S8_S8_EEEEZZNS1_27merge_sort_block_merge_implIS3_NS6_6detail15normal_iteratorINS6_10device_ptrIjEEEENSD_INSE_IS9_EEEEjNS1_19radix_merge_compareILb0ELb0EjNS0_19identity_decomposerEEEEE10hipError_tT0_T1_T2_jT3_P12ihipStream_tbPNSt15iterator_traitsISN_E10value_typeEPNST_ISO_E10value_typeEPSP_NS1_7vsmem_tEENKUlT_SN_SO_SP_E_clIPjSG_PS9_SI_EESM_S12_SN_SO_SP_EUlS12_E0_NS1_11comp_targetILNS1_3genE4ELNS1_11target_archE910ELNS1_3gpuE8ELNS1_3repE0EEENS1_38merge_mergepath_config_static_selectorELNS0_4arch9wavefront6targetE0EEEvSO_.has_indirect_call, 0
	.section	.AMDGPU.csdata,"",@progbits
; Kernel info:
; codeLenInByte = 0
; TotalNumSgprs: 0
; NumVgprs: 0
; ScratchSize: 0
; MemoryBound: 0
; FloatMode: 240
; IeeeMode: 1
; LDSByteSize: 0 bytes/workgroup (compile time only)
; SGPRBlocks: 0
; VGPRBlocks: 0
; NumSGPRsForWavesPerEU: 1
; NumVGPRsForWavesPerEU: 1
; Occupancy: 16
; WaveLimiterHint : 0
; COMPUTE_PGM_RSRC2:SCRATCH_EN: 0
; COMPUTE_PGM_RSRC2:USER_SGPR: 6
; COMPUTE_PGM_RSRC2:TRAP_HANDLER: 0
; COMPUTE_PGM_RSRC2:TGID_X_EN: 1
; COMPUTE_PGM_RSRC2:TGID_Y_EN: 0
; COMPUTE_PGM_RSRC2:TGID_Z_EN: 0
; COMPUTE_PGM_RSRC2:TIDIG_COMP_CNT: 0
	.section	.text._ZN7rocprim17ROCPRIM_400000_NS6detail17trampoline_kernelINS0_14default_configENS1_38merge_sort_block_merge_config_selectorIjN6thrust23THRUST_200600_302600_NS5tupleIffNS6_9null_typeES8_S8_S8_S8_S8_S8_S8_EEEEZZNS1_27merge_sort_block_merge_implIS3_NS6_6detail15normal_iteratorINS6_10device_ptrIjEEEENSD_INSE_IS9_EEEEjNS1_19radix_merge_compareILb0ELb0EjNS0_19identity_decomposerEEEEE10hipError_tT0_T1_T2_jT3_P12ihipStream_tbPNSt15iterator_traitsISN_E10value_typeEPNST_ISO_E10value_typeEPSP_NS1_7vsmem_tEENKUlT_SN_SO_SP_E_clIPjSG_PS9_SI_EESM_S12_SN_SO_SP_EUlS12_E0_NS1_11comp_targetILNS1_3genE3ELNS1_11target_archE908ELNS1_3gpuE7ELNS1_3repE0EEENS1_38merge_mergepath_config_static_selectorELNS0_4arch9wavefront6targetE0EEEvSO_,"axG",@progbits,_ZN7rocprim17ROCPRIM_400000_NS6detail17trampoline_kernelINS0_14default_configENS1_38merge_sort_block_merge_config_selectorIjN6thrust23THRUST_200600_302600_NS5tupleIffNS6_9null_typeES8_S8_S8_S8_S8_S8_S8_EEEEZZNS1_27merge_sort_block_merge_implIS3_NS6_6detail15normal_iteratorINS6_10device_ptrIjEEEENSD_INSE_IS9_EEEEjNS1_19radix_merge_compareILb0ELb0EjNS0_19identity_decomposerEEEEE10hipError_tT0_T1_T2_jT3_P12ihipStream_tbPNSt15iterator_traitsISN_E10value_typeEPNST_ISO_E10value_typeEPSP_NS1_7vsmem_tEENKUlT_SN_SO_SP_E_clIPjSG_PS9_SI_EESM_S12_SN_SO_SP_EUlS12_E0_NS1_11comp_targetILNS1_3genE3ELNS1_11target_archE908ELNS1_3gpuE7ELNS1_3repE0EEENS1_38merge_mergepath_config_static_selectorELNS0_4arch9wavefront6targetE0EEEvSO_,comdat
	.protected	_ZN7rocprim17ROCPRIM_400000_NS6detail17trampoline_kernelINS0_14default_configENS1_38merge_sort_block_merge_config_selectorIjN6thrust23THRUST_200600_302600_NS5tupleIffNS6_9null_typeES8_S8_S8_S8_S8_S8_S8_EEEEZZNS1_27merge_sort_block_merge_implIS3_NS6_6detail15normal_iteratorINS6_10device_ptrIjEEEENSD_INSE_IS9_EEEEjNS1_19radix_merge_compareILb0ELb0EjNS0_19identity_decomposerEEEEE10hipError_tT0_T1_T2_jT3_P12ihipStream_tbPNSt15iterator_traitsISN_E10value_typeEPNST_ISO_E10value_typeEPSP_NS1_7vsmem_tEENKUlT_SN_SO_SP_E_clIPjSG_PS9_SI_EESM_S12_SN_SO_SP_EUlS12_E0_NS1_11comp_targetILNS1_3genE3ELNS1_11target_archE908ELNS1_3gpuE7ELNS1_3repE0EEENS1_38merge_mergepath_config_static_selectorELNS0_4arch9wavefront6targetE0EEEvSO_ ; -- Begin function _ZN7rocprim17ROCPRIM_400000_NS6detail17trampoline_kernelINS0_14default_configENS1_38merge_sort_block_merge_config_selectorIjN6thrust23THRUST_200600_302600_NS5tupleIffNS6_9null_typeES8_S8_S8_S8_S8_S8_S8_EEEEZZNS1_27merge_sort_block_merge_implIS3_NS6_6detail15normal_iteratorINS6_10device_ptrIjEEEENSD_INSE_IS9_EEEEjNS1_19radix_merge_compareILb0ELb0EjNS0_19identity_decomposerEEEEE10hipError_tT0_T1_T2_jT3_P12ihipStream_tbPNSt15iterator_traitsISN_E10value_typeEPNST_ISO_E10value_typeEPSP_NS1_7vsmem_tEENKUlT_SN_SO_SP_E_clIPjSG_PS9_SI_EESM_S12_SN_SO_SP_EUlS12_E0_NS1_11comp_targetILNS1_3genE3ELNS1_11target_archE908ELNS1_3gpuE7ELNS1_3repE0EEENS1_38merge_mergepath_config_static_selectorELNS0_4arch9wavefront6targetE0EEEvSO_
	.globl	_ZN7rocprim17ROCPRIM_400000_NS6detail17trampoline_kernelINS0_14default_configENS1_38merge_sort_block_merge_config_selectorIjN6thrust23THRUST_200600_302600_NS5tupleIffNS6_9null_typeES8_S8_S8_S8_S8_S8_S8_EEEEZZNS1_27merge_sort_block_merge_implIS3_NS6_6detail15normal_iteratorINS6_10device_ptrIjEEEENSD_INSE_IS9_EEEEjNS1_19radix_merge_compareILb0ELb0EjNS0_19identity_decomposerEEEEE10hipError_tT0_T1_T2_jT3_P12ihipStream_tbPNSt15iterator_traitsISN_E10value_typeEPNST_ISO_E10value_typeEPSP_NS1_7vsmem_tEENKUlT_SN_SO_SP_E_clIPjSG_PS9_SI_EESM_S12_SN_SO_SP_EUlS12_E0_NS1_11comp_targetILNS1_3genE3ELNS1_11target_archE908ELNS1_3gpuE7ELNS1_3repE0EEENS1_38merge_mergepath_config_static_selectorELNS0_4arch9wavefront6targetE0EEEvSO_
	.p2align	8
	.type	_ZN7rocprim17ROCPRIM_400000_NS6detail17trampoline_kernelINS0_14default_configENS1_38merge_sort_block_merge_config_selectorIjN6thrust23THRUST_200600_302600_NS5tupleIffNS6_9null_typeES8_S8_S8_S8_S8_S8_S8_EEEEZZNS1_27merge_sort_block_merge_implIS3_NS6_6detail15normal_iteratorINS6_10device_ptrIjEEEENSD_INSE_IS9_EEEEjNS1_19radix_merge_compareILb0ELb0EjNS0_19identity_decomposerEEEEE10hipError_tT0_T1_T2_jT3_P12ihipStream_tbPNSt15iterator_traitsISN_E10value_typeEPNST_ISO_E10value_typeEPSP_NS1_7vsmem_tEENKUlT_SN_SO_SP_E_clIPjSG_PS9_SI_EESM_S12_SN_SO_SP_EUlS12_E0_NS1_11comp_targetILNS1_3genE3ELNS1_11target_archE908ELNS1_3gpuE7ELNS1_3repE0EEENS1_38merge_mergepath_config_static_selectorELNS0_4arch9wavefront6targetE0EEEvSO_,@function
_ZN7rocprim17ROCPRIM_400000_NS6detail17trampoline_kernelINS0_14default_configENS1_38merge_sort_block_merge_config_selectorIjN6thrust23THRUST_200600_302600_NS5tupleIffNS6_9null_typeES8_S8_S8_S8_S8_S8_S8_EEEEZZNS1_27merge_sort_block_merge_implIS3_NS6_6detail15normal_iteratorINS6_10device_ptrIjEEEENSD_INSE_IS9_EEEEjNS1_19radix_merge_compareILb0ELb0EjNS0_19identity_decomposerEEEEE10hipError_tT0_T1_T2_jT3_P12ihipStream_tbPNSt15iterator_traitsISN_E10value_typeEPNST_ISO_E10value_typeEPSP_NS1_7vsmem_tEENKUlT_SN_SO_SP_E_clIPjSG_PS9_SI_EESM_S12_SN_SO_SP_EUlS12_E0_NS1_11comp_targetILNS1_3genE3ELNS1_11target_archE908ELNS1_3gpuE7ELNS1_3repE0EEENS1_38merge_mergepath_config_static_selectorELNS0_4arch9wavefront6targetE0EEEvSO_: ; @_ZN7rocprim17ROCPRIM_400000_NS6detail17trampoline_kernelINS0_14default_configENS1_38merge_sort_block_merge_config_selectorIjN6thrust23THRUST_200600_302600_NS5tupleIffNS6_9null_typeES8_S8_S8_S8_S8_S8_S8_EEEEZZNS1_27merge_sort_block_merge_implIS3_NS6_6detail15normal_iteratorINS6_10device_ptrIjEEEENSD_INSE_IS9_EEEEjNS1_19radix_merge_compareILb0ELb0EjNS0_19identity_decomposerEEEEE10hipError_tT0_T1_T2_jT3_P12ihipStream_tbPNSt15iterator_traitsISN_E10value_typeEPNST_ISO_E10value_typeEPSP_NS1_7vsmem_tEENKUlT_SN_SO_SP_E_clIPjSG_PS9_SI_EESM_S12_SN_SO_SP_EUlS12_E0_NS1_11comp_targetILNS1_3genE3ELNS1_11target_archE908ELNS1_3gpuE7ELNS1_3repE0EEENS1_38merge_mergepath_config_static_selectorELNS0_4arch9wavefront6targetE0EEEvSO_
; %bb.0:
	.section	.rodata,"a",@progbits
	.p2align	6, 0x0
	.amdhsa_kernel _ZN7rocprim17ROCPRIM_400000_NS6detail17trampoline_kernelINS0_14default_configENS1_38merge_sort_block_merge_config_selectorIjN6thrust23THRUST_200600_302600_NS5tupleIffNS6_9null_typeES8_S8_S8_S8_S8_S8_S8_EEEEZZNS1_27merge_sort_block_merge_implIS3_NS6_6detail15normal_iteratorINS6_10device_ptrIjEEEENSD_INSE_IS9_EEEEjNS1_19radix_merge_compareILb0ELb0EjNS0_19identity_decomposerEEEEE10hipError_tT0_T1_T2_jT3_P12ihipStream_tbPNSt15iterator_traitsISN_E10value_typeEPNST_ISO_E10value_typeEPSP_NS1_7vsmem_tEENKUlT_SN_SO_SP_E_clIPjSG_PS9_SI_EESM_S12_SN_SO_SP_EUlS12_E0_NS1_11comp_targetILNS1_3genE3ELNS1_11target_archE908ELNS1_3gpuE7ELNS1_3repE0EEENS1_38merge_mergepath_config_static_selectorELNS0_4arch9wavefront6targetE0EEEvSO_
		.amdhsa_group_segment_fixed_size 0
		.amdhsa_private_segment_fixed_size 0
		.amdhsa_kernarg_size 64
		.amdhsa_user_sgpr_count 6
		.amdhsa_user_sgpr_private_segment_buffer 1
		.amdhsa_user_sgpr_dispatch_ptr 0
		.amdhsa_user_sgpr_queue_ptr 0
		.amdhsa_user_sgpr_kernarg_segment_ptr 1
		.amdhsa_user_sgpr_dispatch_id 0
		.amdhsa_user_sgpr_flat_scratch_init 0
		.amdhsa_user_sgpr_private_segment_size 0
		.amdhsa_wavefront_size32 1
		.amdhsa_uses_dynamic_stack 0
		.amdhsa_system_sgpr_private_segment_wavefront_offset 0
		.amdhsa_system_sgpr_workgroup_id_x 1
		.amdhsa_system_sgpr_workgroup_id_y 0
		.amdhsa_system_sgpr_workgroup_id_z 0
		.amdhsa_system_sgpr_workgroup_info 0
		.amdhsa_system_vgpr_workitem_id 0
		.amdhsa_next_free_vgpr 1
		.amdhsa_next_free_sgpr 1
		.amdhsa_reserve_vcc 0
		.amdhsa_reserve_flat_scratch 0
		.amdhsa_float_round_mode_32 0
		.amdhsa_float_round_mode_16_64 0
		.amdhsa_float_denorm_mode_32 3
		.amdhsa_float_denorm_mode_16_64 3
		.amdhsa_dx10_clamp 1
		.amdhsa_ieee_mode 1
		.amdhsa_fp16_overflow 0
		.amdhsa_workgroup_processor_mode 1
		.amdhsa_memory_ordered 1
		.amdhsa_forward_progress 1
		.amdhsa_shared_vgpr_count 0
		.amdhsa_exception_fp_ieee_invalid_op 0
		.amdhsa_exception_fp_denorm_src 0
		.amdhsa_exception_fp_ieee_div_zero 0
		.amdhsa_exception_fp_ieee_overflow 0
		.amdhsa_exception_fp_ieee_underflow 0
		.amdhsa_exception_fp_ieee_inexact 0
		.amdhsa_exception_int_div_zero 0
	.end_amdhsa_kernel
	.section	.text._ZN7rocprim17ROCPRIM_400000_NS6detail17trampoline_kernelINS0_14default_configENS1_38merge_sort_block_merge_config_selectorIjN6thrust23THRUST_200600_302600_NS5tupleIffNS6_9null_typeES8_S8_S8_S8_S8_S8_S8_EEEEZZNS1_27merge_sort_block_merge_implIS3_NS6_6detail15normal_iteratorINS6_10device_ptrIjEEEENSD_INSE_IS9_EEEEjNS1_19radix_merge_compareILb0ELb0EjNS0_19identity_decomposerEEEEE10hipError_tT0_T1_T2_jT3_P12ihipStream_tbPNSt15iterator_traitsISN_E10value_typeEPNST_ISO_E10value_typeEPSP_NS1_7vsmem_tEENKUlT_SN_SO_SP_E_clIPjSG_PS9_SI_EESM_S12_SN_SO_SP_EUlS12_E0_NS1_11comp_targetILNS1_3genE3ELNS1_11target_archE908ELNS1_3gpuE7ELNS1_3repE0EEENS1_38merge_mergepath_config_static_selectorELNS0_4arch9wavefront6targetE0EEEvSO_,"axG",@progbits,_ZN7rocprim17ROCPRIM_400000_NS6detail17trampoline_kernelINS0_14default_configENS1_38merge_sort_block_merge_config_selectorIjN6thrust23THRUST_200600_302600_NS5tupleIffNS6_9null_typeES8_S8_S8_S8_S8_S8_S8_EEEEZZNS1_27merge_sort_block_merge_implIS3_NS6_6detail15normal_iteratorINS6_10device_ptrIjEEEENSD_INSE_IS9_EEEEjNS1_19radix_merge_compareILb0ELb0EjNS0_19identity_decomposerEEEEE10hipError_tT0_T1_T2_jT3_P12ihipStream_tbPNSt15iterator_traitsISN_E10value_typeEPNST_ISO_E10value_typeEPSP_NS1_7vsmem_tEENKUlT_SN_SO_SP_E_clIPjSG_PS9_SI_EESM_S12_SN_SO_SP_EUlS12_E0_NS1_11comp_targetILNS1_3genE3ELNS1_11target_archE908ELNS1_3gpuE7ELNS1_3repE0EEENS1_38merge_mergepath_config_static_selectorELNS0_4arch9wavefront6targetE0EEEvSO_,comdat
.Lfunc_end37:
	.size	_ZN7rocprim17ROCPRIM_400000_NS6detail17trampoline_kernelINS0_14default_configENS1_38merge_sort_block_merge_config_selectorIjN6thrust23THRUST_200600_302600_NS5tupleIffNS6_9null_typeES8_S8_S8_S8_S8_S8_S8_EEEEZZNS1_27merge_sort_block_merge_implIS3_NS6_6detail15normal_iteratorINS6_10device_ptrIjEEEENSD_INSE_IS9_EEEEjNS1_19radix_merge_compareILb0ELb0EjNS0_19identity_decomposerEEEEE10hipError_tT0_T1_T2_jT3_P12ihipStream_tbPNSt15iterator_traitsISN_E10value_typeEPNST_ISO_E10value_typeEPSP_NS1_7vsmem_tEENKUlT_SN_SO_SP_E_clIPjSG_PS9_SI_EESM_S12_SN_SO_SP_EUlS12_E0_NS1_11comp_targetILNS1_3genE3ELNS1_11target_archE908ELNS1_3gpuE7ELNS1_3repE0EEENS1_38merge_mergepath_config_static_selectorELNS0_4arch9wavefront6targetE0EEEvSO_, .Lfunc_end37-_ZN7rocprim17ROCPRIM_400000_NS6detail17trampoline_kernelINS0_14default_configENS1_38merge_sort_block_merge_config_selectorIjN6thrust23THRUST_200600_302600_NS5tupleIffNS6_9null_typeES8_S8_S8_S8_S8_S8_S8_EEEEZZNS1_27merge_sort_block_merge_implIS3_NS6_6detail15normal_iteratorINS6_10device_ptrIjEEEENSD_INSE_IS9_EEEEjNS1_19radix_merge_compareILb0ELb0EjNS0_19identity_decomposerEEEEE10hipError_tT0_T1_T2_jT3_P12ihipStream_tbPNSt15iterator_traitsISN_E10value_typeEPNST_ISO_E10value_typeEPSP_NS1_7vsmem_tEENKUlT_SN_SO_SP_E_clIPjSG_PS9_SI_EESM_S12_SN_SO_SP_EUlS12_E0_NS1_11comp_targetILNS1_3genE3ELNS1_11target_archE908ELNS1_3gpuE7ELNS1_3repE0EEENS1_38merge_mergepath_config_static_selectorELNS0_4arch9wavefront6targetE0EEEvSO_
                                        ; -- End function
	.set _ZN7rocprim17ROCPRIM_400000_NS6detail17trampoline_kernelINS0_14default_configENS1_38merge_sort_block_merge_config_selectorIjN6thrust23THRUST_200600_302600_NS5tupleIffNS6_9null_typeES8_S8_S8_S8_S8_S8_S8_EEEEZZNS1_27merge_sort_block_merge_implIS3_NS6_6detail15normal_iteratorINS6_10device_ptrIjEEEENSD_INSE_IS9_EEEEjNS1_19radix_merge_compareILb0ELb0EjNS0_19identity_decomposerEEEEE10hipError_tT0_T1_T2_jT3_P12ihipStream_tbPNSt15iterator_traitsISN_E10value_typeEPNST_ISO_E10value_typeEPSP_NS1_7vsmem_tEENKUlT_SN_SO_SP_E_clIPjSG_PS9_SI_EESM_S12_SN_SO_SP_EUlS12_E0_NS1_11comp_targetILNS1_3genE3ELNS1_11target_archE908ELNS1_3gpuE7ELNS1_3repE0EEENS1_38merge_mergepath_config_static_selectorELNS0_4arch9wavefront6targetE0EEEvSO_.num_vgpr, 0
	.set _ZN7rocprim17ROCPRIM_400000_NS6detail17trampoline_kernelINS0_14default_configENS1_38merge_sort_block_merge_config_selectorIjN6thrust23THRUST_200600_302600_NS5tupleIffNS6_9null_typeES8_S8_S8_S8_S8_S8_S8_EEEEZZNS1_27merge_sort_block_merge_implIS3_NS6_6detail15normal_iteratorINS6_10device_ptrIjEEEENSD_INSE_IS9_EEEEjNS1_19radix_merge_compareILb0ELb0EjNS0_19identity_decomposerEEEEE10hipError_tT0_T1_T2_jT3_P12ihipStream_tbPNSt15iterator_traitsISN_E10value_typeEPNST_ISO_E10value_typeEPSP_NS1_7vsmem_tEENKUlT_SN_SO_SP_E_clIPjSG_PS9_SI_EESM_S12_SN_SO_SP_EUlS12_E0_NS1_11comp_targetILNS1_3genE3ELNS1_11target_archE908ELNS1_3gpuE7ELNS1_3repE0EEENS1_38merge_mergepath_config_static_selectorELNS0_4arch9wavefront6targetE0EEEvSO_.num_agpr, 0
	.set _ZN7rocprim17ROCPRIM_400000_NS6detail17trampoline_kernelINS0_14default_configENS1_38merge_sort_block_merge_config_selectorIjN6thrust23THRUST_200600_302600_NS5tupleIffNS6_9null_typeES8_S8_S8_S8_S8_S8_S8_EEEEZZNS1_27merge_sort_block_merge_implIS3_NS6_6detail15normal_iteratorINS6_10device_ptrIjEEEENSD_INSE_IS9_EEEEjNS1_19radix_merge_compareILb0ELb0EjNS0_19identity_decomposerEEEEE10hipError_tT0_T1_T2_jT3_P12ihipStream_tbPNSt15iterator_traitsISN_E10value_typeEPNST_ISO_E10value_typeEPSP_NS1_7vsmem_tEENKUlT_SN_SO_SP_E_clIPjSG_PS9_SI_EESM_S12_SN_SO_SP_EUlS12_E0_NS1_11comp_targetILNS1_3genE3ELNS1_11target_archE908ELNS1_3gpuE7ELNS1_3repE0EEENS1_38merge_mergepath_config_static_selectorELNS0_4arch9wavefront6targetE0EEEvSO_.numbered_sgpr, 0
	.set _ZN7rocprim17ROCPRIM_400000_NS6detail17trampoline_kernelINS0_14default_configENS1_38merge_sort_block_merge_config_selectorIjN6thrust23THRUST_200600_302600_NS5tupleIffNS6_9null_typeES8_S8_S8_S8_S8_S8_S8_EEEEZZNS1_27merge_sort_block_merge_implIS3_NS6_6detail15normal_iteratorINS6_10device_ptrIjEEEENSD_INSE_IS9_EEEEjNS1_19radix_merge_compareILb0ELb0EjNS0_19identity_decomposerEEEEE10hipError_tT0_T1_T2_jT3_P12ihipStream_tbPNSt15iterator_traitsISN_E10value_typeEPNST_ISO_E10value_typeEPSP_NS1_7vsmem_tEENKUlT_SN_SO_SP_E_clIPjSG_PS9_SI_EESM_S12_SN_SO_SP_EUlS12_E0_NS1_11comp_targetILNS1_3genE3ELNS1_11target_archE908ELNS1_3gpuE7ELNS1_3repE0EEENS1_38merge_mergepath_config_static_selectorELNS0_4arch9wavefront6targetE0EEEvSO_.num_named_barrier, 0
	.set _ZN7rocprim17ROCPRIM_400000_NS6detail17trampoline_kernelINS0_14default_configENS1_38merge_sort_block_merge_config_selectorIjN6thrust23THRUST_200600_302600_NS5tupleIffNS6_9null_typeES8_S8_S8_S8_S8_S8_S8_EEEEZZNS1_27merge_sort_block_merge_implIS3_NS6_6detail15normal_iteratorINS6_10device_ptrIjEEEENSD_INSE_IS9_EEEEjNS1_19radix_merge_compareILb0ELb0EjNS0_19identity_decomposerEEEEE10hipError_tT0_T1_T2_jT3_P12ihipStream_tbPNSt15iterator_traitsISN_E10value_typeEPNST_ISO_E10value_typeEPSP_NS1_7vsmem_tEENKUlT_SN_SO_SP_E_clIPjSG_PS9_SI_EESM_S12_SN_SO_SP_EUlS12_E0_NS1_11comp_targetILNS1_3genE3ELNS1_11target_archE908ELNS1_3gpuE7ELNS1_3repE0EEENS1_38merge_mergepath_config_static_selectorELNS0_4arch9wavefront6targetE0EEEvSO_.private_seg_size, 0
	.set _ZN7rocprim17ROCPRIM_400000_NS6detail17trampoline_kernelINS0_14default_configENS1_38merge_sort_block_merge_config_selectorIjN6thrust23THRUST_200600_302600_NS5tupleIffNS6_9null_typeES8_S8_S8_S8_S8_S8_S8_EEEEZZNS1_27merge_sort_block_merge_implIS3_NS6_6detail15normal_iteratorINS6_10device_ptrIjEEEENSD_INSE_IS9_EEEEjNS1_19radix_merge_compareILb0ELb0EjNS0_19identity_decomposerEEEEE10hipError_tT0_T1_T2_jT3_P12ihipStream_tbPNSt15iterator_traitsISN_E10value_typeEPNST_ISO_E10value_typeEPSP_NS1_7vsmem_tEENKUlT_SN_SO_SP_E_clIPjSG_PS9_SI_EESM_S12_SN_SO_SP_EUlS12_E0_NS1_11comp_targetILNS1_3genE3ELNS1_11target_archE908ELNS1_3gpuE7ELNS1_3repE0EEENS1_38merge_mergepath_config_static_selectorELNS0_4arch9wavefront6targetE0EEEvSO_.uses_vcc, 0
	.set _ZN7rocprim17ROCPRIM_400000_NS6detail17trampoline_kernelINS0_14default_configENS1_38merge_sort_block_merge_config_selectorIjN6thrust23THRUST_200600_302600_NS5tupleIffNS6_9null_typeES8_S8_S8_S8_S8_S8_S8_EEEEZZNS1_27merge_sort_block_merge_implIS3_NS6_6detail15normal_iteratorINS6_10device_ptrIjEEEENSD_INSE_IS9_EEEEjNS1_19radix_merge_compareILb0ELb0EjNS0_19identity_decomposerEEEEE10hipError_tT0_T1_T2_jT3_P12ihipStream_tbPNSt15iterator_traitsISN_E10value_typeEPNST_ISO_E10value_typeEPSP_NS1_7vsmem_tEENKUlT_SN_SO_SP_E_clIPjSG_PS9_SI_EESM_S12_SN_SO_SP_EUlS12_E0_NS1_11comp_targetILNS1_3genE3ELNS1_11target_archE908ELNS1_3gpuE7ELNS1_3repE0EEENS1_38merge_mergepath_config_static_selectorELNS0_4arch9wavefront6targetE0EEEvSO_.uses_flat_scratch, 0
	.set _ZN7rocprim17ROCPRIM_400000_NS6detail17trampoline_kernelINS0_14default_configENS1_38merge_sort_block_merge_config_selectorIjN6thrust23THRUST_200600_302600_NS5tupleIffNS6_9null_typeES8_S8_S8_S8_S8_S8_S8_EEEEZZNS1_27merge_sort_block_merge_implIS3_NS6_6detail15normal_iteratorINS6_10device_ptrIjEEEENSD_INSE_IS9_EEEEjNS1_19radix_merge_compareILb0ELb0EjNS0_19identity_decomposerEEEEE10hipError_tT0_T1_T2_jT3_P12ihipStream_tbPNSt15iterator_traitsISN_E10value_typeEPNST_ISO_E10value_typeEPSP_NS1_7vsmem_tEENKUlT_SN_SO_SP_E_clIPjSG_PS9_SI_EESM_S12_SN_SO_SP_EUlS12_E0_NS1_11comp_targetILNS1_3genE3ELNS1_11target_archE908ELNS1_3gpuE7ELNS1_3repE0EEENS1_38merge_mergepath_config_static_selectorELNS0_4arch9wavefront6targetE0EEEvSO_.has_dyn_sized_stack, 0
	.set _ZN7rocprim17ROCPRIM_400000_NS6detail17trampoline_kernelINS0_14default_configENS1_38merge_sort_block_merge_config_selectorIjN6thrust23THRUST_200600_302600_NS5tupleIffNS6_9null_typeES8_S8_S8_S8_S8_S8_S8_EEEEZZNS1_27merge_sort_block_merge_implIS3_NS6_6detail15normal_iteratorINS6_10device_ptrIjEEEENSD_INSE_IS9_EEEEjNS1_19radix_merge_compareILb0ELb0EjNS0_19identity_decomposerEEEEE10hipError_tT0_T1_T2_jT3_P12ihipStream_tbPNSt15iterator_traitsISN_E10value_typeEPNST_ISO_E10value_typeEPSP_NS1_7vsmem_tEENKUlT_SN_SO_SP_E_clIPjSG_PS9_SI_EESM_S12_SN_SO_SP_EUlS12_E0_NS1_11comp_targetILNS1_3genE3ELNS1_11target_archE908ELNS1_3gpuE7ELNS1_3repE0EEENS1_38merge_mergepath_config_static_selectorELNS0_4arch9wavefront6targetE0EEEvSO_.has_recursion, 0
	.set _ZN7rocprim17ROCPRIM_400000_NS6detail17trampoline_kernelINS0_14default_configENS1_38merge_sort_block_merge_config_selectorIjN6thrust23THRUST_200600_302600_NS5tupleIffNS6_9null_typeES8_S8_S8_S8_S8_S8_S8_EEEEZZNS1_27merge_sort_block_merge_implIS3_NS6_6detail15normal_iteratorINS6_10device_ptrIjEEEENSD_INSE_IS9_EEEEjNS1_19radix_merge_compareILb0ELb0EjNS0_19identity_decomposerEEEEE10hipError_tT0_T1_T2_jT3_P12ihipStream_tbPNSt15iterator_traitsISN_E10value_typeEPNST_ISO_E10value_typeEPSP_NS1_7vsmem_tEENKUlT_SN_SO_SP_E_clIPjSG_PS9_SI_EESM_S12_SN_SO_SP_EUlS12_E0_NS1_11comp_targetILNS1_3genE3ELNS1_11target_archE908ELNS1_3gpuE7ELNS1_3repE0EEENS1_38merge_mergepath_config_static_selectorELNS0_4arch9wavefront6targetE0EEEvSO_.has_indirect_call, 0
	.section	.AMDGPU.csdata,"",@progbits
; Kernel info:
; codeLenInByte = 0
; TotalNumSgprs: 0
; NumVgprs: 0
; ScratchSize: 0
; MemoryBound: 0
; FloatMode: 240
; IeeeMode: 1
; LDSByteSize: 0 bytes/workgroup (compile time only)
; SGPRBlocks: 0
; VGPRBlocks: 0
; NumSGPRsForWavesPerEU: 1
; NumVGPRsForWavesPerEU: 1
; Occupancy: 16
; WaveLimiterHint : 0
; COMPUTE_PGM_RSRC2:SCRATCH_EN: 0
; COMPUTE_PGM_RSRC2:USER_SGPR: 6
; COMPUTE_PGM_RSRC2:TRAP_HANDLER: 0
; COMPUTE_PGM_RSRC2:TGID_X_EN: 1
; COMPUTE_PGM_RSRC2:TGID_Y_EN: 0
; COMPUTE_PGM_RSRC2:TGID_Z_EN: 0
; COMPUTE_PGM_RSRC2:TIDIG_COMP_CNT: 0
	.section	.text._ZN7rocprim17ROCPRIM_400000_NS6detail17trampoline_kernelINS0_14default_configENS1_38merge_sort_block_merge_config_selectorIjN6thrust23THRUST_200600_302600_NS5tupleIffNS6_9null_typeES8_S8_S8_S8_S8_S8_S8_EEEEZZNS1_27merge_sort_block_merge_implIS3_NS6_6detail15normal_iteratorINS6_10device_ptrIjEEEENSD_INSE_IS9_EEEEjNS1_19radix_merge_compareILb0ELb0EjNS0_19identity_decomposerEEEEE10hipError_tT0_T1_T2_jT3_P12ihipStream_tbPNSt15iterator_traitsISN_E10value_typeEPNST_ISO_E10value_typeEPSP_NS1_7vsmem_tEENKUlT_SN_SO_SP_E_clIPjSG_PS9_SI_EESM_S12_SN_SO_SP_EUlS12_E0_NS1_11comp_targetILNS1_3genE2ELNS1_11target_archE906ELNS1_3gpuE6ELNS1_3repE0EEENS1_38merge_mergepath_config_static_selectorELNS0_4arch9wavefront6targetE0EEEvSO_,"axG",@progbits,_ZN7rocprim17ROCPRIM_400000_NS6detail17trampoline_kernelINS0_14default_configENS1_38merge_sort_block_merge_config_selectorIjN6thrust23THRUST_200600_302600_NS5tupleIffNS6_9null_typeES8_S8_S8_S8_S8_S8_S8_EEEEZZNS1_27merge_sort_block_merge_implIS3_NS6_6detail15normal_iteratorINS6_10device_ptrIjEEEENSD_INSE_IS9_EEEEjNS1_19radix_merge_compareILb0ELb0EjNS0_19identity_decomposerEEEEE10hipError_tT0_T1_T2_jT3_P12ihipStream_tbPNSt15iterator_traitsISN_E10value_typeEPNST_ISO_E10value_typeEPSP_NS1_7vsmem_tEENKUlT_SN_SO_SP_E_clIPjSG_PS9_SI_EESM_S12_SN_SO_SP_EUlS12_E0_NS1_11comp_targetILNS1_3genE2ELNS1_11target_archE906ELNS1_3gpuE6ELNS1_3repE0EEENS1_38merge_mergepath_config_static_selectorELNS0_4arch9wavefront6targetE0EEEvSO_,comdat
	.protected	_ZN7rocprim17ROCPRIM_400000_NS6detail17trampoline_kernelINS0_14default_configENS1_38merge_sort_block_merge_config_selectorIjN6thrust23THRUST_200600_302600_NS5tupleIffNS6_9null_typeES8_S8_S8_S8_S8_S8_S8_EEEEZZNS1_27merge_sort_block_merge_implIS3_NS6_6detail15normal_iteratorINS6_10device_ptrIjEEEENSD_INSE_IS9_EEEEjNS1_19radix_merge_compareILb0ELb0EjNS0_19identity_decomposerEEEEE10hipError_tT0_T1_T2_jT3_P12ihipStream_tbPNSt15iterator_traitsISN_E10value_typeEPNST_ISO_E10value_typeEPSP_NS1_7vsmem_tEENKUlT_SN_SO_SP_E_clIPjSG_PS9_SI_EESM_S12_SN_SO_SP_EUlS12_E0_NS1_11comp_targetILNS1_3genE2ELNS1_11target_archE906ELNS1_3gpuE6ELNS1_3repE0EEENS1_38merge_mergepath_config_static_selectorELNS0_4arch9wavefront6targetE0EEEvSO_ ; -- Begin function _ZN7rocprim17ROCPRIM_400000_NS6detail17trampoline_kernelINS0_14default_configENS1_38merge_sort_block_merge_config_selectorIjN6thrust23THRUST_200600_302600_NS5tupleIffNS6_9null_typeES8_S8_S8_S8_S8_S8_S8_EEEEZZNS1_27merge_sort_block_merge_implIS3_NS6_6detail15normal_iteratorINS6_10device_ptrIjEEEENSD_INSE_IS9_EEEEjNS1_19radix_merge_compareILb0ELb0EjNS0_19identity_decomposerEEEEE10hipError_tT0_T1_T2_jT3_P12ihipStream_tbPNSt15iterator_traitsISN_E10value_typeEPNST_ISO_E10value_typeEPSP_NS1_7vsmem_tEENKUlT_SN_SO_SP_E_clIPjSG_PS9_SI_EESM_S12_SN_SO_SP_EUlS12_E0_NS1_11comp_targetILNS1_3genE2ELNS1_11target_archE906ELNS1_3gpuE6ELNS1_3repE0EEENS1_38merge_mergepath_config_static_selectorELNS0_4arch9wavefront6targetE0EEEvSO_
	.globl	_ZN7rocprim17ROCPRIM_400000_NS6detail17trampoline_kernelINS0_14default_configENS1_38merge_sort_block_merge_config_selectorIjN6thrust23THRUST_200600_302600_NS5tupleIffNS6_9null_typeES8_S8_S8_S8_S8_S8_S8_EEEEZZNS1_27merge_sort_block_merge_implIS3_NS6_6detail15normal_iteratorINS6_10device_ptrIjEEEENSD_INSE_IS9_EEEEjNS1_19radix_merge_compareILb0ELb0EjNS0_19identity_decomposerEEEEE10hipError_tT0_T1_T2_jT3_P12ihipStream_tbPNSt15iterator_traitsISN_E10value_typeEPNST_ISO_E10value_typeEPSP_NS1_7vsmem_tEENKUlT_SN_SO_SP_E_clIPjSG_PS9_SI_EESM_S12_SN_SO_SP_EUlS12_E0_NS1_11comp_targetILNS1_3genE2ELNS1_11target_archE906ELNS1_3gpuE6ELNS1_3repE0EEENS1_38merge_mergepath_config_static_selectorELNS0_4arch9wavefront6targetE0EEEvSO_
	.p2align	8
	.type	_ZN7rocprim17ROCPRIM_400000_NS6detail17trampoline_kernelINS0_14default_configENS1_38merge_sort_block_merge_config_selectorIjN6thrust23THRUST_200600_302600_NS5tupleIffNS6_9null_typeES8_S8_S8_S8_S8_S8_S8_EEEEZZNS1_27merge_sort_block_merge_implIS3_NS6_6detail15normal_iteratorINS6_10device_ptrIjEEEENSD_INSE_IS9_EEEEjNS1_19radix_merge_compareILb0ELb0EjNS0_19identity_decomposerEEEEE10hipError_tT0_T1_T2_jT3_P12ihipStream_tbPNSt15iterator_traitsISN_E10value_typeEPNST_ISO_E10value_typeEPSP_NS1_7vsmem_tEENKUlT_SN_SO_SP_E_clIPjSG_PS9_SI_EESM_S12_SN_SO_SP_EUlS12_E0_NS1_11comp_targetILNS1_3genE2ELNS1_11target_archE906ELNS1_3gpuE6ELNS1_3repE0EEENS1_38merge_mergepath_config_static_selectorELNS0_4arch9wavefront6targetE0EEEvSO_,@function
_ZN7rocprim17ROCPRIM_400000_NS6detail17trampoline_kernelINS0_14default_configENS1_38merge_sort_block_merge_config_selectorIjN6thrust23THRUST_200600_302600_NS5tupleIffNS6_9null_typeES8_S8_S8_S8_S8_S8_S8_EEEEZZNS1_27merge_sort_block_merge_implIS3_NS6_6detail15normal_iteratorINS6_10device_ptrIjEEEENSD_INSE_IS9_EEEEjNS1_19radix_merge_compareILb0ELb0EjNS0_19identity_decomposerEEEEE10hipError_tT0_T1_T2_jT3_P12ihipStream_tbPNSt15iterator_traitsISN_E10value_typeEPNST_ISO_E10value_typeEPSP_NS1_7vsmem_tEENKUlT_SN_SO_SP_E_clIPjSG_PS9_SI_EESM_S12_SN_SO_SP_EUlS12_E0_NS1_11comp_targetILNS1_3genE2ELNS1_11target_archE906ELNS1_3gpuE6ELNS1_3repE0EEENS1_38merge_mergepath_config_static_selectorELNS0_4arch9wavefront6targetE0EEEvSO_: ; @_ZN7rocprim17ROCPRIM_400000_NS6detail17trampoline_kernelINS0_14default_configENS1_38merge_sort_block_merge_config_selectorIjN6thrust23THRUST_200600_302600_NS5tupleIffNS6_9null_typeES8_S8_S8_S8_S8_S8_S8_EEEEZZNS1_27merge_sort_block_merge_implIS3_NS6_6detail15normal_iteratorINS6_10device_ptrIjEEEENSD_INSE_IS9_EEEEjNS1_19radix_merge_compareILb0ELb0EjNS0_19identity_decomposerEEEEE10hipError_tT0_T1_T2_jT3_P12ihipStream_tbPNSt15iterator_traitsISN_E10value_typeEPNST_ISO_E10value_typeEPSP_NS1_7vsmem_tEENKUlT_SN_SO_SP_E_clIPjSG_PS9_SI_EESM_S12_SN_SO_SP_EUlS12_E0_NS1_11comp_targetILNS1_3genE2ELNS1_11target_archE906ELNS1_3gpuE6ELNS1_3repE0EEENS1_38merge_mergepath_config_static_selectorELNS0_4arch9wavefront6targetE0EEEvSO_
; %bb.0:
	.section	.rodata,"a",@progbits
	.p2align	6, 0x0
	.amdhsa_kernel _ZN7rocprim17ROCPRIM_400000_NS6detail17trampoline_kernelINS0_14default_configENS1_38merge_sort_block_merge_config_selectorIjN6thrust23THRUST_200600_302600_NS5tupleIffNS6_9null_typeES8_S8_S8_S8_S8_S8_S8_EEEEZZNS1_27merge_sort_block_merge_implIS3_NS6_6detail15normal_iteratorINS6_10device_ptrIjEEEENSD_INSE_IS9_EEEEjNS1_19radix_merge_compareILb0ELb0EjNS0_19identity_decomposerEEEEE10hipError_tT0_T1_T2_jT3_P12ihipStream_tbPNSt15iterator_traitsISN_E10value_typeEPNST_ISO_E10value_typeEPSP_NS1_7vsmem_tEENKUlT_SN_SO_SP_E_clIPjSG_PS9_SI_EESM_S12_SN_SO_SP_EUlS12_E0_NS1_11comp_targetILNS1_3genE2ELNS1_11target_archE906ELNS1_3gpuE6ELNS1_3repE0EEENS1_38merge_mergepath_config_static_selectorELNS0_4arch9wavefront6targetE0EEEvSO_
		.amdhsa_group_segment_fixed_size 0
		.amdhsa_private_segment_fixed_size 0
		.amdhsa_kernarg_size 64
		.amdhsa_user_sgpr_count 6
		.amdhsa_user_sgpr_private_segment_buffer 1
		.amdhsa_user_sgpr_dispatch_ptr 0
		.amdhsa_user_sgpr_queue_ptr 0
		.amdhsa_user_sgpr_kernarg_segment_ptr 1
		.amdhsa_user_sgpr_dispatch_id 0
		.amdhsa_user_sgpr_flat_scratch_init 0
		.amdhsa_user_sgpr_private_segment_size 0
		.amdhsa_wavefront_size32 1
		.amdhsa_uses_dynamic_stack 0
		.amdhsa_system_sgpr_private_segment_wavefront_offset 0
		.amdhsa_system_sgpr_workgroup_id_x 1
		.amdhsa_system_sgpr_workgroup_id_y 0
		.amdhsa_system_sgpr_workgroup_id_z 0
		.amdhsa_system_sgpr_workgroup_info 0
		.amdhsa_system_vgpr_workitem_id 0
		.amdhsa_next_free_vgpr 1
		.amdhsa_next_free_sgpr 1
		.amdhsa_reserve_vcc 0
		.amdhsa_reserve_flat_scratch 0
		.amdhsa_float_round_mode_32 0
		.amdhsa_float_round_mode_16_64 0
		.amdhsa_float_denorm_mode_32 3
		.amdhsa_float_denorm_mode_16_64 3
		.amdhsa_dx10_clamp 1
		.amdhsa_ieee_mode 1
		.amdhsa_fp16_overflow 0
		.amdhsa_workgroup_processor_mode 1
		.amdhsa_memory_ordered 1
		.amdhsa_forward_progress 1
		.amdhsa_shared_vgpr_count 0
		.amdhsa_exception_fp_ieee_invalid_op 0
		.amdhsa_exception_fp_denorm_src 0
		.amdhsa_exception_fp_ieee_div_zero 0
		.amdhsa_exception_fp_ieee_overflow 0
		.amdhsa_exception_fp_ieee_underflow 0
		.amdhsa_exception_fp_ieee_inexact 0
		.amdhsa_exception_int_div_zero 0
	.end_amdhsa_kernel
	.section	.text._ZN7rocprim17ROCPRIM_400000_NS6detail17trampoline_kernelINS0_14default_configENS1_38merge_sort_block_merge_config_selectorIjN6thrust23THRUST_200600_302600_NS5tupleIffNS6_9null_typeES8_S8_S8_S8_S8_S8_S8_EEEEZZNS1_27merge_sort_block_merge_implIS3_NS6_6detail15normal_iteratorINS6_10device_ptrIjEEEENSD_INSE_IS9_EEEEjNS1_19radix_merge_compareILb0ELb0EjNS0_19identity_decomposerEEEEE10hipError_tT0_T1_T2_jT3_P12ihipStream_tbPNSt15iterator_traitsISN_E10value_typeEPNST_ISO_E10value_typeEPSP_NS1_7vsmem_tEENKUlT_SN_SO_SP_E_clIPjSG_PS9_SI_EESM_S12_SN_SO_SP_EUlS12_E0_NS1_11comp_targetILNS1_3genE2ELNS1_11target_archE906ELNS1_3gpuE6ELNS1_3repE0EEENS1_38merge_mergepath_config_static_selectorELNS0_4arch9wavefront6targetE0EEEvSO_,"axG",@progbits,_ZN7rocprim17ROCPRIM_400000_NS6detail17trampoline_kernelINS0_14default_configENS1_38merge_sort_block_merge_config_selectorIjN6thrust23THRUST_200600_302600_NS5tupleIffNS6_9null_typeES8_S8_S8_S8_S8_S8_S8_EEEEZZNS1_27merge_sort_block_merge_implIS3_NS6_6detail15normal_iteratorINS6_10device_ptrIjEEEENSD_INSE_IS9_EEEEjNS1_19radix_merge_compareILb0ELb0EjNS0_19identity_decomposerEEEEE10hipError_tT0_T1_T2_jT3_P12ihipStream_tbPNSt15iterator_traitsISN_E10value_typeEPNST_ISO_E10value_typeEPSP_NS1_7vsmem_tEENKUlT_SN_SO_SP_E_clIPjSG_PS9_SI_EESM_S12_SN_SO_SP_EUlS12_E0_NS1_11comp_targetILNS1_3genE2ELNS1_11target_archE906ELNS1_3gpuE6ELNS1_3repE0EEENS1_38merge_mergepath_config_static_selectorELNS0_4arch9wavefront6targetE0EEEvSO_,comdat
.Lfunc_end38:
	.size	_ZN7rocprim17ROCPRIM_400000_NS6detail17trampoline_kernelINS0_14default_configENS1_38merge_sort_block_merge_config_selectorIjN6thrust23THRUST_200600_302600_NS5tupleIffNS6_9null_typeES8_S8_S8_S8_S8_S8_S8_EEEEZZNS1_27merge_sort_block_merge_implIS3_NS6_6detail15normal_iteratorINS6_10device_ptrIjEEEENSD_INSE_IS9_EEEEjNS1_19radix_merge_compareILb0ELb0EjNS0_19identity_decomposerEEEEE10hipError_tT0_T1_T2_jT3_P12ihipStream_tbPNSt15iterator_traitsISN_E10value_typeEPNST_ISO_E10value_typeEPSP_NS1_7vsmem_tEENKUlT_SN_SO_SP_E_clIPjSG_PS9_SI_EESM_S12_SN_SO_SP_EUlS12_E0_NS1_11comp_targetILNS1_3genE2ELNS1_11target_archE906ELNS1_3gpuE6ELNS1_3repE0EEENS1_38merge_mergepath_config_static_selectorELNS0_4arch9wavefront6targetE0EEEvSO_, .Lfunc_end38-_ZN7rocprim17ROCPRIM_400000_NS6detail17trampoline_kernelINS0_14default_configENS1_38merge_sort_block_merge_config_selectorIjN6thrust23THRUST_200600_302600_NS5tupleIffNS6_9null_typeES8_S8_S8_S8_S8_S8_S8_EEEEZZNS1_27merge_sort_block_merge_implIS3_NS6_6detail15normal_iteratorINS6_10device_ptrIjEEEENSD_INSE_IS9_EEEEjNS1_19radix_merge_compareILb0ELb0EjNS0_19identity_decomposerEEEEE10hipError_tT0_T1_T2_jT3_P12ihipStream_tbPNSt15iterator_traitsISN_E10value_typeEPNST_ISO_E10value_typeEPSP_NS1_7vsmem_tEENKUlT_SN_SO_SP_E_clIPjSG_PS9_SI_EESM_S12_SN_SO_SP_EUlS12_E0_NS1_11comp_targetILNS1_3genE2ELNS1_11target_archE906ELNS1_3gpuE6ELNS1_3repE0EEENS1_38merge_mergepath_config_static_selectorELNS0_4arch9wavefront6targetE0EEEvSO_
                                        ; -- End function
	.set _ZN7rocprim17ROCPRIM_400000_NS6detail17trampoline_kernelINS0_14default_configENS1_38merge_sort_block_merge_config_selectorIjN6thrust23THRUST_200600_302600_NS5tupleIffNS6_9null_typeES8_S8_S8_S8_S8_S8_S8_EEEEZZNS1_27merge_sort_block_merge_implIS3_NS6_6detail15normal_iteratorINS6_10device_ptrIjEEEENSD_INSE_IS9_EEEEjNS1_19radix_merge_compareILb0ELb0EjNS0_19identity_decomposerEEEEE10hipError_tT0_T1_T2_jT3_P12ihipStream_tbPNSt15iterator_traitsISN_E10value_typeEPNST_ISO_E10value_typeEPSP_NS1_7vsmem_tEENKUlT_SN_SO_SP_E_clIPjSG_PS9_SI_EESM_S12_SN_SO_SP_EUlS12_E0_NS1_11comp_targetILNS1_3genE2ELNS1_11target_archE906ELNS1_3gpuE6ELNS1_3repE0EEENS1_38merge_mergepath_config_static_selectorELNS0_4arch9wavefront6targetE0EEEvSO_.num_vgpr, 0
	.set _ZN7rocprim17ROCPRIM_400000_NS6detail17trampoline_kernelINS0_14default_configENS1_38merge_sort_block_merge_config_selectorIjN6thrust23THRUST_200600_302600_NS5tupleIffNS6_9null_typeES8_S8_S8_S8_S8_S8_S8_EEEEZZNS1_27merge_sort_block_merge_implIS3_NS6_6detail15normal_iteratorINS6_10device_ptrIjEEEENSD_INSE_IS9_EEEEjNS1_19radix_merge_compareILb0ELb0EjNS0_19identity_decomposerEEEEE10hipError_tT0_T1_T2_jT3_P12ihipStream_tbPNSt15iterator_traitsISN_E10value_typeEPNST_ISO_E10value_typeEPSP_NS1_7vsmem_tEENKUlT_SN_SO_SP_E_clIPjSG_PS9_SI_EESM_S12_SN_SO_SP_EUlS12_E0_NS1_11comp_targetILNS1_3genE2ELNS1_11target_archE906ELNS1_3gpuE6ELNS1_3repE0EEENS1_38merge_mergepath_config_static_selectorELNS0_4arch9wavefront6targetE0EEEvSO_.num_agpr, 0
	.set _ZN7rocprim17ROCPRIM_400000_NS6detail17trampoline_kernelINS0_14default_configENS1_38merge_sort_block_merge_config_selectorIjN6thrust23THRUST_200600_302600_NS5tupleIffNS6_9null_typeES8_S8_S8_S8_S8_S8_S8_EEEEZZNS1_27merge_sort_block_merge_implIS3_NS6_6detail15normal_iteratorINS6_10device_ptrIjEEEENSD_INSE_IS9_EEEEjNS1_19radix_merge_compareILb0ELb0EjNS0_19identity_decomposerEEEEE10hipError_tT0_T1_T2_jT3_P12ihipStream_tbPNSt15iterator_traitsISN_E10value_typeEPNST_ISO_E10value_typeEPSP_NS1_7vsmem_tEENKUlT_SN_SO_SP_E_clIPjSG_PS9_SI_EESM_S12_SN_SO_SP_EUlS12_E0_NS1_11comp_targetILNS1_3genE2ELNS1_11target_archE906ELNS1_3gpuE6ELNS1_3repE0EEENS1_38merge_mergepath_config_static_selectorELNS0_4arch9wavefront6targetE0EEEvSO_.numbered_sgpr, 0
	.set _ZN7rocprim17ROCPRIM_400000_NS6detail17trampoline_kernelINS0_14default_configENS1_38merge_sort_block_merge_config_selectorIjN6thrust23THRUST_200600_302600_NS5tupleIffNS6_9null_typeES8_S8_S8_S8_S8_S8_S8_EEEEZZNS1_27merge_sort_block_merge_implIS3_NS6_6detail15normal_iteratorINS6_10device_ptrIjEEEENSD_INSE_IS9_EEEEjNS1_19radix_merge_compareILb0ELb0EjNS0_19identity_decomposerEEEEE10hipError_tT0_T1_T2_jT3_P12ihipStream_tbPNSt15iterator_traitsISN_E10value_typeEPNST_ISO_E10value_typeEPSP_NS1_7vsmem_tEENKUlT_SN_SO_SP_E_clIPjSG_PS9_SI_EESM_S12_SN_SO_SP_EUlS12_E0_NS1_11comp_targetILNS1_3genE2ELNS1_11target_archE906ELNS1_3gpuE6ELNS1_3repE0EEENS1_38merge_mergepath_config_static_selectorELNS0_4arch9wavefront6targetE0EEEvSO_.num_named_barrier, 0
	.set _ZN7rocprim17ROCPRIM_400000_NS6detail17trampoline_kernelINS0_14default_configENS1_38merge_sort_block_merge_config_selectorIjN6thrust23THRUST_200600_302600_NS5tupleIffNS6_9null_typeES8_S8_S8_S8_S8_S8_S8_EEEEZZNS1_27merge_sort_block_merge_implIS3_NS6_6detail15normal_iteratorINS6_10device_ptrIjEEEENSD_INSE_IS9_EEEEjNS1_19radix_merge_compareILb0ELb0EjNS0_19identity_decomposerEEEEE10hipError_tT0_T1_T2_jT3_P12ihipStream_tbPNSt15iterator_traitsISN_E10value_typeEPNST_ISO_E10value_typeEPSP_NS1_7vsmem_tEENKUlT_SN_SO_SP_E_clIPjSG_PS9_SI_EESM_S12_SN_SO_SP_EUlS12_E0_NS1_11comp_targetILNS1_3genE2ELNS1_11target_archE906ELNS1_3gpuE6ELNS1_3repE0EEENS1_38merge_mergepath_config_static_selectorELNS0_4arch9wavefront6targetE0EEEvSO_.private_seg_size, 0
	.set _ZN7rocprim17ROCPRIM_400000_NS6detail17trampoline_kernelINS0_14default_configENS1_38merge_sort_block_merge_config_selectorIjN6thrust23THRUST_200600_302600_NS5tupleIffNS6_9null_typeES8_S8_S8_S8_S8_S8_S8_EEEEZZNS1_27merge_sort_block_merge_implIS3_NS6_6detail15normal_iteratorINS6_10device_ptrIjEEEENSD_INSE_IS9_EEEEjNS1_19radix_merge_compareILb0ELb0EjNS0_19identity_decomposerEEEEE10hipError_tT0_T1_T2_jT3_P12ihipStream_tbPNSt15iterator_traitsISN_E10value_typeEPNST_ISO_E10value_typeEPSP_NS1_7vsmem_tEENKUlT_SN_SO_SP_E_clIPjSG_PS9_SI_EESM_S12_SN_SO_SP_EUlS12_E0_NS1_11comp_targetILNS1_3genE2ELNS1_11target_archE906ELNS1_3gpuE6ELNS1_3repE0EEENS1_38merge_mergepath_config_static_selectorELNS0_4arch9wavefront6targetE0EEEvSO_.uses_vcc, 0
	.set _ZN7rocprim17ROCPRIM_400000_NS6detail17trampoline_kernelINS0_14default_configENS1_38merge_sort_block_merge_config_selectorIjN6thrust23THRUST_200600_302600_NS5tupleIffNS6_9null_typeES8_S8_S8_S8_S8_S8_S8_EEEEZZNS1_27merge_sort_block_merge_implIS3_NS6_6detail15normal_iteratorINS6_10device_ptrIjEEEENSD_INSE_IS9_EEEEjNS1_19radix_merge_compareILb0ELb0EjNS0_19identity_decomposerEEEEE10hipError_tT0_T1_T2_jT3_P12ihipStream_tbPNSt15iterator_traitsISN_E10value_typeEPNST_ISO_E10value_typeEPSP_NS1_7vsmem_tEENKUlT_SN_SO_SP_E_clIPjSG_PS9_SI_EESM_S12_SN_SO_SP_EUlS12_E0_NS1_11comp_targetILNS1_3genE2ELNS1_11target_archE906ELNS1_3gpuE6ELNS1_3repE0EEENS1_38merge_mergepath_config_static_selectorELNS0_4arch9wavefront6targetE0EEEvSO_.uses_flat_scratch, 0
	.set _ZN7rocprim17ROCPRIM_400000_NS6detail17trampoline_kernelINS0_14default_configENS1_38merge_sort_block_merge_config_selectorIjN6thrust23THRUST_200600_302600_NS5tupleIffNS6_9null_typeES8_S8_S8_S8_S8_S8_S8_EEEEZZNS1_27merge_sort_block_merge_implIS3_NS6_6detail15normal_iteratorINS6_10device_ptrIjEEEENSD_INSE_IS9_EEEEjNS1_19radix_merge_compareILb0ELb0EjNS0_19identity_decomposerEEEEE10hipError_tT0_T1_T2_jT3_P12ihipStream_tbPNSt15iterator_traitsISN_E10value_typeEPNST_ISO_E10value_typeEPSP_NS1_7vsmem_tEENKUlT_SN_SO_SP_E_clIPjSG_PS9_SI_EESM_S12_SN_SO_SP_EUlS12_E0_NS1_11comp_targetILNS1_3genE2ELNS1_11target_archE906ELNS1_3gpuE6ELNS1_3repE0EEENS1_38merge_mergepath_config_static_selectorELNS0_4arch9wavefront6targetE0EEEvSO_.has_dyn_sized_stack, 0
	.set _ZN7rocprim17ROCPRIM_400000_NS6detail17trampoline_kernelINS0_14default_configENS1_38merge_sort_block_merge_config_selectorIjN6thrust23THRUST_200600_302600_NS5tupleIffNS6_9null_typeES8_S8_S8_S8_S8_S8_S8_EEEEZZNS1_27merge_sort_block_merge_implIS3_NS6_6detail15normal_iteratorINS6_10device_ptrIjEEEENSD_INSE_IS9_EEEEjNS1_19radix_merge_compareILb0ELb0EjNS0_19identity_decomposerEEEEE10hipError_tT0_T1_T2_jT3_P12ihipStream_tbPNSt15iterator_traitsISN_E10value_typeEPNST_ISO_E10value_typeEPSP_NS1_7vsmem_tEENKUlT_SN_SO_SP_E_clIPjSG_PS9_SI_EESM_S12_SN_SO_SP_EUlS12_E0_NS1_11comp_targetILNS1_3genE2ELNS1_11target_archE906ELNS1_3gpuE6ELNS1_3repE0EEENS1_38merge_mergepath_config_static_selectorELNS0_4arch9wavefront6targetE0EEEvSO_.has_recursion, 0
	.set _ZN7rocprim17ROCPRIM_400000_NS6detail17trampoline_kernelINS0_14default_configENS1_38merge_sort_block_merge_config_selectorIjN6thrust23THRUST_200600_302600_NS5tupleIffNS6_9null_typeES8_S8_S8_S8_S8_S8_S8_EEEEZZNS1_27merge_sort_block_merge_implIS3_NS6_6detail15normal_iteratorINS6_10device_ptrIjEEEENSD_INSE_IS9_EEEEjNS1_19radix_merge_compareILb0ELb0EjNS0_19identity_decomposerEEEEE10hipError_tT0_T1_T2_jT3_P12ihipStream_tbPNSt15iterator_traitsISN_E10value_typeEPNST_ISO_E10value_typeEPSP_NS1_7vsmem_tEENKUlT_SN_SO_SP_E_clIPjSG_PS9_SI_EESM_S12_SN_SO_SP_EUlS12_E0_NS1_11comp_targetILNS1_3genE2ELNS1_11target_archE906ELNS1_3gpuE6ELNS1_3repE0EEENS1_38merge_mergepath_config_static_selectorELNS0_4arch9wavefront6targetE0EEEvSO_.has_indirect_call, 0
	.section	.AMDGPU.csdata,"",@progbits
; Kernel info:
; codeLenInByte = 0
; TotalNumSgprs: 0
; NumVgprs: 0
; ScratchSize: 0
; MemoryBound: 0
; FloatMode: 240
; IeeeMode: 1
; LDSByteSize: 0 bytes/workgroup (compile time only)
; SGPRBlocks: 0
; VGPRBlocks: 0
; NumSGPRsForWavesPerEU: 1
; NumVGPRsForWavesPerEU: 1
; Occupancy: 16
; WaveLimiterHint : 0
; COMPUTE_PGM_RSRC2:SCRATCH_EN: 0
; COMPUTE_PGM_RSRC2:USER_SGPR: 6
; COMPUTE_PGM_RSRC2:TRAP_HANDLER: 0
; COMPUTE_PGM_RSRC2:TGID_X_EN: 1
; COMPUTE_PGM_RSRC2:TGID_Y_EN: 0
; COMPUTE_PGM_RSRC2:TGID_Z_EN: 0
; COMPUTE_PGM_RSRC2:TIDIG_COMP_CNT: 0
	.section	.text._ZN7rocprim17ROCPRIM_400000_NS6detail17trampoline_kernelINS0_14default_configENS1_38merge_sort_block_merge_config_selectorIjN6thrust23THRUST_200600_302600_NS5tupleIffNS6_9null_typeES8_S8_S8_S8_S8_S8_S8_EEEEZZNS1_27merge_sort_block_merge_implIS3_NS6_6detail15normal_iteratorINS6_10device_ptrIjEEEENSD_INSE_IS9_EEEEjNS1_19radix_merge_compareILb0ELb0EjNS0_19identity_decomposerEEEEE10hipError_tT0_T1_T2_jT3_P12ihipStream_tbPNSt15iterator_traitsISN_E10value_typeEPNST_ISO_E10value_typeEPSP_NS1_7vsmem_tEENKUlT_SN_SO_SP_E_clIPjSG_PS9_SI_EESM_S12_SN_SO_SP_EUlS12_E0_NS1_11comp_targetILNS1_3genE9ELNS1_11target_archE1100ELNS1_3gpuE3ELNS1_3repE0EEENS1_38merge_mergepath_config_static_selectorELNS0_4arch9wavefront6targetE0EEEvSO_,"axG",@progbits,_ZN7rocprim17ROCPRIM_400000_NS6detail17trampoline_kernelINS0_14default_configENS1_38merge_sort_block_merge_config_selectorIjN6thrust23THRUST_200600_302600_NS5tupleIffNS6_9null_typeES8_S8_S8_S8_S8_S8_S8_EEEEZZNS1_27merge_sort_block_merge_implIS3_NS6_6detail15normal_iteratorINS6_10device_ptrIjEEEENSD_INSE_IS9_EEEEjNS1_19radix_merge_compareILb0ELb0EjNS0_19identity_decomposerEEEEE10hipError_tT0_T1_T2_jT3_P12ihipStream_tbPNSt15iterator_traitsISN_E10value_typeEPNST_ISO_E10value_typeEPSP_NS1_7vsmem_tEENKUlT_SN_SO_SP_E_clIPjSG_PS9_SI_EESM_S12_SN_SO_SP_EUlS12_E0_NS1_11comp_targetILNS1_3genE9ELNS1_11target_archE1100ELNS1_3gpuE3ELNS1_3repE0EEENS1_38merge_mergepath_config_static_selectorELNS0_4arch9wavefront6targetE0EEEvSO_,comdat
	.protected	_ZN7rocprim17ROCPRIM_400000_NS6detail17trampoline_kernelINS0_14default_configENS1_38merge_sort_block_merge_config_selectorIjN6thrust23THRUST_200600_302600_NS5tupleIffNS6_9null_typeES8_S8_S8_S8_S8_S8_S8_EEEEZZNS1_27merge_sort_block_merge_implIS3_NS6_6detail15normal_iteratorINS6_10device_ptrIjEEEENSD_INSE_IS9_EEEEjNS1_19radix_merge_compareILb0ELb0EjNS0_19identity_decomposerEEEEE10hipError_tT0_T1_T2_jT3_P12ihipStream_tbPNSt15iterator_traitsISN_E10value_typeEPNST_ISO_E10value_typeEPSP_NS1_7vsmem_tEENKUlT_SN_SO_SP_E_clIPjSG_PS9_SI_EESM_S12_SN_SO_SP_EUlS12_E0_NS1_11comp_targetILNS1_3genE9ELNS1_11target_archE1100ELNS1_3gpuE3ELNS1_3repE0EEENS1_38merge_mergepath_config_static_selectorELNS0_4arch9wavefront6targetE0EEEvSO_ ; -- Begin function _ZN7rocprim17ROCPRIM_400000_NS6detail17trampoline_kernelINS0_14default_configENS1_38merge_sort_block_merge_config_selectorIjN6thrust23THRUST_200600_302600_NS5tupleIffNS6_9null_typeES8_S8_S8_S8_S8_S8_S8_EEEEZZNS1_27merge_sort_block_merge_implIS3_NS6_6detail15normal_iteratorINS6_10device_ptrIjEEEENSD_INSE_IS9_EEEEjNS1_19radix_merge_compareILb0ELb0EjNS0_19identity_decomposerEEEEE10hipError_tT0_T1_T2_jT3_P12ihipStream_tbPNSt15iterator_traitsISN_E10value_typeEPNST_ISO_E10value_typeEPSP_NS1_7vsmem_tEENKUlT_SN_SO_SP_E_clIPjSG_PS9_SI_EESM_S12_SN_SO_SP_EUlS12_E0_NS1_11comp_targetILNS1_3genE9ELNS1_11target_archE1100ELNS1_3gpuE3ELNS1_3repE0EEENS1_38merge_mergepath_config_static_selectorELNS0_4arch9wavefront6targetE0EEEvSO_
	.globl	_ZN7rocprim17ROCPRIM_400000_NS6detail17trampoline_kernelINS0_14default_configENS1_38merge_sort_block_merge_config_selectorIjN6thrust23THRUST_200600_302600_NS5tupleIffNS6_9null_typeES8_S8_S8_S8_S8_S8_S8_EEEEZZNS1_27merge_sort_block_merge_implIS3_NS6_6detail15normal_iteratorINS6_10device_ptrIjEEEENSD_INSE_IS9_EEEEjNS1_19radix_merge_compareILb0ELb0EjNS0_19identity_decomposerEEEEE10hipError_tT0_T1_T2_jT3_P12ihipStream_tbPNSt15iterator_traitsISN_E10value_typeEPNST_ISO_E10value_typeEPSP_NS1_7vsmem_tEENKUlT_SN_SO_SP_E_clIPjSG_PS9_SI_EESM_S12_SN_SO_SP_EUlS12_E0_NS1_11comp_targetILNS1_3genE9ELNS1_11target_archE1100ELNS1_3gpuE3ELNS1_3repE0EEENS1_38merge_mergepath_config_static_selectorELNS0_4arch9wavefront6targetE0EEEvSO_
	.p2align	8
	.type	_ZN7rocprim17ROCPRIM_400000_NS6detail17trampoline_kernelINS0_14default_configENS1_38merge_sort_block_merge_config_selectorIjN6thrust23THRUST_200600_302600_NS5tupleIffNS6_9null_typeES8_S8_S8_S8_S8_S8_S8_EEEEZZNS1_27merge_sort_block_merge_implIS3_NS6_6detail15normal_iteratorINS6_10device_ptrIjEEEENSD_INSE_IS9_EEEEjNS1_19radix_merge_compareILb0ELb0EjNS0_19identity_decomposerEEEEE10hipError_tT0_T1_T2_jT3_P12ihipStream_tbPNSt15iterator_traitsISN_E10value_typeEPNST_ISO_E10value_typeEPSP_NS1_7vsmem_tEENKUlT_SN_SO_SP_E_clIPjSG_PS9_SI_EESM_S12_SN_SO_SP_EUlS12_E0_NS1_11comp_targetILNS1_3genE9ELNS1_11target_archE1100ELNS1_3gpuE3ELNS1_3repE0EEENS1_38merge_mergepath_config_static_selectorELNS0_4arch9wavefront6targetE0EEEvSO_,@function
_ZN7rocprim17ROCPRIM_400000_NS6detail17trampoline_kernelINS0_14default_configENS1_38merge_sort_block_merge_config_selectorIjN6thrust23THRUST_200600_302600_NS5tupleIffNS6_9null_typeES8_S8_S8_S8_S8_S8_S8_EEEEZZNS1_27merge_sort_block_merge_implIS3_NS6_6detail15normal_iteratorINS6_10device_ptrIjEEEENSD_INSE_IS9_EEEEjNS1_19radix_merge_compareILb0ELb0EjNS0_19identity_decomposerEEEEE10hipError_tT0_T1_T2_jT3_P12ihipStream_tbPNSt15iterator_traitsISN_E10value_typeEPNST_ISO_E10value_typeEPSP_NS1_7vsmem_tEENKUlT_SN_SO_SP_E_clIPjSG_PS9_SI_EESM_S12_SN_SO_SP_EUlS12_E0_NS1_11comp_targetILNS1_3genE9ELNS1_11target_archE1100ELNS1_3gpuE3ELNS1_3repE0EEENS1_38merge_mergepath_config_static_selectorELNS0_4arch9wavefront6targetE0EEEvSO_: ; @_ZN7rocprim17ROCPRIM_400000_NS6detail17trampoline_kernelINS0_14default_configENS1_38merge_sort_block_merge_config_selectorIjN6thrust23THRUST_200600_302600_NS5tupleIffNS6_9null_typeES8_S8_S8_S8_S8_S8_S8_EEEEZZNS1_27merge_sort_block_merge_implIS3_NS6_6detail15normal_iteratorINS6_10device_ptrIjEEEENSD_INSE_IS9_EEEEjNS1_19radix_merge_compareILb0ELb0EjNS0_19identity_decomposerEEEEE10hipError_tT0_T1_T2_jT3_P12ihipStream_tbPNSt15iterator_traitsISN_E10value_typeEPNST_ISO_E10value_typeEPSP_NS1_7vsmem_tEENKUlT_SN_SO_SP_E_clIPjSG_PS9_SI_EESM_S12_SN_SO_SP_EUlS12_E0_NS1_11comp_targetILNS1_3genE9ELNS1_11target_archE1100ELNS1_3gpuE3ELNS1_3repE0EEENS1_38merge_mergepath_config_static_selectorELNS0_4arch9wavefront6targetE0EEEvSO_
; %bb.0:
	.section	.rodata,"a",@progbits
	.p2align	6, 0x0
	.amdhsa_kernel _ZN7rocprim17ROCPRIM_400000_NS6detail17trampoline_kernelINS0_14default_configENS1_38merge_sort_block_merge_config_selectorIjN6thrust23THRUST_200600_302600_NS5tupleIffNS6_9null_typeES8_S8_S8_S8_S8_S8_S8_EEEEZZNS1_27merge_sort_block_merge_implIS3_NS6_6detail15normal_iteratorINS6_10device_ptrIjEEEENSD_INSE_IS9_EEEEjNS1_19radix_merge_compareILb0ELb0EjNS0_19identity_decomposerEEEEE10hipError_tT0_T1_T2_jT3_P12ihipStream_tbPNSt15iterator_traitsISN_E10value_typeEPNST_ISO_E10value_typeEPSP_NS1_7vsmem_tEENKUlT_SN_SO_SP_E_clIPjSG_PS9_SI_EESM_S12_SN_SO_SP_EUlS12_E0_NS1_11comp_targetILNS1_3genE9ELNS1_11target_archE1100ELNS1_3gpuE3ELNS1_3repE0EEENS1_38merge_mergepath_config_static_selectorELNS0_4arch9wavefront6targetE0EEEvSO_
		.amdhsa_group_segment_fixed_size 0
		.amdhsa_private_segment_fixed_size 0
		.amdhsa_kernarg_size 64
		.amdhsa_user_sgpr_count 6
		.amdhsa_user_sgpr_private_segment_buffer 1
		.amdhsa_user_sgpr_dispatch_ptr 0
		.amdhsa_user_sgpr_queue_ptr 0
		.amdhsa_user_sgpr_kernarg_segment_ptr 1
		.amdhsa_user_sgpr_dispatch_id 0
		.amdhsa_user_sgpr_flat_scratch_init 0
		.amdhsa_user_sgpr_private_segment_size 0
		.amdhsa_wavefront_size32 1
		.amdhsa_uses_dynamic_stack 0
		.amdhsa_system_sgpr_private_segment_wavefront_offset 0
		.amdhsa_system_sgpr_workgroup_id_x 1
		.amdhsa_system_sgpr_workgroup_id_y 0
		.amdhsa_system_sgpr_workgroup_id_z 0
		.amdhsa_system_sgpr_workgroup_info 0
		.amdhsa_system_vgpr_workitem_id 0
		.amdhsa_next_free_vgpr 1
		.amdhsa_next_free_sgpr 1
		.amdhsa_reserve_vcc 0
		.amdhsa_reserve_flat_scratch 0
		.amdhsa_float_round_mode_32 0
		.amdhsa_float_round_mode_16_64 0
		.amdhsa_float_denorm_mode_32 3
		.amdhsa_float_denorm_mode_16_64 3
		.amdhsa_dx10_clamp 1
		.amdhsa_ieee_mode 1
		.amdhsa_fp16_overflow 0
		.amdhsa_workgroup_processor_mode 1
		.amdhsa_memory_ordered 1
		.amdhsa_forward_progress 1
		.amdhsa_shared_vgpr_count 0
		.amdhsa_exception_fp_ieee_invalid_op 0
		.amdhsa_exception_fp_denorm_src 0
		.amdhsa_exception_fp_ieee_div_zero 0
		.amdhsa_exception_fp_ieee_overflow 0
		.amdhsa_exception_fp_ieee_underflow 0
		.amdhsa_exception_fp_ieee_inexact 0
		.amdhsa_exception_int_div_zero 0
	.end_amdhsa_kernel
	.section	.text._ZN7rocprim17ROCPRIM_400000_NS6detail17trampoline_kernelINS0_14default_configENS1_38merge_sort_block_merge_config_selectorIjN6thrust23THRUST_200600_302600_NS5tupleIffNS6_9null_typeES8_S8_S8_S8_S8_S8_S8_EEEEZZNS1_27merge_sort_block_merge_implIS3_NS6_6detail15normal_iteratorINS6_10device_ptrIjEEEENSD_INSE_IS9_EEEEjNS1_19radix_merge_compareILb0ELb0EjNS0_19identity_decomposerEEEEE10hipError_tT0_T1_T2_jT3_P12ihipStream_tbPNSt15iterator_traitsISN_E10value_typeEPNST_ISO_E10value_typeEPSP_NS1_7vsmem_tEENKUlT_SN_SO_SP_E_clIPjSG_PS9_SI_EESM_S12_SN_SO_SP_EUlS12_E0_NS1_11comp_targetILNS1_3genE9ELNS1_11target_archE1100ELNS1_3gpuE3ELNS1_3repE0EEENS1_38merge_mergepath_config_static_selectorELNS0_4arch9wavefront6targetE0EEEvSO_,"axG",@progbits,_ZN7rocprim17ROCPRIM_400000_NS6detail17trampoline_kernelINS0_14default_configENS1_38merge_sort_block_merge_config_selectorIjN6thrust23THRUST_200600_302600_NS5tupleIffNS6_9null_typeES8_S8_S8_S8_S8_S8_S8_EEEEZZNS1_27merge_sort_block_merge_implIS3_NS6_6detail15normal_iteratorINS6_10device_ptrIjEEEENSD_INSE_IS9_EEEEjNS1_19radix_merge_compareILb0ELb0EjNS0_19identity_decomposerEEEEE10hipError_tT0_T1_T2_jT3_P12ihipStream_tbPNSt15iterator_traitsISN_E10value_typeEPNST_ISO_E10value_typeEPSP_NS1_7vsmem_tEENKUlT_SN_SO_SP_E_clIPjSG_PS9_SI_EESM_S12_SN_SO_SP_EUlS12_E0_NS1_11comp_targetILNS1_3genE9ELNS1_11target_archE1100ELNS1_3gpuE3ELNS1_3repE0EEENS1_38merge_mergepath_config_static_selectorELNS0_4arch9wavefront6targetE0EEEvSO_,comdat
.Lfunc_end39:
	.size	_ZN7rocprim17ROCPRIM_400000_NS6detail17trampoline_kernelINS0_14default_configENS1_38merge_sort_block_merge_config_selectorIjN6thrust23THRUST_200600_302600_NS5tupleIffNS6_9null_typeES8_S8_S8_S8_S8_S8_S8_EEEEZZNS1_27merge_sort_block_merge_implIS3_NS6_6detail15normal_iteratorINS6_10device_ptrIjEEEENSD_INSE_IS9_EEEEjNS1_19radix_merge_compareILb0ELb0EjNS0_19identity_decomposerEEEEE10hipError_tT0_T1_T2_jT3_P12ihipStream_tbPNSt15iterator_traitsISN_E10value_typeEPNST_ISO_E10value_typeEPSP_NS1_7vsmem_tEENKUlT_SN_SO_SP_E_clIPjSG_PS9_SI_EESM_S12_SN_SO_SP_EUlS12_E0_NS1_11comp_targetILNS1_3genE9ELNS1_11target_archE1100ELNS1_3gpuE3ELNS1_3repE0EEENS1_38merge_mergepath_config_static_selectorELNS0_4arch9wavefront6targetE0EEEvSO_, .Lfunc_end39-_ZN7rocprim17ROCPRIM_400000_NS6detail17trampoline_kernelINS0_14default_configENS1_38merge_sort_block_merge_config_selectorIjN6thrust23THRUST_200600_302600_NS5tupleIffNS6_9null_typeES8_S8_S8_S8_S8_S8_S8_EEEEZZNS1_27merge_sort_block_merge_implIS3_NS6_6detail15normal_iteratorINS6_10device_ptrIjEEEENSD_INSE_IS9_EEEEjNS1_19radix_merge_compareILb0ELb0EjNS0_19identity_decomposerEEEEE10hipError_tT0_T1_T2_jT3_P12ihipStream_tbPNSt15iterator_traitsISN_E10value_typeEPNST_ISO_E10value_typeEPSP_NS1_7vsmem_tEENKUlT_SN_SO_SP_E_clIPjSG_PS9_SI_EESM_S12_SN_SO_SP_EUlS12_E0_NS1_11comp_targetILNS1_3genE9ELNS1_11target_archE1100ELNS1_3gpuE3ELNS1_3repE0EEENS1_38merge_mergepath_config_static_selectorELNS0_4arch9wavefront6targetE0EEEvSO_
                                        ; -- End function
	.set _ZN7rocprim17ROCPRIM_400000_NS6detail17trampoline_kernelINS0_14default_configENS1_38merge_sort_block_merge_config_selectorIjN6thrust23THRUST_200600_302600_NS5tupleIffNS6_9null_typeES8_S8_S8_S8_S8_S8_S8_EEEEZZNS1_27merge_sort_block_merge_implIS3_NS6_6detail15normal_iteratorINS6_10device_ptrIjEEEENSD_INSE_IS9_EEEEjNS1_19radix_merge_compareILb0ELb0EjNS0_19identity_decomposerEEEEE10hipError_tT0_T1_T2_jT3_P12ihipStream_tbPNSt15iterator_traitsISN_E10value_typeEPNST_ISO_E10value_typeEPSP_NS1_7vsmem_tEENKUlT_SN_SO_SP_E_clIPjSG_PS9_SI_EESM_S12_SN_SO_SP_EUlS12_E0_NS1_11comp_targetILNS1_3genE9ELNS1_11target_archE1100ELNS1_3gpuE3ELNS1_3repE0EEENS1_38merge_mergepath_config_static_selectorELNS0_4arch9wavefront6targetE0EEEvSO_.num_vgpr, 0
	.set _ZN7rocprim17ROCPRIM_400000_NS6detail17trampoline_kernelINS0_14default_configENS1_38merge_sort_block_merge_config_selectorIjN6thrust23THRUST_200600_302600_NS5tupleIffNS6_9null_typeES8_S8_S8_S8_S8_S8_S8_EEEEZZNS1_27merge_sort_block_merge_implIS3_NS6_6detail15normal_iteratorINS6_10device_ptrIjEEEENSD_INSE_IS9_EEEEjNS1_19radix_merge_compareILb0ELb0EjNS0_19identity_decomposerEEEEE10hipError_tT0_T1_T2_jT3_P12ihipStream_tbPNSt15iterator_traitsISN_E10value_typeEPNST_ISO_E10value_typeEPSP_NS1_7vsmem_tEENKUlT_SN_SO_SP_E_clIPjSG_PS9_SI_EESM_S12_SN_SO_SP_EUlS12_E0_NS1_11comp_targetILNS1_3genE9ELNS1_11target_archE1100ELNS1_3gpuE3ELNS1_3repE0EEENS1_38merge_mergepath_config_static_selectorELNS0_4arch9wavefront6targetE0EEEvSO_.num_agpr, 0
	.set _ZN7rocprim17ROCPRIM_400000_NS6detail17trampoline_kernelINS0_14default_configENS1_38merge_sort_block_merge_config_selectorIjN6thrust23THRUST_200600_302600_NS5tupleIffNS6_9null_typeES8_S8_S8_S8_S8_S8_S8_EEEEZZNS1_27merge_sort_block_merge_implIS3_NS6_6detail15normal_iteratorINS6_10device_ptrIjEEEENSD_INSE_IS9_EEEEjNS1_19radix_merge_compareILb0ELb0EjNS0_19identity_decomposerEEEEE10hipError_tT0_T1_T2_jT3_P12ihipStream_tbPNSt15iterator_traitsISN_E10value_typeEPNST_ISO_E10value_typeEPSP_NS1_7vsmem_tEENKUlT_SN_SO_SP_E_clIPjSG_PS9_SI_EESM_S12_SN_SO_SP_EUlS12_E0_NS1_11comp_targetILNS1_3genE9ELNS1_11target_archE1100ELNS1_3gpuE3ELNS1_3repE0EEENS1_38merge_mergepath_config_static_selectorELNS0_4arch9wavefront6targetE0EEEvSO_.numbered_sgpr, 0
	.set _ZN7rocprim17ROCPRIM_400000_NS6detail17trampoline_kernelINS0_14default_configENS1_38merge_sort_block_merge_config_selectorIjN6thrust23THRUST_200600_302600_NS5tupleIffNS6_9null_typeES8_S8_S8_S8_S8_S8_S8_EEEEZZNS1_27merge_sort_block_merge_implIS3_NS6_6detail15normal_iteratorINS6_10device_ptrIjEEEENSD_INSE_IS9_EEEEjNS1_19radix_merge_compareILb0ELb0EjNS0_19identity_decomposerEEEEE10hipError_tT0_T1_T2_jT3_P12ihipStream_tbPNSt15iterator_traitsISN_E10value_typeEPNST_ISO_E10value_typeEPSP_NS1_7vsmem_tEENKUlT_SN_SO_SP_E_clIPjSG_PS9_SI_EESM_S12_SN_SO_SP_EUlS12_E0_NS1_11comp_targetILNS1_3genE9ELNS1_11target_archE1100ELNS1_3gpuE3ELNS1_3repE0EEENS1_38merge_mergepath_config_static_selectorELNS0_4arch9wavefront6targetE0EEEvSO_.num_named_barrier, 0
	.set _ZN7rocprim17ROCPRIM_400000_NS6detail17trampoline_kernelINS0_14default_configENS1_38merge_sort_block_merge_config_selectorIjN6thrust23THRUST_200600_302600_NS5tupleIffNS6_9null_typeES8_S8_S8_S8_S8_S8_S8_EEEEZZNS1_27merge_sort_block_merge_implIS3_NS6_6detail15normal_iteratorINS6_10device_ptrIjEEEENSD_INSE_IS9_EEEEjNS1_19radix_merge_compareILb0ELb0EjNS0_19identity_decomposerEEEEE10hipError_tT0_T1_T2_jT3_P12ihipStream_tbPNSt15iterator_traitsISN_E10value_typeEPNST_ISO_E10value_typeEPSP_NS1_7vsmem_tEENKUlT_SN_SO_SP_E_clIPjSG_PS9_SI_EESM_S12_SN_SO_SP_EUlS12_E0_NS1_11comp_targetILNS1_3genE9ELNS1_11target_archE1100ELNS1_3gpuE3ELNS1_3repE0EEENS1_38merge_mergepath_config_static_selectorELNS0_4arch9wavefront6targetE0EEEvSO_.private_seg_size, 0
	.set _ZN7rocprim17ROCPRIM_400000_NS6detail17trampoline_kernelINS0_14default_configENS1_38merge_sort_block_merge_config_selectorIjN6thrust23THRUST_200600_302600_NS5tupleIffNS6_9null_typeES8_S8_S8_S8_S8_S8_S8_EEEEZZNS1_27merge_sort_block_merge_implIS3_NS6_6detail15normal_iteratorINS6_10device_ptrIjEEEENSD_INSE_IS9_EEEEjNS1_19radix_merge_compareILb0ELb0EjNS0_19identity_decomposerEEEEE10hipError_tT0_T1_T2_jT3_P12ihipStream_tbPNSt15iterator_traitsISN_E10value_typeEPNST_ISO_E10value_typeEPSP_NS1_7vsmem_tEENKUlT_SN_SO_SP_E_clIPjSG_PS9_SI_EESM_S12_SN_SO_SP_EUlS12_E0_NS1_11comp_targetILNS1_3genE9ELNS1_11target_archE1100ELNS1_3gpuE3ELNS1_3repE0EEENS1_38merge_mergepath_config_static_selectorELNS0_4arch9wavefront6targetE0EEEvSO_.uses_vcc, 0
	.set _ZN7rocprim17ROCPRIM_400000_NS6detail17trampoline_kernelINS0_14default_configENS1_38merge_sort_block_merge_config_selectorIjN6thrust23THRUST_200600_302600_NS5tupleIffNS6_9null_typeES8_S8_S8_S8_S8_S8_S8_EEEEZZNS1_27merge_sort_block_merge_implIS3_NS6_6detail15normal_iteratorINS6_10device_ptrIjEEEENSD_INSE_IS9_EEEEjNS1_19radix_merge_compareILb0ELb0EjNS0_19identity_decomposerEEEEE10hipError_tT0_T1_T2_jT3_P12ihipStream_tbPNSt15iterator_traitsISN_E10value_typeEPNST_ISO_E10value_typeEPSP_NS1_7vsmem_tEENKUlT_SN_SO_SP_E_clIPjSG_PS9_SI_EESM_S12_SN_SO_SP_EUlS12_E0_NS1_11comp_targetILNS1_3genE9ELNS1_11target_archE1100ELNS1_3gpuE3ELNS1_3repE0EEENS1_38merge_mergepath_config_static_selectorELNS0_4arch9wavefront6targetE0EEEvSO_.uses_flat_scratch, 0
	.set _ZN7rocprim17ROCPRIM_400000_NS6detail17trampoline_kernelINS0_14default_configENS1_38merge_sort_block_merge_config_selectorIjN6thrust23THRUST_200600_302600_NS5tupleIffNS6_9null_typeES8_S8_S8_S8_S8_S8_S8_EEEEZZNS1_27merge_sort_block_merge_implIS3_NS6_6detail15normal_iteratorINS6_10device_ptrIjEEEENSD_INSE_IS9_EEEEjNS1_19radix_merge_compareILb0ELb0EjNS0_19identity_decomposerEEEEE10hipError_tT0_T1_T2_jT3_P12ihipStream_tbPNSt15iterator_traitsISN_E10value_typeEPNST_ISO_E10value_typeEPSP_NS1_7vsmem_tEENKUlT_SN_SO_SP_E_clIPjSG_PS9_SI_EESM_S12_SN_SO_SP_EUlS12_E0_NS1_11comp_targetILNS1_3genE9ELNS1_11target_archE1100ELNS1_3gpuE3ELNS1_3repE0EEENS1_38merge_mergepath_config_static_selectorELNS0_4arch9wavefront6targetE0EEEvSO_.has_dyn_sized_stack, 0
	.set _ZN7rocprim17ROCPRIM_400000_NS6detail17trampoline_kernelINS0_14default_configENS1_38merge_sort_block_merge_config_selectorIjN6thrust23THRUST_200600_302600_NS5tupleIffNS6_9null_typeES8_S8_S8_S8_S8_S8_S8_EEEEZZNS1_27merge_sort_block_merge_implIS3_NS6_6detail15normal_iteratorINS6_10device_ptrIjEEEENSD_INSE_IS9_EEEEjNS1_19radix_merge_compareILb0ELb0EjNS0_19identity_decomposerEEEEE10hipError_tT0_T1_T2_jT3_P12ihipStream_tbPNSt15iterator_traitsISN_E10value_typeEPNST_ISO_E10value_typeEPSP_NS1_7vsmem_tEENKUlT_SN_SO_SP_E_clIPjSG_PS9_SI_EESM_S12_SN_SO_SP_EUlS12_E0_NS1_11comp_targetILNS1_3genE9ELNS1_11target_archE1100ELNS1_3gpuE3ELNS1_3repE0EEENS1_38merge_mergepath_config_static_selectorELNS0_4arch9wavefront6targetE0EEEvSO_.has_recursion, 0
	.set _ZN7rocprim17ROCPRIM_400000_NS6detail17trampoline_kernelINS0_14default_configENS1_38merge_sort_block_merge_config_selectorIjN6thrust23THRUST_200600_302600_NS5tupleIffNS6_9null_typeES8_S8_S8_S8_S8_S8_S8_EEEEZZNS1_27merge_sort_block_merge_implIS3_NS6_6detail15normal_iteratorINS6_10device_ptrIjEEEENSD_INSE_IS9_EEEEjNS1_19radix_merge_compareILb0ELb0EjNS0_19identity_decomposerEEEEE10hipError_tT0_T1_T2_jT3_P12ihipStream_tbPNSt15iterator_traitsISN_E10value_typeEPNST_ISO_E10value_typeEPSP_NS1_7vsmem_tEENKUlT_SN_SO_SP_E_clIPjSG_PS9_SI_EESM_S12_SN_SO_SP_EUlS12_E0_NS1_11comp_targetILNS1_3genE9ELNS1_11target_archE1100ELNS1_3gpuE3ELNS1_3repE0EEENS1_38merge_mergepath_config_static_selectorELNS0_4arch9wavefront6targetE0EEEvSO_.has_indirect_call, 0
	.section	.AMDGPU.csdata,"",@progbits
; Kernel info:
; codeLenInByte = 0
; TotalNumSgprs: 0
; NumVgprs: 0
; ScratchSize: 0
; MemoryBound: 0
; FloatMode: 240
; IeeeMode: 1
; LDSByteSize: 0 bytes/workgroup (compile time only)
; SGPRBlocks: 0
; VGPRBlocks: 0
; NumSGPRsForWavesPerEU: 1
; NumVGPRsForWavesPerEU: 1
; Occupancy: 16
; WaveLimiterHint : 0
; COMPUTE_PGM_RSRC2:SCRATCH_EN: 0
; COMPUTE_PGM_RSRC2:USER_SGPR: 6
; COMPUTE_PGM_RSRC2:TRAP_HANDLER: 0
; COMPUTE_PGM_RSRC2:TGID_X_EN: 1
; COMPUTE_PGM_RSRC2:TGID_Y_EN: 0
; COMPUTE_PGM_RSRC2:TGID_Z_EN: 0
; COMPUTE_PGM_RSRC2:TIDIG_COMP_CNT: 0
	.section	.text._ZN7rocprim17ROCPRIM_400000_NS6detail17trampoline_kernelINS0_14default_configENS1_38merge_sort_block_merge_config_selectorIjN6thrust23THRUST_200600_302600_NS5tupleIffNS6_9null_typeES8_S8_S8_S8_S8_S8_S8_EEEEZZNS1_27merge_sort_block_merge_implIS3_NS6_6detail15normal_iteratorINS6_10device_ptrIjEEEENSD_INSE_IS9_EEEEjNS1_19radix_merge_compareILb0ELb0EjNS0_19identity_decomposerEEEEE10hipError_tT0_T1_T2_jT3_P12ihipStream_tbPNSt15iterator_traitsISN_E10value_typeEPNST_ISO_E10value_typeEPSP_NS1_7vsmem_tEENKUlT_SN_SO_SP_E_clIPjSG_PS9_SI_EESM_S12_SN_SO_SP_EUlS12_E0_NS1_11comp_targetILNS1_3genE8ELNS1_11target_archE1030ELNS1_3gpuE2ELNS1_3repE0EEENS1_38merge_mergepath_config_static_selectorELNS0_4arch9wavefront6targetE0EEEvSO_,"axG",@progbits,_ZN7rocprim17ROCPRIM_400000_NS6detail17trampoline_kernelINS0_14default_configENS1_38merge_sort_block_merge_config_selectorIjN6thrust23THRUST_200600_302600_NS5tupleIffNS6_9null_typeES8_S8_S8_S8_S8_S8_S8_EEEEZZNS1_27merge_sort_block_merge_implIS3_NS6_6detail15normal_iteratorINS6_10device_ptrIjEEEENSD_INSE_IS9_EEEEjNS1_19radix_merge_compareILb0ELb0EjNS0_19identity_decomposerEEEEE10hipError_tT0_T1_T2_jT3_P12ihipStream_tbPNSt15iterator_traitsISN_E10value_typeEPNST_ISO_E10value_typeEPSP_NS1_7vsmem_tEENKUlT_SN_SO_SP_E_clIPjSG_PS9_SI_EESM_S12_SN_SO_SP_EUlS12_E0_NS1_11comp_targetILNS1_3genE8ELNS1_11target_archE1030ELNS1_3gpuE2ELNS1_3repE0EEENS1_38merge_mergepath_config_static_selectorELNS0_4arch9wavefront6targetE0EEEvSO_,comdat
	.protected	_ZN7rocprim17ROCPRIM_400000_NS6detail17trampoline_kernelINS0_14default_configENS1_38merge_sort_block_merge_config_selectorIjN6thrust23THRUST_200600_302600_NS5tupleIffNS6_9null_typeES8_S8_S8_S8_S8_S8_S8_EEEEZZNS1_27merge_sort_block_merge_implIS3_NS6_6detail15normal_iteratorINS6_10device_ptrIjEEEENSD_INSE_IS9_EEEEjNS1_19radix_merge_compareILb0ELb0EjNS0_19identity_decomposerEEEEE10hipError_tT0_T1_T2_jT3_P12ihipStream_tbPNSt15iterator_traitsISN_E10value_typeEPNST_ISO_E10value_typeEPSP_NS1_7vsmem_tEENKUlT_SN_SO_SP_E_clIPjSG_PS9_SI_EESM_S12_SN_SO_SP_EUlS12_E0_NS1_11comp_targetILNS1_3genE8ELNS1_11target_archE1030ELNS1_3gpuE2ELNS1_3repE0EEENS1_38merge_mergepath_config_static_selectorELNS0_4arch9wavefront6targetE0EEEvSO_ ; -- Begin function _ZN7rocprim17ROCPRIM_400000_NS6detail17trampoline_kernelINS0_14default_configENS1_38merge_sort_block_merge_config_selectorIjN6thrust23THRUST_200600_302600_NS5tupleIffNS6_9null_typeES8_S8_S8_S8_S8_S8_S8_EEEEZZNS1_27merge_sort_block_merge_implIS3_NS6_6detail15normal_iteratorINS6_10device_ptrIjEEEENSD_INSE_IS9_EEEEjNS1_19radix_merge_compareILb0ELb0EjNS0_19identity_decomposerEEEEE10hipError_tT0_T1_T2_jT3_P12ihipStream_tbPNSt15iterator_traitsISN_E10value_typeEPNST_ISO_E10value_typeEPSP_NS1_7vsmem_tEENKUlT_SN_SO_SP_E_clIPjSG_PS9_SI_EESM_S12_SN_SO_SP_EUlS12_E0_NS1_11comp_targetILNS1_3genE8ELNS1_11target_archE1030ELNS1_3gpuE2ELNS1_3repE0EEENS1_38merge_mergepath_config_static_selectorELNS0_4arch9wavefront6targetE0EEEvSO_
	.globl	_ZN7rocprim17ROCPRIM_400000_NS6detail17trampoline_kernelINS0_14default_configENS1_38merge_sort_block_merge_config_selectorIjN6thrust23THRUST_200600_302600_NS5tupleIffNS6_9null_typeES8_S8_S8_S8_S8_S8_S8_EEEEZZNS1_27merge_sort_block_merge_implIS3_NS6_6detail15normal_iteratorINS6_10device_ptrIjEEEENSD_INSE_IS9_EEEEjNS1_19radix_merge_compareILb0ELb0EjNS0_19identity_decomposerEEEEE10hipError_tT0_T1_T2_jT3_P12ihipStream_tbPNSt15iterator_traitsISN_E10value_typeEPNST_ISO_E10value_typeEPSP_NS1_7vsmem_tEENKUlT_SN_SO_SP_E_clIPjSG_PS9_SI_EESM_S12_SN_SO_SP_EUlS12_E0_NS1_11comp_targetILNS1_3genE8ELNS1_11target_archE1030ELNS1_3gpuE2ELNS1_3repE0EEENS1_38merge_mergepath_config_static_selectorELNS0_4arch9wavefront6targetE0EEEvSO_
	.p2align	8
	.type	_ZN7rocprim17ROCPRIM_400000_NS6detail17trampoline_kernelINS0_14default_configENS1_38merge_sort_block_merge_config_selectorIjN6thrust23THRUST_200600_302600_NS5tupleIffNS6_9null_typeES8_S8_S8_S8_S8_S8_S8_EEEEZZNS1_27merge_sort_block_merge_implIS3_NS6_6detail15normal_iteratorINS6_10device_ptrIjEEEENSD_INSE_IS9_EEEEjNS1_19radix_merge_compareILb0ELb0EjNS0_19identity_decomposerEEEEE10hipError_tT0_T1_T2_jT3_P12ihipStream_tbPNSt15iterator_traitsISN_E10value_typeEPNST_ISO_E10value_typeEPSP_NS1_7vsmem_tEENKUlT_SN_SO_SP_E_clIPjSG_PS9_SI_EESM_S12_SN_SO_SP_EUlS12_E0_NS1_11comp_targetILNS1_3genE8ELNS1_11target_archE1030ELNS1_3gpuE2ELNS1_3repE0EEENS1_38merge_mergepath_config_static_selectorELNS0_4arch9wavefront6targetE0EEEvSO_,@function
_ZN7rocprim17ROCPRIM_400000_NS6detail17trampoline_kernelINS0_14default_configENS1_38merge_sort_block_merge_config_selectorIjN6thrust23THRUST_200600_302600_NS5tupleIffNS6_9null_typeES8_S8_S8_S8_S8_S8_S8_EEEEZZNS1_27merge_sort_block_merge_implIS3_NS6_6detail15normal_iteratorINS6_10device_ptrIjEEEENSD_INSE_IS9_EEEEjNS1_19radix_merge_compareILb0ELb0EjNS0_19identity_decomposerEEEEE10hipError_tT0_T1_T2_jT3_P12ihipStream_tbPNSt15iterator_traitsISN_E10value_typeEPNST_ISO_E10value_typeEPSP_NS1_7vsmem_tEENKUlT_SN_SO_SP_E_clIPjSG_PS9_SI_EESM_S12_SN_SO_SP_EUlS12_E0_NS1_11comp_targetILNS1_3genE8ELNS1_11target_archE1030ELNS1_3gpuE2ELNS1_3repE0EEENS1_38merge_mergepath_config_static_selectorELNS0_4arch9wavefront6targetE0EEEvSO_: ; @_ZN7rocprim17ROCPRIM_400000_NS6detail17trampoline_kernelINS0_14default_configENS1_38merge_sort_block_merge_config_selectorIjN6thrust23THRUST_200600_302600_NS5tupleIffNS6_9null_typeES8_S8_S8_S8_S8_S8_S8_EEEEZZNS1_27merge_sort_block_merge_implIS3_NS6_6detail15normal_iteratorINS6_10device_ptrIjEEEENSD_INSE_IS9_EEEEjNS1_19radix_merge_compareILb0ELb0EjNS0_19identity_decomposerEEEEE10hipError_tT0_T1_T2_jT3_P12ihipStream_tbPNSt15iterator_traitsISN_E10value_typeEPNST_ISO_E10value_typeEPSP_NS1_7vsmem_tEENKUlT_SN_SO_SP_E_clIPjSG_PS9_SI_EESM_S12_SN_SO_SP_EUlS12_E0_NS1_11comp_targetILNS1_3genE8ELNS1_11target_archE1030ELNS1_3gpuE2ELNS1_3repE0EEENS1_38merge_mergepath_config_static_selectorELNS0_4arch9wavefront6targetE0EEEvSO_
; %bb.0:
	s_clause 0x1
	s_load_dwordx2 s[0:1], s[4:5], 0x40
	s_load_dword s2, s[4:5], 0x30
	s_waitcnt lgkmcnt(0)
	s_mul_i32 s1, s1, s8
	s_add_i32 s1, s1, s7
	s_mul_i32 s0, s1, s0
	s_add_i32 s14, s0, s6
	s_cmp_ge_u32 s14, s2
	s_cbranch_scc1 .LBB40_21
; %bb.1:
	s_clause 0x1
	s_load_dwordx2 s[10:11], s[4:5], 0x28
	s_load_dwordx2 s[0:1], s[4:5], 0x38
	s_mov_b32 s15, 0
	v_mov_b32_e32 v2, 0
                                        ; implicit-def: $vgpr5
	s_waitcnt lgkmcnt(0)
	s_lshr_b32 s2, s10, 10
	s_cmp_lg_u32 s14, s2
	s_cselect_b32 s16, -1, 0
	s_lshl_b64 s[2:3], s[14:15], 2
	s_add_u32 s0, s0, s2
	s_addc_u32 s1, s1, s3
	s_load_dwordx2 s[12:13], s[0:1], 0x0
	s_lshr_b32 s0, s11, 9
	s_and_b32 s8, s0, 0x7ffffe
	s_load_dwordx8 s[0:7], s[4:5], 0x8
	s_sub_i32 s9, 0, s8
	s_lshl_b32 s8, s14, 10
	s_and_b32 s17, s14, s9
	s_or_b32 s9, s14, s9
	s_lshl_b32 s14, s17, 11
	s_lshl_b32 s17, s17, 10
	s_add_i32 s14, s14, s11
	s_sub_i32 s18, s8, s17
	s_sub_i32 s17, s14, s17
	s_add_i32 s14, s14, s18
	s_min_u32 s18, s10, s17
	s_add_i32 s17, s17, s11
	s_waitcnt lgkmcnt(0)
	s_sub_i32 s19, s14, s12
	s_sub_i32 s20, s14, s13
	s_min_u32 s14, s10, s19
	s_addk_i32 s20, 0x400
	s_cmp_eq_u32 s9, -1
	s_cselect_b32 s9, s17, s20
	s_cselect_b32 s11, s18, s13
	s_min_u32 s9, s9, s10
	s_sub_i32 s11, s11, s12
	s_sub_i32 s17, s9, s14
	s_mov_b32 s13, s15
	s_add_i32 s9, s17, s11
	v_cmp_gt_u32_e32 vcc_lo, s9, v0
	s_or_b32 s18, s16, vcc_lo
	s_and_saveexec_b32 s19, s18
	s_xor_b32 s19, exec_lo, s19
	s_cbranch_execz .LBB40_3
; %bb.2:
	v_lshlrev_b32_e32 v1, 2, v0
	s_lshl_b64 s[20:21], s[12:13], 2
	s_add_u32 s20, s0, s20
	s_addc_u32 s21, s1, s21
	v_add_co_u32 v3, s20, s20, v1
	v_sub_co_u32 v1, vcc_lo, v0, s11
	v_add_co_ci_u32_e64 v4, null, s21, 0, s20
	s_lshl_b64 s[20:21], s[14:15], 2
	v_lshlrev_b64 v[1:2], 2, v[1:2]
	s_add_u32 s0, s0, s20
	s_addc_u32 s1, s1, s21
	v_add_co_u32 v1, s0, s0, v1
	v_add_co_ci_u32_e64 v2, null, s1, v2, s0
	v_cndmask_b32_e32 v1, v1, v3, vcc_lo
	v_cndmask_b32_e32 v2, v2, v4, vcc_lo
	global_load_dword v5, v[1:2], off
.LBB40_3:
	s_andn2_saveexec_b32 s0, s19
; %bb.4:
                                        ; implicit-def: $vgpr5
; %bb.5:
	s_or_b32 exec_lo, exec_lo, s0
	v_lshlrev_b32_e32 v4, 2, v0
	v_mov_b32_e32 v2, 0
	v_lshlrev_b32_e32 v3, 3, v0
	v_mov_b32_e32 v1, 0
	s_waitcnt vmcnt(0)
	ds_write_b32 v4, v5
	s_and_saveexec_b32 s1, s18
	s_cbranch_execz .LBB40_7
; %bb.6:
	v_mov_b32_e32 v2, 0
	v_sub_co_u32 v1, vcc_lo, v0, s11
	s_lshl_b64 s[12:13], s[12:13], 3
	s_add_u32 s0, s4, s12
	s_addc_u32 s12, s5, s13
	v_add_co_u32 v6, s0, s0, v3
	v_lshlrev_b64 v[1:2], 3, v[1:2]
	v_add_co_ci_u32_e64 v7, null, s12, 0, s0
	s_lshl_b64 s[12:13], s[14:15], 3
	s_add_u32 s0, s4, s12
	s_addc_u32 s4, s5, s13
	v_add_co_u32 v1, s0, s0, v1
	v_add_co_ci_u32_e64 v2, null, s4, v2, s0
	v_cndmask_b32_e32 v1, v1, v6, vcc_lo
	v_cndmask_b32_e32 v2, v2, v7, vcc_lo
	global_load_dwordx2 v[1:2], v[1:2], off
.LBB40_7:
	s_or_b32 exec_lo, exec_lo, s1
	v_min_u32_e32 v7, s9, v0
	s_mov_b32 s0, exec_lo
	s_waitcnt vmcnt(0) lgkmcnt(0)
	s_barrier
	buffer_gl0_inv
	v_sub_nc_u32_e64 v6, v7, s17 clamp
	v_min_u32_e32 v8, s11, v7
	v_cmpx_lt_u32_e64 v6, v8
	s_cbranch_execz .LBB40_11
; %bb.8:
	v_lshlrev_b32_e32 v9, 2, v7
	s_mov_b32 s1, 0
	v_lshl_add_u32 v9, s11, 2, v9
	.p2align	6
.LBB40_9:                               ; =>This Inner Loop Header: Depth=1
	v_add_nc_u32_e32 v10, v8, v6
	v_lshrrev_b32_e32 v10, 1, v10
	v_not_b32_e32 v11, v10
	v_lshlrev_b32_e32 v12, 2, v10
	v_add_nc_u32_e32 v13, 1, v10
	v_lshl_add_u32 v11, v11, 2, v9
	ds_read_b32 v12, v12
	ds_read_b32 v11, v11
	s_waitcnt lgkmcnt(0)
	v_cmp_gt_u32_e32 vcc_lo, v12, v11
	v_cndmask_b32_e32 v8, v8, v10, vcc_lo
	v_cndmask_b32_e32 v6, v13, v6, vcc_lo
	v_cmp_ge_u32_e32 vcc_lo, v6, v8
	s_or_b32 s1, vcc_lo, s1
	s_andn2_b32 exec_lo, exec_lo, s1
	s_cbranch_execnz .LBB40_9
; %bb.10:
	s_or_b32 exec_lo, exec_lo, s1
.LBB40_11:
	s_or_b32 exec_lo, exec_lo, s0
	v_sub_nc_u32_e32 v7, v7, v6
	v_cmp_ge_u32_e32 vcc_lo, s11, v6
	v_mov_b32_e32 v8, 0
	v_add_nc_u32_e32 v7, s11, v7
	v_cmp_ge_u32_e64 s0, s9, v7
	s_or_b32 s0, vcc_lo, s0
	s_and_saveexec_b32 s4, s0
	s_cbranch_execz .LBB40_17
; %bb.12:
	v_cmp_gt_u32_e32 vcc_lo, s11, v6
                                        ; implicit-def: $vgpr5
	s_and_saveexec_b32 s0, vcc_lo
; %bb.13:
	v_lshlrev_b32_e32 v5, 2, v6
	ds_read_b32 v5, v5
; %bb.14:
	s_or_b32 exec_lo, exec_lo, s0
	v_cmp_le_u32_e64 s0, s9, v7
	s_mov_b32 s5, exec_lo
                                        ; implicit-def: $vgpr9
	v_cmpx_gt_u32_e64 s9, v7
; %bb.15:
	v_lshlrev_b32_e32 v8, 2, v7
	ds_read_b32 v9, v8
; %bb.16:
	s_or_b32 exec_lo, exec_lo, s5
	s_waitcnt lgkmcnt(0)
	v_cmp_le_u32_e64 s1, v5, v9
	s_and_b32 s1, vcc_lo, s1
	s_or_b32 vcc_lo, s0, s1
	v_cndmask_b32_e32 v8, v7, v6, vcc_lo
	v_cndmask_b32_e32 v5, v9, v5, vcc_lo
.LBB40_17:
	s_or_b32 exec_lo, exec_lo, s4
	v_add_nc_u32_e32 v6, v4, v4
	v_lshlrev_b32_e32 v7, 3, v8
	s_barrier
	buffer_gl0_inv
	ds_write_b64 v6, v[1:2]
	s_waitcnt lgkmcnt(0)
	s_barrier
	buffer_gl0_inv
	ds_read_b64 v[1:2], v7
	s_mov_b32 s9, 0
	s_mov_b32 s1, -1
	s_and_b32 vcc_lo, exec_lo, s16
	s_mov_b32 s0, s9
	s_waitcnt lgkmcnt(0)
	s_barrier
	buffer_gl0_inv
	s_barrier
	buffer_gl0_inv
	ds_write_b32 v4, v5
	s_waitcnt lgkmcnt(0)
	s_cbranch_vccnz .LBB40_22
; %bb.18:
	s_andn2_b32 vcc_lo, exec_lo, s1
	s_cbranch_vccz .LBB40_23
.LBB40_19:
	s_and_saveexec_b32 s1, s0
	s_cbranch_execz .LBB40_21
.LBB40_20:
	ds_read_b64 v[0:1], v6
	s_lshl_b64 s[0:1], s[8:9], 3
	s_add_u32 s0, s6, s0
	s_addc_u32 s1, s7, s1
	s_waitcnt lgkmcnt(0)
	global_store_dwordx2 v3, v[0:1], s[0:1]
.LBB40_21:
	s_endpgm
.LBB40_22:
	s_barrier
	buffer_gl0_inv
	ds_read_b32 v5, v4
	s_lshl_b64 s[4:5], s[8:9], 2
	s_add_u32 s4, s2, s4
	s_addc_u32 s5, s3, s5
	s_mov_b32 s0, -1
	s_waitcnt lgkmcnt(0)
	global_store_dword v4, v5, s[4:5]
	s_waitcnt_vscnt null, 0x0
	s_barrier
	buffer_gl0_inv
	ds_write_b64 v6, v[1:2]
	s_waitcnt lgkmcnt(0)
	s_barrier
	buffer_gl0_inv
	s_cbranch_execnz .LBB40_19
.LBB40_23:
	s_sub_i32 s0, s10, s8
	s_barrier
	v_cmp_gt_u32_e64 s0, s0, v0
	buffer_gl0_inv
	s_and_saveexec_b32 s1, s0
	s_cbranch_execz .LBB40_25
; %bb.24:
	ds_read_b32 v0, v4
	s_lshl_b64 s[4:5], s[8:9], 2
	s_add_u32 s2, s2, s4
	s_addc_u32 s3, s3, s5
	s_waitcnt lgkmcnt(0)
	global_store_dword v4, v0, s[2:3]
.LBB40_25:
	s_or_b32 exec_lo, exec_lo, s1
	s_waitcnt_vscnt null, 0x0
	s_barrier
	buffer_gl0_inv
	ds_write_b64 v6, v[1:2]
	s_waitcnt lgkmcnt(0)
	s_barrier
	buffer_gl0_inv
	s_and_saveexec_b32 s1, s0
	s_cbranch_execnz .LBB40_20
	s_branch .LBB40_21
	.section	.rodata,"a",@progbits
	.p2align	6, 0x0
	.amdhsa_kernel _ZN7rocprim17ROCPRIM_400000_NS6detail17trampoline_kernelINS0_14default_configENS1_38merge_sort_block_merge_config_selectorIjN6thrust23THRUST_200600_302600_NS5tupleIffNS6_9null_typeES8_S8_S8_S8_S8_S8_S8_EEEEZZNS1_27merge_sort_block_merge_implIS3_NS6_6detail15normal_iteratorINS6_10device_ptrIjEEEENSD_INSE_IS9_EEEEjNS1_19radix_merge_compareILb0ELb0EjNS0_19identity_decomposerEEEEE10hipError_tT0_T1_T2_jT3_P12ihipStream_tbPNSt15iterator_traitsISN_E10value_typeEPNST_ISO_E10value_typeEPSP_NS1_7vsmem_tEENKUlT_SN_SO_SP_E_clIPjSG_PS9_SI_EESM_S12_SN_SO_SP_EUlS12_E0_NS1_11comp_targetILNS1_3genE8ELNS1_11target_archE1030ELNS1_3gpuE2ELNS1_3repE0EEENS1_38merge_mergepath_config_static_selectorELNS0_4arch9wavefront6targetE0EEEvSO_
		.amdhsa_group_segment_fixed_size 8208
		.amdhsa_private_segment_fixed_size 0
		.amdhsa_kernarg_size 320
		.amdhsa_user_sgpr_count 6
		.amdhsa_user_sgpr_private_segment_buffer 1
		.amdhsa_user_sgpr_dispatch_ptr 0
		.amdhsa_user_sgpr_queue_ptr 0
		.amdhsa_user_sgpr_kernarg_segment_ptr 1
		.amdhsa_user_sgpr_dispatch_id 0
		.amdhsa_user_sgpr_flat_scratch_init 0
		.amdhsa_user_sgpr_private_segment_size 0
		.amdhsa_wavefront_size32 1
		.amdhsa_uses_dynamic_stack 0
		.amdhsa_system_sgpr_private_segment_wavefront_offset 0
		.amdhsa_system_sgpr_workgroup_id_x 1
		.amdhsa_system_sgpr_workgroup_id_y 1
		.amdhsa_system_sgpr_workgroup_id_z 1
		.amdhsa_system_sgpr_workgroup_info 0
		.amdhsa_system_vgpr_workitem_id 0
		.amdhsa_next_free_vgpr 14
		.amdhsa_next_free_sgpr 22
		.amdhsa_reserve_vcc 1
		.amdhsa_reserve_flat_scratch 0
		.amdhsa_float_round_mode_32 0
		.amdhsa_float_round_mode_16_64 0
		.amdhsa_float_denorm_mode_32 3
		.amdhsa_float_denorm_mode_16_64 3
		.amdhsa_dx10_clamp 1
		.amdhsa_ieee_mode 1
		.amdhsa_fp16_overflow 0
		.amdhsa_workgroup_processor_mode 1
		.amdhsa_memory_ordered 1
		.amdhsa_forward_progress 1
		.amdhsa_shared_vgpr_count 0
		.amdhsa_exception_fp_ieee_invalid_op 0
		.amdhsa_exception_fp_denorm_src 0
		.amdhsa_exception_fp_ieee_div_zero 0
		.amdhsa_exception_fp_ieee_overflow 0
		.amdhsa_exception_fp_ieee_underflow 0
		.amdhsa_exception_fp_ieee_inexact 0
		.amdhsa_exception_int_div_zero 0
	.end_amdhsa_kernel
	.section	.text._ZN7rocprim17ROCPRIM_400000_NS6detail17trampoline_kernelINS0_14default_configENS1_38merge_sort_block_merge_config_selectorIjN6thrust23THRUST_200600_302600_NS5tupleIffNS6_9null_typeES8_S8_S8_S8_S8_S8_S8_EEEEZZNS1_27merge_sort_block_merge_implIS3_NS6_6detail15normal_iteratorINS6_10device_ptrIjEEEENSD_INSE_IS9_EEEEjNS1_19radix_merge_compareILb0ELb0EjNS0_19identity_decomposerEEEEE10hipError_tT0_T1_T2_jT3_P12ihipStream_tbPNSt15iterator_traitsISN_E10value_typeEPNST_ISO_E10value_typeEPSP_NS1_7vsmem_tEENKUlT_SN_SO_SP_E_clIPjSG_PS9_SI_EESM_S12_SN_SO_SP_EUlS12_E0_NS1_11comp_targetILNS1_3genE8ELNS1_11target_archE1030ELNS1_3gpuE2ELNS1_3repE0EEENS1_38merge_mergepath_config_static_selectorELNS0_4arch9wavefront6targetE0EEEvSO_,"axG",@progbits,_ZN7rocprim17ROCPRIM_400000_NS6detail17trampoline_kernelINS0_14default_configENS1_38merge_sort_block_merge_config_selectorIjN6thrust23THRUST_200600_302600_NS5tupleIffNS6_9null_typeES8_S8_S8_S8_S8_S8_S8_EEEEZZNS1_27merge_sort_block_merge_implIS3_NS6_6detail15normal_iteratorINS6_10device_ptrIjEEEENSD_INSE_IS9_EEEEjNS1_19radix_merge_compareILb0ELb0EjNS0_19identity_decomposerEEEEE10hipError_tT0_T1_T2_jT3_P12ihipStream_tbPNSt15iterator_traitsISN_E10value_typeEPNST_ISO_E10value_typeEPSP_NS1_7vsmem_tEENKUlT_SN_SO_SP_E_clIPjSG_PS9_SI_EESM_S12_SN_SO_SP_EUlS12_E0_NS1_11comp_targetILNS1_3genE8ELNS1_11target_archE1030ELNS1_3gpuE2ELNS1_3repE0EEENS1_38merge_mergepath_config_static_selectorELNS0_4arch9wavefront6targetE0EEEvSO_,comdat
.Lfunc_end40:
	.size	_ZN7rocprim17ROCPRIM_400000_NS6detail17trampoline_kernelINS0_14default_configENS1_38merge_sort_block_merge_config_selectorIjN6thrust23THRUST_200600_302600_NS5tupleIffNS6_9null_typeES8_S8_S8_S8_S8_S8_S8_EEEEZZNS1_27merge_sort_block_merge_implIS3_NS6_6detail15normal_iteratorINS6_10device_ptrIjEEEENSD_INSE_IS9_EEEEjNS1_19radix_merge_compareILb0ELb0EjNS0_19identity_decomposerEEEEE10hipError_tT0_T1_T2_jT3_P12ihipStream_tbPNSt15iterator_traitsISN_E10value_typeEPNST_ISO_E10value_typeEPSP_NS1_7vsmem_tEENKUlT_SN_SO_SP_E_clIPjSG_PS9_SI_EESM_S12_SN_SO_SP_EUlS12_E0_NS1_11comp_targetILNS1_3genE8ELNS1_11target_archE1030ELNS1_3gpuE2ELNS1_3repE0EEENS1_38merge_mergepath_config_static_selectorELNS0_4arch9wavefront6targetE0EEEvSO_, .Lfunc_end40-_ZN7rocprim17ROCPRIM_400000_NS6detail17trampoline_kernelINS0_14default_configENS1_38merge_sort_block_merge_config_selectorIjN6thrust23THRUST_200600_302600_NS5tupleIffNS6_9null_typeES8_S8_S8_S8_S8_S8_S8_EEEEZZNS1_27merge_sort_block_merge_implIS3_NS6_6detail15normal_iteratorINS6_10device_ptrIjEEEENSD_INSE_IS9_EEEEjNS1_19radix_merge_compareILb0ELb0EjNS0_19identity_decomposerEEEEE10hipError_tT0_T1_T2_jT3_P12ihipStream_tbPNSt15iterator_traitsISN_E10value_typeEPNST_ISO_E10value_typeEPSP_NS1_7vsmem_tEENKUlT_SN_SO_SP_E_clIPjSG_PS9_SI_EESM_S12_SN_SO_SP_EUlS12_E0_NS1_11comp_targetILNS1_3genE8ELNS1_11target_archE1030ELNS1_3gpuE2ELNS1_3repE0EEENS1_38merge_mergepath_config_static_selectorELNS0_4arch9wavefront6targetE0EEEvSO_
                                        ; -- End function
	.set _ZN7rocprim17ROCPRIM_400000_NS6detail17trampoline_kernelINS0_14default_configENS1_38merge_sort_block_merge_config_selectorIjN6thrust23THRUST_200600_302600_NS5tupleIffNS6_9null_typeES8_S8_S8_S8_S8_S8_S8_EEEEZZNS1_27merge_sort_block_merge_implIS3_NS6_6detail15normal_iteratorINS6_10device_ptrIjEEEENSD_INSE_IS9_EEEEjNS1_19radix_merge_compareILb0ELb0EjNS0_19identity_decomposerEEEEE10hipError_tT0_T1_T2_jT3_P12ihipStream_tbPNSt15iterator_traitsISN_E10value_typeEPNST_ISO_E10value_typeEPSP_NS1_7vsmem_tEENKUlT_SN_SO_SP_E_clIPjSG_PS9_SI_EESM_S12_SN_SO_SP_EUlS12_E0_NS1_11comp_targetILNS1_3genE8ELNS1_11target_archE1030ELNS1_3gpuE2ELNS1_3repE0EEENS1_38merge_mergepath_config_static_selectorELNS0_4arch9wavefront6targetE0EEEvSO_.num_vgpr, 14
	.set _ZN7rocprim17ROCPRIM_400000_NS6detail17trampoline_kernelINS0_14default_configENS1_38merge_sort_block_merge_config_selectorIjN6thrust23THRUST_200600_302600_NS5tupleIffNS6_9null_typeES8_S8_S8_S8_S8_S8_S8_EEEEZZNS1_27merge_sort_block_merge_implIS3_NS6_6detail15normal_iteratorINS6_10device_ptrIjEEEENSD_INSE_IS9_EEEEjNS1_19radix_merge_compareILb0ELb0EjNS0_19identity_decomposerEEEEE10hipError_tT0_T1_T2_jT3_P12ihipStream_tbPNSt15iterator_traitsISN_E10value_typeEPNST_ISO_E10value_typeEPSP_NS1_7vsmem_tEENKUlT_SN_SO_SP_E_clIPjSG_PS9_SI_EESM_S12_SN_SO_SP_EUlS12_E0_NS1_11comp_targetILNS1_3genE8ELNS1_11target_archE1030ELNS1_3gpuE2ELNS1_3repE0EEENS1_38merge_mergepath_config_static_selectorELNS0_4arch9wavefront6targetE0EEEvSO_.num_agpr, 0
	.set _ZN7rocprim17ROCPRIM_400000_NS6detail17trampoline_kernelINS0_14default_configENS1_38merge_sort_block_merge_config_selectorIjN6thrust23THRUST_200600_302600_NS5tupleIffNS6_9null_typeES8_S8_S8_S8_S8_S8_S8_EEEEZZNS1_27merge_sort_block_merge_implIS3_NS6_6detail15normal_iteratorINS6_10device_ptrIjEEEENSD_INSE_IS9_EEEEjNS1_19radix_merge_compareILb0ELb0EjNS0_19identity_decomposerEEEEE10hipError_tT0_T1_T2_jT3_P12ihipStream_tbPNSt15iterator_traitsISN_E10value_typeEPNST_ISO_E10value_typeEPSP_NS1_7vsmem_tEENKUlT_SN_SO_SP_E_clIPjSG_PS9_SI_EESM_S12_SN_SO_SP_EUlS12_E0_NS1_11comp_targetILNS1_3genE8ELNS1_11target_archE1030ELNS1_3gpuE2ELNS1_3repE0EEENS1_38merge_mergepath_config_static_selectorELNS0_4arch9wavefront6targetE0EEEvSO_.numbered_sgpr, 22
	.set _ZN7rocprim17ROCPRIM_400000_NS6detail17trampoline_kernelINS0_14default_configENS1_38merge_sort_block_merge_config_selectorIjN6thrust23THRUST_200600_302600_NS5tupleIffNS6_9null_typeES8_S8_S8_S8_S8_S8_S8_EEEEZZNS1_27merge_sort_block_merge_implIS3_NS6_6detail15normal_iteratorINS6_10device_ptrIjEEEENSD_INSE_IS9_EEEEjNS1_19radix_merge_compareILb0ELb0EjNS0_19identity_decomposerEEEEE10hipError_tT0_T1_T2_jT3_P12ihipStream_tbPNSt15iterator_traitsISN_E10value_typeEPNST_ISO_E10value_typeEPSP_NS1_7vsmem_tEENKUlT_SN_SO_SP_E_clIPjSG_PS9_SI_EESM_S12_SN_SO_SP_EUlS12_E0_NS1_11comp_targetILNS1_3genE8ELNS1_11target_archE1030ELNS1_3gpuE2ELNS1_3repE0EEENS1_38merge_mergepath_config_static_selectorELNS0_4arch9wavefront6targetE0EEEvSO_.num_named_barrier, 0
	.set _ZN7rocprim17ROCPRIM_400000_NS6detail17trampoline_kernelINS0_14default_configENS1_38merge_sort_block_merge_config_selectorIjN6thrust23THRUST_200600_302600_NS5tupleIffNS6_9null_typeES8_S8_S8_S8_S8_S8_S8_EEEEZZNS1_27merge_sort_block_merge_implIS3_NS6_6detail15normal_iteratorINS6_10device_ptrIjEEEENSD_INSE_IS9_EEEEjNS1_19radix_merge_compareILb0ELb0EjNS0_19identity_decomposerEEEEE10hipError_tT0_T1_T2_jT3_P12ihipStream_tbPNSt15iterator_traitsISN_E10value_typeEPNST_ISO_E10value_typeEPSP_NS1_7vsmem_tEENKUlT_SN_SO_SP_E_clIPjSG_PS9_SI_EESM_S12_SN_SO_SP_EUlS12_E0_NS1_11comp_targetILNS1_3genE8ELNS1_11target_archE1030ELNS1_3gpuE2ELNS1_3repE0EEENS1_38merge_mergepath_config_static_selectorELNS0_4arch9wavefront6targetE0EEEvSO_.private_seg_size, 0
	.set _ZN7rocprim17ROCPRIM_400000_NS6detail17trampoline_kernelINS0_14default_configENS1_38merge_sort_block_merge_config_selectorIjN6thrust23THRUST_200600_302600_NS5tupleIffNS6_9null_typeES8_S8_S8_S8_S8_S8_S8_EEEEZZNS1_27merge_sort_block_merge_implIS3_NS6_6detail15normal_iteratorINS6_10device_ptrIjEEEENSD_INSE_IS9_EEEEjNS1_19radix_merge_compareILb0ELb0EjNS0_19identity_decomposerEEEEE10hipError_tT0_T1_T2_jT3_P12ihipStream_tbPNSt15iterator_traitsISN_E10value_typeEPNST_ISO_E10value_typeEPSP_NS1_7vsmem_tEENKUlT_SN_SO_SP_E_clIPjSG_PS9_SI_EESM_S12_SN_SO_SP_EUlS12_E0_NS1_11comp_targetILNS1_3genE8ELNS1_11target_archE1030ELNS1_3gpuE2ELNS1_3repE0EEENS1_38merge_mergepath_config_static_selectorELNS0_4arch9wavefront6targetE0EEEvSO_.uses_vcc, 1
	.set _ZN7rocprim17ROCPRIM_400000_NS6detail17trampoline_kernelINS0_14default_configENS1_38merge_sort_block_merge_config_selectorIjN6thrust23THRUST_200600_302600_NS5tupleIffNS6_9null_typeES8_S8_S8_S8_S8_S8_S8_EEEEZZNS1_27merge_sort_block_merge_implIS3_NS6_6detail15normal_iteratorINS6_10device_ptrIjEEEENSD_INSE_IS9_EEEEjNS1_19radix_merge_compareILb0ELb0EjNS0_19identity_decomposerEEEEE10hipError_tT0_T1_T2_jT3_P12ihipStream_tbPNSt15iterator_traitsISN_E10value_typeEPNST_ISO_E10value_typeEPSP_NS1_7vsmem_tEENKUlT_SN_SO_SP_E_clIPjSG_PS9_SI_EESM_S12_SN_SO_SP_EUlS12_E0_NS1_11comp_targetILNS1_3genE8ELNS1_11target_archE1030ELNS1_3gpuE2ELNS1_3repE0EEENS1_38merge_mergepath_config_static_selectorELNS0_4arch9wavefront6targetE0EEEvSO_.uses_flat_scratch, 0
	.set _ZN7rocprim17ROCPRIM_400000_NS6detail17trampoline_kernelINS0_14default_configENS1_38merge_sort_block_merge_config_selectorIjN6thrust23THRUST_200600_302600_NS5tupleIffNS6_9null_typeES8_S8_S8_S8_S8_S8_S8_EEEEZZNS1_27merge_sort_block_merge_implIS3_NS6_6detail15normal_iteratorINS6_10device_ptrIjEEEENSD_INSE_IS9_EEEEjNS1_19radix_merge_compareILb0ELb0EjNS0_19identity_decomposerEEEEE10hipError_tT0_T1_T2_jT3_P12ihipStream_tbPNSt15iterator_traitsISN_E10value_typeEPNST_ISO_E10value_typeEPSP_NS1_7vsmem_tEENKUlT_SN_SO_SP_E_clIPjSG_PS9_SI_EESM_S12_SN_SO_SP_EUlS12_E0_NS1_11comp_targetILNS1_3genE8ELNS1_11target_archE1030ELNS1_3gpuE2ELNS1_3repE0EEENS1_38merge_mergepath_config_static_selectorELNS0_4arch9wavefront6targetE0EEEvSO_.has_dyn_sized_stack, 0
	.set _ZN7rocprim17ROCPRIM_400000_NS6detail17trampoline_kernelINS0_14default_configENS1_38merge_sort_block_merge_config_selectorIjN6thrust23THRUST_200600_302600_NS5tupleIffNS6_9null_typeES8_S8_S8_S8_S8_S8_S8_EEEEZZNS1_27merge_sort_block_merge_implIS3_NS6_6detail15normal_iteratorINS6_10device_ptrIjEEEENSD_INSE_IS9_EEEEjNS1_19radix_merge_compareILb0ELb0EjNS0_19identity_decomposerEEEEE10hipError_tT0_T1_T2_jT3_P12ihipStream_tbPNSt15iterator_traitsISN_E10value_typeEPNST_ISO_E10value_typeEPSP_NS1_7vsmem_tEENKUlT_SN_SO_SP_E_clIPjSG_PS9_SI_EESM_S12_SN_SO_SP_EUlS12_E0_NS1_11comp_targetILNS1_3genE8ELNS1_11target_archE1030ELNS1_3gpuE2ELNS1_3repE0EEENS1_38merge_mergepath_config_static_selectorELNS0_4arch9wavefront6targetE0EEEvSO_.has_recursion, 0
	.set _ZN7rocprim17ROCPRIM_400000_NS6detail17trampoline_kernelINS0_14default_configENS1_38merge_sort_block_merge_config_selectorIjN6thrust23THRUST_200600_302600_NS5tupleIffNS6_9null_typeES8_S8_S8_S8_S8_S8_S8_EEEEZZNS1_27merge_sort_block_merge_implIS3_NS6_6detail15normal_iteratorINS6_10device_ptrIjEEEENSD_INSE_IS9_EEEEjNS1_19radix_merge_compareILb0ELb0EjNS0_19identity_decomposerEEEEE10hipError_tT0_T1_T2_jT3_P12ihipStream_tbPNSt15iterator_traitsISN_E10value_typeEPNST_ISO_E10value_typeEPSP_NS1_7vsmem_tEENKUlT_SN_SO_SP_E_clIPjSG_PS9_SI_EESM_S12_SN_SO_SP_EUlS12_E0_NS1_11comp_targetILNS1_3genE8ELNS1_11target_archE1030ELNS1_3gpuE2ELNS1_3repE0EEENS1_38merge_mergepath_config_static_selectorELNS0_4arch9wavefront6targetE0EEEvSO_.has_indirect_call, 0
	.section	.AMDGPU.csdata,"",@progbits
; Kernel info:
; codeLenInByte = 1164
; TotalNumSgprs: 24
; NumVgprs: 14
; ScratchSize: 0
; MemoryBound: 0
; FloatMode: 240
; IeeeMode: 1
; LDSByteSize: 8208 bytes/workgroup (compile time only)
; SGPRBlocks: 0
; VGPRBlocks: 1
; NumSGPRsForWavesPerEU: 24
; NumVGPRsForWavesPerEU: 14
; Occupancy: 16
; WaveLimiterHint : 1
; COMPUTE_PGM_RSRC2:SCRATCH_EN: 0
; COMPUTE_PGM_RSRC2:USER_SGPR: 6
; COMPUTE_PGM_RSRC2:TRAP_HANDLER: 0
; COMPUTE_PGM_RSRC2:TGID_X_EN: 1
; COMPUTE_PGM_RSRC2:TGID_Y_EN: 1
; COMPUTE_PGM_RSRC2:TGID_Z_EN: 1
; COMPUTE_PGM_RSRC2:TIDIG_COMP_CNT: 0
	.section	.text._ZN7rocprim17ROCPRIM_400000_NS6detail17trampoline_kernelINS0_14default_configENS1_38merge_sort_block_merge_config_selectorIjN6thrust23THRUST_200600_302600_NS5tupleIffNS6_9null_typeES8_S8_S8_S8_S8_S8_S8_EEEEZZNS1_27merge_sort_block_merge_implIS3_NS6_6detail15normal_iteratorINS6_10device_ptrIjEEEENSD_INSE_IS9_EEEEjNS1_19radix_merge_compareILb0ELb0EjNS0_19identity_decomposerEEEEE10hipError_tT0_T1_T2_jT3_P12ihipStream_tbPNSt15iterator_traitsISN_E10value_typeEPNST_ISO_E10value_typeEPSP_NS1_7vsmem_tEENKUlT_SN_SO_SP_E_clIPjSG_PS9_SI_EESM_S12_SN_SO_SP_EUlS12_E1_NS1_11comp_targetILNS1_3genE0ELNS1_11target_archE4294967295ELNS1_3gpuE0ELNS1_3repE0EEENS1_36merge_oddeven_config_static_selectorELNS0_4arch9wavefront6targetE0EEEvSO_,"axG",@progbits,_ZN7rocprim17ROCPRIM_400000_NS6detail17trampoline_kernelINS0_14default_configENS1_38merge_sort_block_merge_config_selectorIjN6thrust23THRUST_200600_302600_NS5tupleIffNS6_9null_typeES8_S8_S8_S8_S8_S8_S8_EEEEZZNS1_27merge_sort_block_merge_implIS3_NS6_6detail15normal_iteratorINS6_10device_ptrIjEEEENSD_INSE_IS9_EEEEjNS1_19radix_merge_compareILb0ELb0EjNS0_19identity_decomposerEEEEE10hipError_tT0_T1_T2_jT3_P12ihipStream_tbPNSt15iterator_traitsISN_E10value_typeEPNST_ISO_E10value_typeEPSP_NS1_7vsmem_tEENKUlT_SN_SO_SP_E_clIPjSG_PS9_SI_EESM_S12_SN_SO_SP_EUlS12_E1_NS1_11comp_targetILNS1_3genE0ELNS1_11target_archE4294967295ELNS1_3gpuE0ELNS1_3repE0EEENS1_36merge_oddeven_config_static_selectorELNS0_4arch9wavefront6targetE0EEEvSO_,comdat
	.protected	_ZN7rocprim17ROCPRIM_400000_NS6detail17trampoline_kernelINS0_14default_configENS1_38merge_sort_block_merge_config_selectorIjN6thrust23THRUST_200600_302600_NS5tupleIffNS6_9null_typeES8_S8_S8_S8_S8_S8_S8_EEEEZZNS1_27merge_sort_block_merge_implIS3_NS6_6detail15normal_iteratorINS6_10device_ptrIjEEEENSD_INSE_IS9_EEEEjNS1_19radix_merge_compareILb0ELb0EjNS0_19identity_decomposerEEEEE10hipError_tT0_T1_T2_jT3_P12ihipStream_tbPNSt15iterator_traitsISN_E10value_typeEPNST_ISO_E10value_typeEPSP_NS1_7vsmem_tEENKUlT_SN_SO_SP_E_clIPjSG_PS9_SI_EESM_S12_SN_SO_SP_EUlS12_E1_NS1_11comp_targetILNS1_3genE0ELNS1_11target_archE4294967295ELNS1_3gpuE0ELNS1_3repE0EEENS1_36merge_oddeven_config_static_selectorELNS0_4arch9wavefront6targetE0EEEvSO_ ; -- Begin function _ZN7rocprim17ROCPRIM_400000_NS6detail17trampoline_kernelINS0_14default_configENS1_38merge_sort_block_merge_config_selectorIjN6thrust23THRUST_200600_302600_NS5tupleIffNS6_9null_typeES8_S8_S8_S8_S8_S8_S8_EEEEZZNS1_27merge_sort_block_merge_implIS3_NS6_6detail15normal_iteratorINS6_10device_ptrIjEEEENSD_INSE_IS9_EEEEjNS1_19radix_merge_compareILb0ELb0EjNS0_19identity_decomposerEEEEE10hipError_tT0_T1_T2_jT3_P12ihipStream_tbPNSt15iterator_traitsISN_E10value_typeEPNST_ISO_E10value_typeEPSP_NS1_7vsmem_tEENKUlT_SN_SO_SP_E_clIPjSG_PS9_SI_EESM_S12_SN_SO_SP_EUlS12_E1_NS1_11comp_targetILNS1_3genE0ELNS1_11target_archE4294967295ELNS1_3gpuE0ELNS1_3repE0EEENS1_36merge_oddeven_config_static_selectorELNS0_4arch9wavefront6targetE0EEEvSO_
	.globl	_ZN7rocprim17ROCPRIM_400000_NS6detail17trampoline_kernelINS0_14default_configENS1_38merge_sort_block_merge_config_selectorIjN6thrust23THRUST_200600_302600_NS5tupleIffNS6_9null_typeES8_S8_S8_S8_S8_S8_S8_EEEEZZNS1_27merge_sort_block_merge_implIS3_NS6_6detail15normal_iteratorINS6_10device_ptrIjEEEENSD_INSE_IS9_EEEEjNS1_19radix_merge_compareILb0ELb0EjNS0_19identity_decomposerEEEEE10hipError_tT0_T1_T2_jT3_P12ihipStream_tbPNSt15iterator_traitsISN_E10value_typeEPNST_ISO_E10value_typeEPSP_NS1_7vsmem_tEENKUlT_SN_SO_SP_E_clIPjSG_PS9_SI_EESM_S12_SN_SO_SP_EUlS12_E1_NS1_11comp_targetILNS1_3genE0ELNS1_11target_archE4294967295ELNS1_3gpuE0ELNS1_3repE0EEENS1_36merge_oddeven_config_static_selectorELNS0_4arch9wavefront6targetE0EEEvSO_
	.p2align	8
	.type	_ZN7rocprim17ROCPRIM_400000_NS6detail17trampoline_kernelINS0_14default_configENS1_38merge_sort_block_merge_config_selectorIjN6thrust23THRUST_200600_302600_NS5tupleIffNS6_9null_typeES8_S8_S8_S8_S8_S8_S8_EEEEZZNS1_27merge_sort_block_merge_implIS3_NS6_6detail15normal_iteratorINS6_10device_ptrIjEEEENSD_INSE_IS9_EEEEjNS1_19radix_merge_compareILb0ELb0EjNS0_19identity_decomposerEEEEE10hipError_tT0_T1_T2_jT3_P12ihipStream_tbPNSt15iterator_traitsISN_E10value_typeEPNST_ISO_E10value_typeEPSP_NS1_7vsmem_tEENKUlT_SN_SO_SP_E_clIPjSG_PS9_SI_EESM_S12_SN_SO_SP_EUlS12_E1_NS1_11comp_targetILNS1_3genE0ELNS1_11target_archE4294967295ELNS1_3gpuE0ELNS1_3repE0EEENS1_36merge_oddeven_config_static_selectorELNS0_4arch9wavefront6targetE0EEEvSO_,@function
_ZN7rocprim17ROCPRIM_400000_NS6detail17trampoline_kernelINS0_14default_configENS1_38merge_sort_block_merge_config_selectorIjN6thrust23THRUST_200600_302600_NS5tupleIffNS6_9null_typeES8_S8_S8_S8_S8_S8_S8_EEEEZZNS1_27merge_sort_block_merge_implIS3_NS6_6detail15normal_iteratorINS6_10device_ptrIjEEEENSD_INSE_IS9_EEEEjNS1_19radix_merge_compareILb0ELb0EjNS0_19identity_decomposerEEEEE10hipError_tT0_T1_T2_jT3_P12ihipStream_tbPNSt15iterator_traitsISN_E10value_typeEPNST_ISO_E10value_typeEPSP_NS1_7vsmem_tEENKUlT_SN_SO_SP_E_clIPjSG_PS9_SI_EESM_S12_SN_SO_SP_EUlS12_E1_NS1_11comp_targetILNS1_3genE0ELNS1_11target_archE4294967295ELNS1_3gpuE0ELNS1_3repE0EEENS1_36merge_oddeven_config_static_selectorELNS0_4arch9wavefront6targetE0EEEvSO_: ; @_ZN7rocprim17ROCPRIM_400000_NS6detail17trampoline_kernelINS0_14default_configENS1_38merge_sort_block_merge_config_selectorIjN6thrust23THRUST_200600_302600_NS5tupleIffNS6_9null_typeES8_S8_S8_S8_S8_S8_S8_EEEEZZNS1_27merge_sort_block_merge_implIS3_NS6_6detail15normal_iteratorINS6_10device_ptrIjEEEENSD_INSE_IS9_EEEEjNS1_19radix_merge_compareILb0ELb0EjNS0_19identity_decomposerEEEEE10hipError_tT0_T1_T2_jT3_P12ihipStream_tbPNSt15iterator_traitsISN_E10value_typeEPNST_ISO_E10value_typeEPSP_NS1_7vsmem_tEENKUlT_SN_SO_SP_E_clIPjSG_PS9_SI_EESM_S12_SN_SO_SP_EUlS12_E1_NS1_11comp_targetILNS1_3genE0ELNS1_11target_archE4294967295ELNS1_3gpuE0ELNS1_3repE0EEENS1_36merge_oddeven_config_static_selectorELNS0_4arch9wavefront6targetE0EEEvSO_
; %bb.0:
	.section	.rodata,"a",@progbits
	.p2align	6, 0x0
	.amdhsa_kernel _ZN7rocprim17ROCPRIM_400000_NS6detail17trampoline_kernelINS0_14default_configENS1_38merge_sort_block_merge_config_selectorIjN6thrust23THRUST_200600_302600_NS5tupleIffNS6_9null_typeES8_S8_S8_S8_S8_S8_S8_EEEEZZNS1_27merge_sort_block_merge_implIS3_NS6_6detail15normal_iteratorINS6_10device_ptrIjEEEENSD_INSE_IS9_EEEEjNS1_19radix_merge_compareILb0ELb0EjNS0_19identity_decomposerEEEEE10hipError_tT0_T1_T2_jT3_P12ihipStream_tbPNSt15iterator_traitsISN_E10value_typeEPNST_ISO_E10value_typeEPSP_NS1_7vsmem_tEENKUlT_SN_SO_SP_E_clIPjSG_PS9_SI_EESM_S12_SN_SO_SP_EUlS12_E1_NS1_11comp_targetILNS1_3genE0ELNS1_11target_archE4294967295ELNS1_3gpuE0ELNS1_3repE0EEENS1_36merge_oddeven_config_static_selectorELNS0_4arch9wavefront6targetE0EEEvSO_
		.amdhsa_group_segment_fixed_size 0
		.amdhsa_private_segment_fixed_size 0
		.amdhsa_kernarg_size 48
		.amdhsa_user_sgpr_count 6
		.amdhsa_user_sgpr_private_segment_buffer 1
		.amdhsa_user_sgpr_dispatch_ptr 0
		.amdhsa_user_sgpr_queue_ptr 0
		.amdhsa_user_sgpr_kernarg_segment_ptr 1
		.amdhsa_user_sgpr_dispatch_id 0
		.amdhsa_user_sgpr_flat_scratch_init 0
		.amdhsa_user_sgpr_private_segment_size 0
		.amdhsa_wavefront_size32 1
		.amdhsa_uses_dynamic_stack 0
		.amdhsa_system_sgpr_private_segment_wavefront_offset 0
		.amdhsa_system_sgpr_workgroup_id_x 1
		.amdhsa_system_sgpr_workgroup_id_y 0
		.amdhsa_system_sgpr_workgroup_id_z 0
		.amdhsa_system_sgpr_workgroup_info 0
		.amdhsa_system_vgpr_workitem_id 0
		.amdhsa_next_free_vgpr 1
		.amdhsa_next_free_sgpr 1
		.amdhsa_reserve_vcc 0
		.amdhsa_reserve_flat_scratch 0
		.amdhsa_float_round_mode_32 0
		.amdhsa_float_round_mode_16_64 0
		.amdhsa_float_denorm_mode_32 3
		.amdhsa_float_denorm_mode_16_64 3
		.amdhsa_dx10_clamp 1
		.amdhsa_ieee_mode 1
		.amdhsa_fp16_overflow 0
		.amdhsa_workgroup_processor_mode 1
		.amdhsa_memory_ordered 1
		.amdhsa_forward_progress 1
		.amdhsa_shared_vgpr_count 0
		.amdhsa_exception_fp_ieee_invalid_op 0
		.amdhsa_exception_fp_denorm_src 0
		.amdhsa_exception_fp_ieee_div_zero 0
		.amdhsa_exception_fp_ieee_overflow 0
		.amdhsa_exception_fp_ieee_underflow 0
		.amdhsa_exception_fp_ieee_inexact 0
		.amdhsa_exception_int_div_zero 0
	.end_amdhsa_kernel
	.section	.text._ZN7rocprim17ROCPRIM_400000_NS6detail17trampoline_kernelINS0_14default_configENS1_38merge_sort_block_merge_config_selectorIjN6thrust23THRUST_200600_302600_NS5tupleIffNS6_9null_typeES8_S8_S8_S8_S8_S8_S8_EEEEZZNS1_27merge_sort_block_merge_implIS3_NS6_6detail15normal_iteratorINS6_10device_ptrIjEEEENSD_INSE_IS9_EEEEjNS1_19radix_merge_compareILb0ELb0EjNS0_19identity_decomposerEEEEE10hipError_tT0_T1_T2_jT3_P12ihipStream_tbPNSt15iterator_traitsISN_E10value_typeEPNST_ISO_E10value_typeEPSP_NS1_7vsmem_tEENKUlT_SN_SO_SP_E_clIPjSG_PS9_SI_EESM_S12_SN_SO_SP_EUlS12_E1_NS1_11comp_targetILNS1_3genE0ELNS1_11target_archE4294967295ELNS1_3gpuE0ELNS1_3repE0EEENS1_36merge_oddeven_config_static_selectorELNS0_4arch9wavefront6targetE0EEEvSO_,"axG",@progbits,_ZN7rocprim17ROCPRIM_400000_NS6detail17trampoline_kernelINS0_14default_configENS1_38merge_sort_block_merge_config_selectorIjN6thrust23THRUST_200600_302600_NS5tupleIffNS6_9null_typeES8_S8_S8_S8_S8_S8_S8_EEEEZZNS1_27merge_sort_block_merge_implIS3_NS6_6detail15normal_iteratorINS6_10device_ptrIjEEEENSD_INSE_IS9_EEEEjNS1_19radix_merge_compareILb0ELb0EjNS0_19identity_decomposerEEEEE10hipError_tT0_T1_T2_jT3_P12ihipStream_tbPNSt15iterator_traitsISN_E10value_typeEPNST_ISO_E10value_typeEPSP_NS1_7vsmem_tEENKUlT_SN_SO_SP_E_clIPjSG_PS9_SI_EESM_S12_SN_SO_SP_EUlS12_E1_NS1_11comp_targetILNS1_3genE0ELNS1_11target_archE4294967295ELNS1_3gpuE0ELNS1_3repE0EEENS1_36merge_oddeven_config_static_selectorELNS0_4arch9wavefront6targetE0EEEvSO_,comdat
.Lfunc_end41:
	.size	_ZN7rocprim17ROCPRIM_400000_NS6detail17trampoline_kernelINS0_14default_configENS1_38merge_sort_block_merge_config_selectorIjN6thrust23THRUST_200600_302600_NS5tupleIffNS6_9null_typeES8_S8_S8_S8_S8_S8_S8_EEEEZZNS1_27merge_sort_block_merge_implIS3_NS6_6detail15normal_iteratorINS6_10device_ptrIjEEEENSD_INSE_IS9_EEEEjNS1_19radix_merge_compareILb0ELb0EjNS0_19identity_decomposerEEEEE10hipError_tT0_T1_T2_jT3_P12ihipStream_tbPNSt15iterator_traitsISN_E10value_typeEPNST_ISO_E10value_typeEPSP_NS1_7vsmem_tEENKUlT_SN_SO_SP_E_clIPjSG_PS9_SI_EESM_S12_SN_SO_SP_EUlS12_E1_NS1_11comp_targetILNS1_3genE0ELNS1_11target_archE4294967295ELNS1_3gpuE0ELNS1_3repE0EEENS1_36merge_oddeven_config_static_selectorELNS0_4arch9wavefront6targetE0EEEvSO_, .Lfunc_end41-_ZN7rocprim17ROCPRIM_400000_NS6detail17trampoline_kernelINS0_14default_configENS1_38merge_sort_block_merge_config_selectorIjN6thrust23THRUST_200600_302600_NS5tupleIffNS6_9null_typeES8_S8_S8_S8_S8_S8_S8_EEEEZZNS1_27merge_sort_block_merge_implIS3_NS6_6detail15normal_iteratorINS6_10device_ptrIjEEEENSD_INSE_IS9_EEEEjNS1_19radix_merge_compareILb0ELb0EjNS0_19identity_decomposerEEEEE10hipError_tT0_T1_T2_jT3_P12ihipStream_tbPNSt15iterator_traitsISN_E10value_typeEPNST_ISO_E10value_typeEPSP_NS1_7vsmem_tEENKUlT_SN_SO_SP_E_clIPjSG_PS9_SI_EESM_S12_SN_SO_SP_EUlS12_E1_NS1_11comp_targetILNS1_3genE0ELNS1_11target_archE4294967295ELNS1_3gpuE0ELNS1_3repE0EEENS1_36merge_oddeven_config_static_selectorELNS0_4arch9wavefront6targetE0EEEvSO_
                                        ; -- End function
	.set _ZN7rocprim17ROCPRIM_400000_NS6detail17trampoline_kernelINS0_14default_configENS1_38merge_sort_block_merge_config_selectorIjN6thrust23THRUST_200600_302600_NS5tupleIffNS6_9null_typeES8_S8_S8_S8_S8_S8_S8_EEEEZZNS1_27merge_sort_block_merge_implIS3_NS6_6detail15normal_iteratorINS6_10device_ptrIjEEEENSD_INSE_IS9_EEEEjNS1_19radix_merge_compareILb0ELb0EjNS0_19identity_decomposerEEEEE10hipError_tT0_T1_T2_jT3_P12ihipStream_tbPNSt15iterator_traitsISN_E10value_typeEPNST_ISO_E10value_typeEPSP_NS1_7vsmem_tEENKUlT_SN_SO_SP_E_clIPjSG_PS9_SI_EESM_S12_SN_SO_SP_EUlS12_E1_NS1_11comp_targetILNS1_3genE0ELNS1_11target_archE4294967295ELNS1_3gpuE0ELNS1_3repE0EEENS1_36merge_oddeven_config_static_selectorELNS0_4arch9wavefront6targetE0EEEvSO_.num_vgpr, 0
	.set _ZN7rocprim17ROCPRIM_400000_NS6detail17trampoline_kernelINS0_14default_configENS1_38merge_sort_block_merge_config_selectorIjN6thrust23THRUST_200600_302600_NS5tupleIffNS6_9null_typeES8_S8_S8_S8_S8_S8_S8_EEEEZZNS1_27merge_sort_block_merge_implIS3_NS6_6detail15normal_iteratorINS6_10device_ptrIjEEEENSD_INSE_IS9_EEEEjNS1_19radix_merge_compareILb0ELb0EjNS0_19identity_decomposerEEEEE10hipError_tT0_T1_T2_jT3_P12ihipStream_tbPNSt15iterator_traitsISN_E10value_typeEPNST_ISO_E10value_typeEPSP_NS1_7vsmem_tEENKUlT_SN_SO_SP_E_clIPjSG_PS9_SI_EESM_S12_SN_SO_SP_EUlS12_E1_NS1_11comp_targetILNS1_3genE0ELNS1_11target_archE4294967295ELNS1_3gpuE0ELNS1_3repE0EEENS1_36merge_oddeven_config_static_selectorELNS0_4arch9wavefront6targetE0EEEvSO_.num_agpr, 0
	.set _ZN7rocprim17ROCPRIM_400000_NS6detail17trampoline_kernelINS0_14default_configENS1_38merge_sort_block_merge_config_selectorIjN6thrust23THRUST_200600_302600_NS5tupleIffNS6_9null_typeES8_S8_S8_S8_S8_S8_S8_EEEEZZNS1_27merge_sort_block_merge_implIS3_NS6_6detail15normal_iteratorINS6_10device_ptrIjEEEENSD_INSE_IS9_EEEEjNS1_19radix_merge_compareILb0ELb0EjNS0_19identity_decomposerEEEEE10hipError_tT0_T1_T2_jT3_P12ihipStream_tbPNSt15iterator_traitsISN_E10value_typeEPNST_ISO_E10value_typeEPSP_NS1_7vsmem_tEENKUlT_SN_SO_SP_E_clIPjSG_PS9_SI_EESM_S12_SN_SO_SP_EUlS12_E1_NS1_11comp_targetILNS1_3genE0ELNS1_11target_archE4294967295ELNS1_3gpuE0ELNS1_3repE0EEENS1_36merge_oddeven_config_static_selectorELNS0_4arch9wavefront6targetE0EEEvSO_.numbered_sgpr, 0
	.set _ZN7rocprim17ROCPRIM_400000_NS6detail17trampoline_kernelINS0_14default_configENS1_38merge_sort_block_merge_config_selectorIjN6thrust23THRUST_200600_302600_NS5tupleIffNS6_9null_typeES8_S8_S8_S8_S8_S8_S8_EEEEZZNS1_27merge_sort_block_merge_implIS3_NS6_6detail15normal_iteratorINS6_10device_ptrIjEEEENSD_INSE_IS9_EEEEjNS1_19radix_merge_compareILb0ELb0EjNS0_19identity_decomposerEEEEE10hipError_tT0_T1_T2_jT3_P12ihipStream_tbPNSt15iterator_traitsISN_E10value_typeEPNST_ISO_E10value_typeEPSP_NS1_7vsmem_tEENKUlT_SN_SO_SP_E_clIPjSG_PS9_SI_EESM_S12_SN_SO_SP_EUlS12_E1_NS1_11comp_targetILNS1_3genE0ELNS1_11target_archE4294967295ELNS1_3gpuE0ELNS1_3repE0EEENS1_36merge_oddeven_config_static_selectorELNS0_4arch9wavefront6targetE0EEEvSO_.num_named_barrier, 0
	.set _ZN7rocprim17ROCPRIM_400000_NS6detail17trampoline_kernelINS0_14default_configENS1_38merge_sort_block_merge_config_selectorIjN6thrust23THRUST_200600_302600_NS5tupleIffNS6_9null_typeES8_S8_S8_S8_S8_S8_S8_EEEEZZNS1_27merge_sort_block_merge_implIS3_NS6_6detail15normal_iteratorINS6_10device_ptrIjEEEENSD_INSE_IS9_EEEEjNS1_19radix_merge_compareILb0ELb0EjNS0_19identity_decomposerEEEEE10hipError_tT0_T1_T2_jT3_P12ihipStream_tbPNSt15iterator_traitsISN_E10value_typeEPNST_ISO_E10value_typeEPSP_NS1_7vsmem_tEENKUlT_SN_SO_SP_E_clIPjSG_PS9_SI_EESM_S12_SN_SO_SP_EUlS12_E1_NS1_11comp_targetILNS1_3genE0ELNS1_11target_archE4294967295ELNS1_3gpuE0ELNS1_3repE0EEENS1_36merge_oddeven_config_static_selectorELNS0_4arch9wavefront6targetE0EEEvSO_.private_seg_size, 0
	.set _ZN7rocprim17ROCPRIM_400000_NS6detail17trampoline_kernelINS0_14default_configENS1_38merge_sort_block_merge_config_selectorIjN6thrust23THRUST_200600_302600_NS5tupleIffNS6_9null_typeES8_S8_S8_S8_S8_S8_S8_EEEEZZNS1_27merge_sort_block_merge_implIS3_NS6_6detail15normal_iteratorINS6_10device_ptrIjEEEENSD_INSE_IS9_EEEEjNS1_19radix_merge_compareILb0ELb0EjNS0_19identity_decomposerEEEEE10hipError_tT0_T1_T2_jT3_P12ihipStream_tbPNSt15iterator_traitsISN_E10value_typeEPNST_ISO_E10value_typeEPSP_NS1_7vsmem_tEENKUlT_SN_SO_SP_E_clIPjSG_PS9_SI_EESM_S12_SN_SO_SP_EUlS12_E1_NS1_11comp_targetILNS1_3genE0ELNS1_11target_archE4294967295ELNS1_3gpuE0ELNS1_3repE0EEENS1_36merge_oddeven_config_static_selectorELNS0_4arch9wavefront6targetE0EEEvSO_.uses_vcc, 0
	.set _ZN7rocprim17ROCPRIM_400000_NS6detail17trampoline_kernelINS0_14default_configENS1_38merge_sort_block_merge_config_selectorIjN6thrust23THRUST_200600_302600_NS5tupleIffNS6_9null_typeES8_S8_S8_S8_S8_S8_S8_EEEEZZNS1_27merge_sort_block_merge_implIS3_NS6_6detail15normal_iteratorINS6_10device_ptrIjEEEENSD_INSE_IS9_EEEEjNS1_19radix_merge_compareILb0ELb0EjNS0_19identity_decomposerEEEEE10hipError_tT0_T1_T2_jT3_P12ihipStream_tbPNSt15iterator_traitsISN_E10value_typeEPNST_ISO_E10value_typeEPSP_NS1_7vsmem_tEENKUlT_SN_SO_SP_E_clIPjSG_PS9_SI_EESM_S12_SN_SO_SP_EUlS12_E1_NS1_11comp_targetILNS1_3genE0ELNS1_11target_archE4294967295ELNS1_3gpuE0ELNS1_3repE0EEENS1_36merge_oddeven_config_static_selectorELNS0_4arch9wavefront6targetE0EEEvSO_.uses_flat_scratch, 0
	.set _ZN7rocprim17ROCPRIM_400000_NS6detail17trampoline_kernelINS0_14default_configENS1_38merge_sort_block_merge_config_selectorIjN6thrust23THRUST_200600_302600_NS5tupleIffNS6_9null_typeES8_S8_S8_S8_S8_S8_S8_EEEEZZNS1_27merge_sort_block_merge_implIS3_NS6_6detail15normal_iteratorINS6_10device_ptrIjEEEENSD_INSE_IS9_EEEEjNS1_19radix_merge_compareILb0ELb0EjNS0_19identity_decomposerEEEEE10hipError_tT0_T1_T2_jT3_P12ihipStream_tbPNSt15iterator_traitsISN_E10value_typeEPNST_ISO_E10value_typeEPSP_NS1_7vsmem_tEENKUlT_SN_SO_SP_E_clIPjSG_PS9_SI_EESM_S12_SN_SO_SP_EUlS12_E1_NS1_11comp_targetILNS1_3genE0ELNS1_11target_archE4294967295ELNS1_3gpuE0ELNS1_3repE0EEENS1_36merge_oddeven_config_static_selectorELNS0_4arch9wavefront6targetE0EEEvSO_.has_dyn_sized_stack, 0
	.set _ZN7rocprim17ROCPRIM_400000_NS6detail17trampoline_kernelINS0_14default_configENS1_38merge_sort_block_merge_config_selectorIjN6thrust23THRUST_200600_302600_NS5tupleIffNS6_9null_typeES8_S8_S8_S8_S8_S8_S8_EEEEZZNS1_27merge_sort_block_merge_implIS3_NS6_6detail15normal_iteratorINS6_10device_ptrIjEEEENSD_INSE_IS9_EEEEjNS1_19radix_merge_compareILb0ELb0EjNS0_19identity_decomposerEEEEE10hipError_tT0_T1_T2_jT3_P12ihipStream_tbPNSt15iterator_traitsISN_E10value_typeEPNST_ISO_E10value_typeEPSP_NS1_7vsmem_tEENKUlT_SN_SO_SP_E_clIPjSG_PS9_SI_EESM_S12_SN_SO_SP_EUlS12_E1_NS1_11comp_targetILNS1_3genE0ELNS1_11target_archE4294967295ELNS1_3gpuE0ELNS1_3repE0EEENS1_36merge_oddeven_config_static_selectorELNS0_4arch9wavefront6targetE0EEEvSO_.has_recursion, 0
	.set _ZN7rocprim17ROCPRIM_400000_NS6detail17trampoline_kernelINS0_14default_configENS1_38merge_sort_block_merge_config_selectorIjN6thrust23THRUST_200600_302600_NS5tupleIffNS6_9null_typeES8_S8_S8_S8_S8_S8_S8_EEEEZZNS1_27merge_sort_block_merge_implIS3_NS6_6detail15normal_iteratorINS6_10device_ptrIjEEEENSD_INSE_IS9_EEEEjNS1_19radix_merge_compareILb0ELb0EjNS0_19identity_decomposerEEEEE10hipError_tT0_T1_T2_jT3_P12ihipStream_tbPNSt15iterator_traitsISN_E10value_typeEPNST_ISO_E10value_typeEPSP_NS1_7vsmem_tEENKUlT_SN_SO_SP_E_clIPjSG_PS9_SI_EESM_S12_SN_SO_SP_EUlS12_E1_NS1_11comp_targetILNS1_3genE0ELNS1_11target_archE4294967295ELNS1_3gpuE0ELNS1_3repE0EEENS1_36merge_oddeven_config_static_selectorELNS0_4arch9wavefront6targetE0EEEvSO_.has_indirect_call, 0
	.section	.AMDGPU.csdata,"",@progbits
; Kernel info:
; codeLenInByte = 0
; TotalNumSgprs: 0
; NumVgprs: 0
; ScratchSize: 0
; MemoryBound: 0
; FloatMode: 240
; IeeeMode: 1
; LDSByteSize: 0 bytes/workgroup (compile time only)
; SGPRBlocks: 0
; VGPRBlocks: 0
; NumSGPRsForWavesPerEU: 1
; NumVGPRsForWavesPerEU: 1
; Occupancy: 16
; WaveLimiterHint : 0
; COMPUTE_PGM_RSRC2:SCRATCH_EN: 0
; COMPUTE_PGM_RSRC2:USER_SGPR: 6
; COMPUTE_PGM_RSRC2:TRAP_HANDLER: 0
; COMPUTE_PGM_RSRC2:TGID_X_EN: 1
; COMPUTE_PGM_RSRC2:TGID_Y_EN: 0
; COMPUTE_PGM_RSRC2:TGID_Z_EN: 0
; COMPUTE_PGM_RSRC2:TIDIG_COMP_CNT: 0
	.section	.text._ZN7rocprim17ROCPRIM_400000_NS6detail17trampoline_kernelINS0_14default_configENS1_38merge_sort_block_merge_config_selectorIjN6thrust23THRUST_200600_302600_NS5tupleIffNS6_9null_typeES8_S8_S8_S8_S8_S8_S8_EEEEZZNS1_27merge_sort_block_merge_implIS3_NS6_6detail15normal_iteratorINS6_10device_ptrIjEEEENSD_INSE_IS9_EEEEjNS1_19radix_merge_compareILb0ELb0EjNS0_19identity_decomposerEEEEE10hipError_tT0_T1_T2_jT3_P12ihipStream_tbPNSt15iterator_traitsISN_E10value_typeEPNST_ISO_E10value_typeEPSP_NS1_7vsmem_tEENKUlT_SN_SO_SP_E_clIPjSG_PS9_SI_EESM_S12_SN_SO_SP_EUlS12_E1_NS1_11comp_targetILNS1_3genE10ELNS1_11target_archE1201ELNS1_3gpuE5ELNS1_3repE0EEENS1_36merge_oddeven_config_static_selectorELNS0_4arch9wavefront6targetE0EEEvSO_,"axG",@progbits,_ZN7rocprim17ROCPRIM_400000_NS6detail17trampoline_kernelINS0_14default_configENS1_38merge_sort_block_merge_config_selectorIjN6thrust23THRUST_200600_302600_NS5tupleIffNS6_9null_typeES8_S8_S8_S8_S8_S8_S8_EEEEZZNS1_27merge_sort_block_merge_implIS3_NS6_6detail15normal_iteratorINS6_10device_ptrIjEEEENSD_INSE_IS9_EEEEjNS1_19radix_merge_compareILb0ELb0EjNS0_19identity_decomposerEEEEE10hipError_tT0_T1_T2_jT3_P12ihipStream_tbPNSt15iterator_traitsISN_E10value_typeEPNST_ISO_E10value_typeEPSP_NS1_7vsmem_tEENKUlT_SN_SO_SP_E_clIPjSG_PS9_SI_EESM_S12_SN_SO_SP_EUlS12_E1_NS1_11comp_targetILNS1_3genE10ELNS1_11target_archE1201ELNS1_3gpuE5ELNS1_3repE0EEENS1_36merge_oddeven_config_static_selectorELNS0_4arch9wavefront6targetE0EEEvSO_,comdat
	.protected	_ZN7rocprim17ROCPRIM_400000_NS6detail17trampoline_kernelINS0_14default_configENS1_38merge_sort_block_merge_config_selectorIjN6thrust23THRUST_200600_302600_NS5tupleIffNS6_9null_typeES8_S8_S8_S8_S8_S8_S8_EEEEZZNS1_27merge_sort_block_merge_implIS3_NS6_6detail15normal_iteratorINS6_10device_ptrIjEEEENSD_INSE_IS9_EEEEjNS1_19radix_merge_compareILb0ELb0EjNS0_19identity_decomposerEEEEE10hipError_tT0_T1_T2_jT3_P12ihipStream_tbPNSt15iterator_traitsISN_E10value_typeEPNST_ISO_E10value_typeEPSP_NS1_7vsmem_tEENKUlT_SN_SO_SP_E_clIPjSG_PS9_SI_EESM_S12_SN_SO_SP_EUlS12_E1_NS1_11comp_targetILNS1_3genE10ELNS1_11target_archE1201ELNS1_3gpuE5ELNS1_3repE0EEENS1_36merge_oddeven_config_static_selectorELNS0_4arch9wavefront6targetE0EEEvSO_ ; -- Begin function _ZN7rocprim17ROCPRIM_400000_NS6detail17trampoline_kernelINS0_14default_configENS1_38merge_sort_block_merge_config_selectorIjN6thrust23THRUST_200600_302600_NS5tupleIffNS6_9null_typeES8_S8_S8_S8_S8_S8_S8_EEEEZZNS1_27merge_sort_block_merge_implIS3_NS6_6detail15normal_iteratorINS6_10device_ptrIjEEEENSD_INSE_IS9_EEEEjNS1_19radix_merge_compareILb0ELb0EjNS0_19identity_decomposerEEEEE10hipError_tT0_T1_T2_jT3_P12ihipStream_tbPNSt15iterator_traitsISN_E10value_typeEPNST_ISO_E10value_typeEPSP_NS1_7vsmem_tEENKUlT_SN_SO_SP_E_clIPjSG_PS9_SI_EESM_S12_SN_SO_SP_EUlS12_E1_NS1_11comp_targetILNS1_3genE10ELNS1_11target_archE1201ELNS1_3gpuE5ELNS1_3repE0EEENS1_36merge_oddeven_config_static_selectorELNS0_4arch9wavefront6targetE0EEEvSO_
	.globl	_ZN7rocprim17ROCPRIM_400000_NS6detail17trampoline_kernelINS0_14default_configENS1_38merge_sort_block_merge_config_selectorIjN6thrust23THRUST_200600_302600_NS5tupleIffNS6_9null_typeES8_S8_S8_S8_S8_S8_S8_EEEEZZNS1_27merge_sort_block_merge_implIS3_NS6_6detail15normal_iteratorINS6_10device_ptrIjEEEENSD_INSE_IS9_EEEEjNS1_19radix_merge_compareILb0ELb0EjNS0_19identity_decomposerEEEEE10hipError_tT0_T1_T2_jT3_P12ihipStream_tbPNSt15iterator_traitsISN_E10value_typeEPNST_ISO_E10value_typeEPSP_NS1_7vsmem_tEENKUlT_SN_SO_SP_E_clIPjSG_PS9_SI_EESM_S12_SN_SO_SP_EUlS12_E1_NS1_11comp_targetILNS1_3genE10ELNS1_11target_archE1201ELNS1_3gpuE5ELNS1_3repE0EEENS1_36merge_oddeven_config_static_selectorELNS0_4arch9wavefront6targetE0EEEvSO_
	.p2align	8
	.type	_ZN7rocprim17ROCPRIM_400000_NS6detail17trampoline_kernelINS0_14default_configENS1_38merge_sort_block_merge_config_selectorIjN6thrust23THRUST_200600_302600_NS5tupleIffNS6_9null_typeES8_S8_S8_S8_S8_S8_S8_EEEEZZNS1_27merge_sort_block_merge_implIS3_NS6_6detail15normal_iteratorINS6_10device_ptrIjEEEENSD_INSE_IS9_EEEEjNS1_19radix_merge_compareILb0ELb0EjNS0_19identity_decomposerEEEEE10hipError_tT0_T1_T2_jT3_P12ihipStream_tbPNSt15iterator_traitsISN_E10value_typeEPNST_ISO_E10value_typeEPSP_NS1_7vsmem_tEENKUlT_SN_SO_SP_E_clIPjSG_PS9_SI_EESM_S12_SN_SO_SP_EUlS12_E1_NS1_11comp_targetILNS1_3genE10ELNS1_11target_archE1201ELNS1_3gpuE5ELNS1_3repE0EEENS1_36merge_oddeven_config_static_selectorELNS0_4arch9wavefront6targetE0EEEvSO_,@function
_ZN7rocprim17ROCPRIM_400000_NS6detail17trampoline_kernelINS0_14default_configENS1_38merge_sort_block_merge_config_selectorIjN6thrust23THRUST_200600_302600_NS5tupleIffNS6_9null_typeES8_S8_S8_S8_S8_S8_S8_EEEEZZNS1_27merge_sort_block_merge_implIS3_NS6_6detail15normal_iteratorINS6_10device_ptrIjEEEENSD_INSE_IS9_EEEEjNS1_19radix_merge_compareILb0ELb0EjNS0_19identity_decomposerEEEEE10hipError_tT0_T1_T2_jT3_P12ihipStream_tbPNSt15iterator_traitsISN_E10value_typeEPNST_ISO_E10value_typeEPSP_NS1_7vsmem_tEENKUlT_SN_SO_SP_E_clIPjSG_PS9_SI_EESM_S12_SN_SO_SP_EUlS12_E1_NS1_11comp_targetILNS1_3genE10ELNS1_11target_archE1201ELNS1_3gpuE5ELNS1_3repE0EEENS1_36merge_oddeven_config_static_selectorELNS0_4arch9wavefront6targetE0EEEvSO_: ; @_ZN7rocprim17ROCPRIM_400000_NS6detail17trampoline_kernelINS0_14default_configENS1_38merge_sort_block_merge_config_selectorIjN6thrust23THRUST_200600_302600_NS5tupleIffNS6_9null_typeES8_S8_S8_S8_S8_S8_S8_EEEEZZNS1_27merge_sort_block_merge_implIS3_NS6_6detail15normal_iteratorINS6_10device_ptrIjEEEENSD_INSE_IS9_EEEEjNS1_19radix_merge_compareILb0ELb0EjNS0_19identity_decomposerEEEEE10hipError_tT0_T1_T2_jT3_P12ihipStream_tbPNSt15iterator_traitsISN_E10value_typeEPNST_ISO_E10value_typeEPSP_NS1_7vsmem_tEENKUlT_SN_SO_SP_E_clIPjSG_PS9_SI_EESM_S12_SN_SO_SP_EUlS12_E1_NS1_11comp_targetILNS1_3genE10ELNS1_11target_archE1201ELNS1_3gpuE5ELNS1_3repE0EEENS1_36merge_oddeven_config_static_selectorELNS0_4arch9wavefront6targetE0EEEvSO_
; %bb.0:
	.section	.rodata,"a",@progbits
	.p2align	6, 0x0
	.amdhsa_kernel _ZN7rocprim17ROCPRIM_400000_NS6detail17trampoline_kernelINS0_14default_configENS1_38merge_sort_block_merge_config_selectorIjN6thrust23THRUST_200600_302600_NS5tupleIffNS6_9null_typeES8_S8_S8_S8_S8_S8_S8_EEEEZZNS1_27merge_sort_block_merge_implIS3_NS6_6detail15normal_iteratorINS6_10device_ptrIjEEEENSD_INSE_IS9_EEEEjNS1_19radix_merge_compareILb0ELb0EjNS0_19identity_decomposerEEEEE10hipError_tT0_T1_T2_jT3_P12ihipStream_tbPNSt15iterator_traitsISN_E10value_typeEPNST_ISO_E10value_typeEPSP_NS1_7vsmem_tEENKUlT_SN_SO_SP_E_clIPjSG_PS9_SI_EESM_S12_SN_SO_SP_EUlS12_E1_NS1_11comp_targetILNS1_3genE10ELNS1_11target_archE1201ELNS1_3gpuE5ELNS1_3repE0EEENS1_36merge_oddeven_config_static_selectorELNS0_4arch9wavefront6targetE0EEEvSO_
		.amdhsa_group_segment_fixed_size 0
		.amdhsa_private_segment_fixed_size 0
		.amdhsa_kernarg_size 48
		.amdhsa_user_sgpr_count 6
		.amdhsa_user_sgpr_private_segment_buffer 1
		.amdhsa_user_sgpr_dispatch_ptr 0
		.amdhsa_user_sgpr_queue_ptr 0
		.amdhsa_user_sgpr_kernarg_segment_ptr 1
		.amdhsa_user_sgpr_dispatch_id 0
		.amdhsa_user_sgpr_flat_scratch_init 0
		.amdhsa_user_sgpr_private_segment_size 0
		.amdhsa_wavefront_size32 1
		.amdhsa_uses_dynamic_stack 0
		.amdhsa_system_sgpr_private_segment_wavefront_offset 0
		.amdhsa_system_sgpr_workgroup_id_x 1
		.amdhsa_system_sgpr_workgroup_id_y 0
		.amdhsa_system_sgpr_workgroup_id_z 0
		.amdhsa_system_sgpr_workgroup_info 0
		.amdhsa_system_vgpr_workitem_id 0
		.amdhsa_next_free_vgpr 1
		.amdhsa_next_free_sgpr 1
		.amdhsa_reserve_vcc 0
		.amdhsa_reserve_flat_scratch 0
		.amdhsa_float_round_mode_32 0
		.amdhsa_float_round_mode_16_64 0
		.amdhsa_float_denorm_mode_32 3
		.amdhsa_float_denorm_mode_16_64 3
		.amdhsa_dx10_clamp 1
		.amdhsa_ieee_mode 1
		.amdhsa_fp16_overflow 0
		.amdhsa_workgroup_processor_mode 1
		.amdhsa_memory_ordered 1
		.amdhsa_forward_progress 1
		.amdhsa_shared_vgpr_count 0
		.amdhsa_exception_fp_ieee_invalid_op 0
		.amdhsa_exception_fp_denorm_src 0
		.amdhsa_exception_fp_ieee_div_zero 0
		.amdhsa_exception_fp_ieee_overflow 0
		.amdhsa_exception_fp_ieee_underflow 0
		.amdhsa_exception_fp_ieee_inexact 0
		.amdhsa_exception_int_div_zero 0
	.end_amdhsa_kernel
	.section	.text._ZN7rocprim17ROCPRIM_400000_NS6detail17trampoline_kernelINS0_14default_configENS1_38merge_sort_block_merge_config_selectorIjN6thrust23THRUST_200600_302600_NS5tupleIffNS6_9null_typeES8_S8_S8_S8_S8_S8_S8_EEEEZZNS1_27merge_sort_block_merge_implIS3_NS6_6detail15normal_iteratorINS6_10device_ptrIjEEEENSD_INSE_IS9_EEEEjNS1_19radix_merge_compareILb0ELb0EjNS0_19identity_decomposerEEEEE10hipError_tT0_T1_T2_jT3_P12ihipStream_tbPNSt15iterator_traitsISN_E10value_typeEPNST_ISO_E10value_typeEPSP_NS1_7vsmem_tEENKUlT_SN_SO_SP_E_clIPjSG_PS9_SI_EESM_S12_SN_SO_SP_EUlS12_E1_NS1_11comp_targetILNS1_3genE10ELNS1_11target_archE1201ELNS1_3gpuE5ELNS1_3repE0EEENS1_36merge_oddeven_config_static_selectorELNS0_4arch9wavefront6targetE0EEEvSO_,"axG",@progbits,_ZN7rocprim17ROCPRIM_400000_NS6detail17trampoline_kernelINS0_14default_configENS1_38merge_sort_block_merge_config_selectorIjN6thrust23THRUST_200600_302600_NS5tupleIffNS6_9null_typeES8_S8_S8_S8_S8_S8_S8_EEEEZZNS1_27merge_sort_block_merge_implIS3_NS6_6detail15normal_iteratorINS6_10device_ptrIjEEEENSD_INSE_IS9_EEEEjNS1_19radix_merge_compareILb0ELb0EjNS0_19identity_decomposerEEEEE10hipError_tT0_T1_T2_jT3_P12ihipStream_tbPNSt15iterator_traitsISN_E10value_typeEPNST_ISO_E10value_typeEPSP_NS1_7vsmem_tEENKUlT_SN_SO_SP_E_clIPjSG_PS9_SI_EESM_S12_SN_SO_SP_EUlS12_E1_NS1_11comp_targetILNS1_3genE10ELNS1_11target_archE1201ELNS1_3gpuE5ELNS1_3repE0EEENS1_36merge_oddeven_config_static_selectorELNS0_4arch9wavefront6targetE0EEEvSO_,comdat
.Lfunc_end42:
	.size	_ZN7rocprim17ROCPRIM_400000_NS6detail17trampoline_kernelINS0_14default_configENS1_38merge_sort_block_merge_config_selectorIjN6thrust23THRUST_200600_302600_NS5tupleIffNS6_9null_typeES8_S8_S8_S8_S8_S8_S8_EEEEZZNS1_27merge_sort_block_merge_implIS3_NS6_6detail15normal_iteratorINS6_10device_ptrIjEEEENSD_INSE_IS9_EEEEjNS1_19radix_merge_compareILb0ELb0EjNS0_19identity_decomposerEEEEE10hipError_tT0_T1_T2_jT3_P12ihipStream_tbPNSt15iterator_traitsISN_E10value_typeEPNST_ISO_E10value_typeEPSP_NS1_7vsmem_tEENKUlT_SN_SO_SP_E_clIPjSG_PS9_SI_EESM_S12_SN_SO_SP_EUlS12_E1_NS1_11comp_targetILNS1_3genE10ELNS1_11target_archE1201ELNS1_3gpuE5ELNS1_3repE0EEENS1_36merge_oddeven_config_static_selectorELNS0_4arch9wavefront6targetE0EEEvSO_, .Lfunc_end42-_ZN7rocprim17ROCPRIM_400000_NS6detail17trampoline_kernelINS0_14default_configENS1_38merge_sort_block_merge_config_selectorIjN6thrust23THRUST_200600_302600_NS5tupleIffNS6_9null_typeES8_S8_S8_S8_S8_S8_S8_EEEEZZNS1_27merge_sort_block_merge_implIS3_NS6_6detail15normal_iteratorINS6_10device_ptrIjEEEENSD_INSE_IS9_EEEEjNS1_19radix_merge_compareILb0ELb0EjNS0_19identity_decomposerEEEEE10hipError_tT0_T1_T2_jT3_P12ihipStream_tbPNSt15iterator_traitsISN_E10value_typeEPNST_ISO_E10value_typeEPSP_NS1_7vsmem_tEENKUlT_SN_SO_SP_E_clIPjSG_PS9_SI_EESM_S12_SN_SO_SP_EUlS12_E1_NS1_11comp_targetILNS1_3genE10ELNS1_11target_archE1201ELNS1_3gpuE5ELNS1_3repE0EEENS1_36merge_oddeven_config_static_selectorELNS0_4arch9wavefront6targetE0EEEvSO_
                                        ; -- End function
	.set _ZN7rocprim17ROCPRIM_400000_NS6detail17trampoline_kernelINS0_14default_configENS1_38merge_sort_block_merge_config_selectorIjN6thrust23THRUST_200600_302600_NS5tupleIffNS6_9null_typeES8_S8_S8_S8_S8_S8_S8_EEEEZZNS1_27merge_sort_block_merge_implIS3_NS6_6detail15normal_iteratorINS6_10device_ptrIjEEEENSD_INSE_IS9_EEEEjNS1_19radix_merge_compareILb0ELb0EjNS0_19identity_decomposerEEEEE10hipError_tT0_T1_T2_jT3_P12ihipStream_tbPNSt15iterator_traitsISN_E10value_typeEPNST_ISO_E10value_typeEPSP_NS1_7vsmem_tEENKUlT_SN_SO_SP_E_clIPjSG_PS9_SI_EESM_S12_SN_SO_SP_EUlS12_E1_NS1_11comp_targetILNS1_3genE10ELNS1_11target_archE1201ELNS1_3gpuE5ELNS1_3repE0EEENS1_36merge_oddeven_config_static_selectorELNS0_4arch9wavefront6targetE0EEEvSO_.num_vgpr, 0
	.set _ZN7rocprim17ROCPRIM_400000_NS6detail17trampoline_kernelINS0_14default_configENS1_38merge_sort_block_merge_config_selectorIjN6thrust23THRUST_200600_302600_NS5tupleIffNS6_9null_typeES8_S8_S8_S8_S8_S8_S8_EEEEZZNS1_27merge_sort_block_merge_implIS3_NS6_6detail15normal_iteratorINS6_10device_ptrIjEEEENSD_INSE_IS9_EEEEjNS1_19radix_merge_compareILb0ELb0EjNS0_19identity_decomposerEEEEE10hipError_tT0_T1_T2_jT3_P12ihipStream_tbPNSt15iterator_traitsISN_E10value_typeEPNST_ISO_E10value_typeEPSP_NS1_7vsmem_tEENKUlT_SN_SO_SP_E_clIPjSG_PS9_SI_EESM_S12_SN_SO_SP_EUlS12_E1_NS1_11comp_targetILNS1_3genE10ELNS1_11target_archE1201ELNS1_3gpuE5ELNS1_3repE0EEENS1_36merge_oddeven_config_static_selectorELNS0_4arch9wavefront6targetE0EEEvSO_.num_agpr, 0
	.set _ZN7rocprim17ROCPRIM_400000_NS6detail17trampoline_kernelINS0_14default_configENS1_38merge_sort_block_merge_config_selectorIjN6thrust23THRUST_200600_302600_NS5tupleIffNS6_9null_typeES8_S8_S8_S8_S8_S8_S8_EEEEZZNS1_27merge_sort_block_merge_implIS3_NS6_6detail15normal_iteratorINS6_10device_ptrIjEEEENSD_INSE_IS9_EEEEjNS1_19radix_merge_compareILb0ELb0EjNS0_19identity_decomposerEEEEE10hipError_tT0_T1_T2_jT3_P12ihipStream_tbPNSt15iterator_traitsISN_E10value_typeEPNST_ISO_E10value_typeEPSP_NS1_7vsmem_tEENKUlT_SN_SO_SP_E_clIPjSG_PS9_SI_EESM_S12_SN_SO_SP_EUlS12_E1_NS1_11comp_targetILNS1_3genE10ELNS1_11target_archE1201ELNS1_3gpuE5ELNS1_3repE0EEENS1_36merge_oddeven_config_static_selectorELNS0_4arch9wavefront6targetE0EEEvSO_.numbered_sgpr, 0
	.set _ZN7rocprim17ROCPRIM_400000_NS6detail17trampoline_kernelINS0_14default_configENS1_38merge_sort_block_merge_config_selectorIjN6thrust23THRUST_200600_302600_NS5tupleIffNS6_9null_typeES8_S8_S8_S8_S8_S8_S8_EEEEZZNS1_27merge_sort_block_merge_implIS3_NS6_6detail15normal_iteratorINS6_10device_ptrIjEEEENSD_INSE_IS9_EEEEjNS1_19radix_merge_compareILb0ELb0EjNS0_19identity_decomposerEEEEE10hipError_tT0_T1_T2_jT3_P12ihipStream_tbPNSt15iterator_traitsISN_E10value_typeEPNST_ISO_E10value_typeEPSP_NS1_7vsmem_tEENKUlT_SN_SO_SP_E_clIPjSG_PS9_SI_EESM_S12_SN_SO_SP_EUlS12_E1_NS1_11comp_targetILNS1_3genE10ELNS1_11target_archE1201ELNS1_3gpuE5ELNS1_3repE0EEENS1_36merge_oddeven_config_static_selectorELNS0_4arch9wavefront6targetE0EEEvSO_.num_named_barrier, 0
	.set _ZN7rocprim17ROCPRIM_400000_NS6detail17trampoline_kernelINS0_14default_configENS1_38merge_sort_block_merge_config_selectorIjN6thrust23THRUST_200600_302600_NS5tupleIffNS6_9null_typeES8_S8_S8_S8_S8_S8_S8_EEEEZZNS1_27merge_sort_block_merge_implIS3_NS6_6detail15normal_iteratorINS6_10device_ptrIjEEEENSD_INSE_IS9_EEEEjNS1_19radix_merge_compareILb0ELb0EjNS0_19identity_decomposerEEEEE10hipError_tT0_T1_T2_jT3_P12ihipStream_tbPNSt15iterator_traitsISN_E10value_typeEPNST_ISO_E10value_typeEPSP_NS1_7vsmem_tEENKUlT_SN_SO_SP_E_clIPjSG_PS9_SI_EESM_S12_SN_SO_SP_EUlS12_E1_NS1_11comp_targetILNS1_3genE10ELNS1_11target_archE1201ELNS1_3gpuE5ELNS1_3repE0EEENS1_36merge_oddeven_config_static_selectorELNS0_4arch9wavefront6targetE0EEEvSO_.private_seg_size, 0
	.set _ZN7rocprim17ROCPRIM_400000_NS6detail17trampoline_kernelINS0_14default_configENS1_38merge_sort_block_merge_config_selectorIjN6thrust23THRUST_200600_302600_NS5tupleIffNS6_9null_typeES8_S8_S8_S8_S8_S8_S8_EEEEZZNS1_27merge_sort_block_merge_implIS3_NS6_6detail15normal_iteratorINS6_10device_ptrIjEEEENSD_INSE_IS9_EEEEjNS1_19radix_merge_compareILb0ELb0EjNS0_19identity_decomposerEEEEE10hipError_tT0_T1_T2_jT3_P12ihipStream_tbPNSt15iterator_traitsISN_E10value_typeEPNST_ISO_E10value_typeEPSP_NS1_7vsmem_tEENKUlT_SN_SO_SP_E_clIPjSG_PS9_SI_EESM_S12_SN_SO_SP_EUlS12_E1_NS1_11comp_targetILNS1_3genE10ELNS1_11target_archE1201ELNS1_3gpuE5ELNS1_3repE0EEENS1_36merge_oddeven_config_static_selectorELNS0_4arch9wavefront6targetE0EEEvSO_.uses_vcc, 0
	.set _ZN7rocprim17ROCPRIM_400000_NS6detail17trampoline_kernelINS0_14default_configENS1_38merge_sort_block_merge_config_selectorIjN6thrust23THRUST_200600_302600_NS5tupleIffNS6_9null_typeES8_S8_S8_S8_S8_S8_S8_EEEEZZNS1_27merge_sort_block_merge_implIS3_NS6_6detail15normal_iteratorINS6_10device_ptrIjEEEENSD_INSE_IS9_EEEEjNS1_19radix_merge_compareILb0ELb0EjNS0_19identity_decomposerEEEEE10hipError_tT0_T1_T2_jT3_P12ihipStream_tbPNSt15iterator_traitsISN_E10value_typeEPNST_ISO_E10value_typeEPSP_NS1_7vsmem_tEENKUlT_SN_SO_SP_E_clIPjSG_PS9_SI_EESM_S12_SN_SO_SP_EUlS12_E1_NS1_11comp_targetILNS1_3genE10ELNS1_11target_archE1201ELNS1_3gpuE5ELNS1_3repE0EEENS1_36merge_oddeven_config_static_selectorELNS0_4arch9wavefront6targetE0EEEvSO_.uses_flat_scratch, 0
	.set _ZN7rocprim17ROCPRIM_400000_NS6detail17trampoline_kernelINS0_14default_configENS1_38merge_sort_block_merge_config_selectorIjN6thrust23THRUST_200600_302600_NS5tupleIffNS6_9null_typeES8_S8_S8_S8_S8_S8_S8_EEEEZZNS1_27merge_sort_block_merge_implIS3_NS6_6detail15normal_iteratorINS6_10device_ptrIjEEEENSD_INSE_IS9_EEEEjNS1_19radix_merge_compareILb0ELb0EjNS0_19identity_decomposerEEEEE10hipError_tT0_T1_T2_jT3_P12ihipStream_tbPNSt15iterator_traitsISN_E10value_typeEPNST_ISO_E10value_typeEPSP_NS1_7vsmem_tEENKUlT_SN_SO_SP_E_clIPjSG_PS9_SI_EESM_S12_SN_SO_SP_EUlS12_E1_NS1_11comp_targetILNS1_3genE10ELNS1_11target_archE1201ELNS1_3gpuE5ELNS1_3repE0EEENS1_36merge_oddeven_config_static_selectorELNS0_4arch9wavefront6targetE0EEEvSO_.has_dyn_sized_stack, 0
	.set _ZN7rocprim17ROCPRIM_400000_NS6detail17trampoline_kernelINS0_14default_configENS1_38merge_sort_block_merge_config_selectorIjN6thrust23THRUST_200600_302600_NS5tupleIffNS6_9null_typeES8_S8_S8_S8_S8_S8_S8_EEEEZZNS1_27merge_sort_block_merge_implIS3_NS6_6detail15normal_iteratorINS6_10device_ptrIjEEEENSD_INSE_IS9_EEEEjNS1_19radix_merge_compareILb0ELb0EjNS0_19identity_decomposerEEEEE10hipError_tT0_T1_T2_jT3_P12ihipStream_tbPNSt15iterator_traitsISN_E10value_typeEPNST_ISO_E10value_typeEPSP_NS1_7vsmem_tEENKUlT_SN_SO_SP_E_clIPjSG_PS9_SI_EESM_S12_SN_SO_SP_EUlS12_E1_NS1_11comp_targetILNS1_3genE10ELNS1_11target_archE1201ELNS1_3gpuE5ELNS1_3repE0EEENS1_36merge_oddeven_config_static_selectorELNS0_4arch9wavefront6targetE0EEEvSO_.has_recursion, 0
	.set _ZN7rocprim17ROCPRIM_400000_NS6detail17trampoline_kernelINS0_14default_configENS1_38merge_sort_block_merge_config_selectorIjN6thrust23THRUST_200600_302600_NS5tupleIffNS6_9null_typeES8_S8_S8_S8_S8_S8_S8_EEEEZZNS1_27merge_sort_block_merge_implIS3_NS6_6detail15normal_iteratorINS6_10device_ptrIjEEEENSD_INSE_IS9_EEEEjNS1_19radix_merge_compareILb0ELb0EjNS0_19identity_decomposerEEEEE10hipError_tT0_T1_T2_jT3_P12ihipStream_tbPNSt15iterator_traitsISN_E10value_typeEPNST_ISO_E10value_typeEPSP_NS1_7vsmem_tEENKUlT_SN_SO_SP_E_clIPjSG_PS9_SI_EESM_S12_SN_SO_SP_EUlS12_E1_NS1_11comp_targetILNS1_3genE10ELNS1_11target_archE1201ELNS1_3gpuE5ELNS1_3repE0EEENS1_36merge_oddeven_config_static_selectorELNS0_4arch9wavefront6targetE0EEEvSO_.has_indirect_call, 0
	.section	.AMDGPU.csdata,"",@progbits
; Kernel info:
; codeLenInByte = 0
; TotalNumSgprs: 0
; NumVgprs: 0
; ScratchSize: 0
; MemoryBound: 0
; FloatMode: 240
; IeeeMode: 1
; LDSByteSize: 0 bytes/workgroup (compile time only)
; SGPRBlocks: 0
; VGPRBlocks: 0
; NumSGPRsForWavesPerEU: 1
; NumVGPRsForWavesPerEU: 1
; Occupancy: 16
; WaveLimiterHint : 0
; COMPUTE_PGM_RSRC2:SCRATCH_EN: 0
; COMPUTE_PGM_RSRC2:USER_SGPR: 6
; COMPUTE_PGM_RSRC2:TRAP_HANDLER: 0
; COMPUTE_PGM_RSRC2:TGID_X_EN: 1
; COMPUTE_PGM_RSRC2:TGID_Y_EN: 0
; COMPUTE_PGM_RSRC2:TGID_Z_EN: 0
; COMPUTE_PGM_RSRC2:TIDIG_COMP_CNT: 0
	.section	.text._ZN7rocprim17ROCPRIM_400000_NS6detail17trampoline_kernelINS0_14default_configENS1_38merge_sort_block_merge_config_selectorIjN6thrust23THRUST_200600_302600_NS5tupleIffNS6_9null_typeES8_S8_S8_S8_S8_S8_S8_EEEEZZNS1_27merge_sort_block_merge_implIS3_NS6_6detail15normal_iteratorINS6_10device_ptrIjEEEENSD_INSE_IS9_EEEEjNS1_19radix_merge_compareILb0ELb0EjNS0_19identity_decomposerEEEEE10hipError_tT0_T1_T2_jT3_P12ihipStream_tbPNSt15iterator_traitsISN_E10value_typeEPNST_ISO_E10value_typeEPSP_NS1_7vsmem_tEENKUlT_SN_SO_SP_E_clIPjSG_PS9_SI_EESM_S12_SN_SO_SP_EUlS12_E1_NS1_11comp_targetILNS1_3genE5ELNS1_11target_archE942ELNS1_3gpuE9ELNS1_3repE0EEENS1_36merge_oddeven_config_static_selectorELNS0_4arch9wavefront6targetE0EEEvSO_,"axG",@progbits,_ZN7rocprim17ROCPRIM_400000_NS6detail17trampoline_kernelINS0_14default_configENS1_38merge_sort_block_merge_config_selectorIjN6thrust23THRUST_200600_302600_NS5tupleIffNS6_9null_typeES8_S8_S8_S8_S8_S8_S8_EEEEZZNS1_27merge_sort_block_merge_implIS3_NS6_6detail15normal_iteratorINS6_10device_ptrIjEEEENSD_INSE_IS9_EEEEjNS1_19radix_merge_compareILb0ELb0EjNS0_19identity_decomposerEEEEE10hipError_tT0_T1_T2_jT3_P12ihipStream_tbPNSt15iterator_traitsISN_E10value_typeEPNST_ISO_E10value_typeEPSP_NS1_7vsmem_tEENKUlT_SN_SO_SP_E_clIPjSG_PS9_SI_EESM_S12_SN_SO_SP_EUlS12_E1_NS1_11comp_targetILNS1_3genE5ELNS1_11target_archE942ELNS1_3gpuE9ELNS1_3repE0EEENS1_36merge_oddeven_config_static_selectorELNS0_4arch9wavefront6targetE0EEEvSO_,comdat
	.protected	_ZN7rocprim17ROCPRIM_400000_NS6detail17trampoline_kernelINS0_14default_configENS1_38merge_sort_block_merge_config_selectorIjN6thrust23THRUST_200600_302600_NS5tupleIffNS6_9null_typeES8_S8_S8_S8_S8_S8_S8_EEEEZZNS1_27merge_sort_block_merge_implIS3_NS6_6detail15normal_iteratorINS6_10device_ptrIjEEEENSD_INSE_IS9_EEEEjNS1_19radix_merge_compareILb0ELb0EjNS0_19identity_decomposerEEEEE10hipError_tT0_T1_T2_jT3_P12ihipStream_tbPNSt15iterator_traitsISN_E10value_typeEPNST_ISO_E10value_typeEPSP_NS1_7vsmem_tEENKUlT_SN_SO_SP_E_clIPjSG_PS9_SI_EESM_S12_SN_SO_SP_EUlS12_E1_NS1_11comp_targetILNS1_3genE5ELNS1_11target_archE942ELNS1_3gpuE9ELNS1_3repE0EEENS1_36merge_oddeven_config_static_selectorELNS0_4arch9wavefront6targetE0EEEvSO_ ; -- Begin function _ZN7rocprim17ROCPRIM_400000_NS6detail17trampoline_kernelINS0_14default_configENS1_38merge_sort_block_merge_config_selectorIjN6thrust23THRUST_200600_302600_NS5tupleIffNS6_9null_typeES8_S8_S8_S8_S8_S8_S8_EEEEZZNS1_27merge_sort_block_merge_implIS3_NS6_6detail15normal_iteratorINS6_10device_ptrIjEEEENSD_INSE_IS9_EEEEjNS1_19radix_merge_compareILb0ELb0EjNS0_19identity_decomposerEEEEE10hipError_tT0_T1_T2_jT3_P12ihipStream_tbPNSt15iterator_traitsISN_E10value_typeEPNST_ISO_E10value_typeEPSP_NS1_7vsmem_tEENKUlT_SN_SO_SP_E_clIPjSG_PS9_SI_EESM_S12_SN_SO_SP_EUlS12_E1_NS1_11comp_targetILNS1_3genE5ELNS1_11target_archE942ELNS1_3gpuE9ELNS1_3repE0EEENS1_36merge_oddeven_config_static_selectorELNS0_4arch9wavefront6targetE0EEEvSO_
	.globl	_ZN7rocprim17ROCPRIM_400000_NS6detail17trampoline_kernelINS0_14default_configENS1_38merge_sort_block_merge_config_selectorIjN6thrust23THRUST_200600_302600_NS5tupleIffNS6_9null_typeES8_S8_S8_S8_S8_S8_S8_EEEEZZNS1_27merge_sort_block_merge_implIS3_NS6_6detail15normal_iteratorINS6_10device_ptrIjEEEENSD_INSE_IS9_EEEEjNS1_19radix_merge_compareILb0ELb0EjNS0_19identity_decomposerEEEEE10hipError_tT0_T1_T2_jT3_P12ihipStream_tbPNSt15iterator_traitsISN_E10value_typeEPNST_ISO_E10value_typeEPSP_NS1_7vsmem_tEENKUlT_SN_SO_SP_E_clIPjSG_PS9_SI_EESM_S12_SN_SO_SP_EUlS12_E1_NS1_11comp_targetILNS1_3genE5ELNS1_11target_archE942ELNS1_3gpuE9ELNS1_3repE0EEENS1_36merge_oddeven_config_static_selectorELNS0_4arch9wavefront6targetE0EEEvSO_
	.p2align	8
	.type	_ZN7rocprim17ROCPRIM_400000_NS6detail17trampoline_kernelINS0_14default_configENS1_38merge_sort_block_merge_config_selectorIjN6thrust23THRUST_200600_302600_NS5tupleIffNS6_9null_typeES8_S8_S8_S8_S8_S8_S8_EEEEZZNS1_27merge_sort_block_merge_implIS3_NS6_6detail15normal_iteratorINS6_10device_ptrIjEEEENSD_INSE_IS9_EEEEjNS1_19radix_merge_compareILb0ELb0EjNS0_19identity_decomposerEEEEE10hipError_tT0_T1_T2_jT3_P12ihipStream_tbPNSt15iterator_traitsISN_E10value_typeEPNST_ISO_E10value_typeEPSP_NS1_7vsmem_tEENKUlT_SN_SO_SP_E_clIPjSG_PS9_SI_EESM_S12_SN_SO_SP_EUlS12_E1_NS1_11comp_targetILNS1_3genE5ELNS1_11target_archE942ELNS1_3gpuE9ELNS1_3repE0EEENS1_36merge_oddeven_config_static_selectorELNS0_4arch9wavefront6targetE0EEEvSO_,@function
_ZN7rocprim17ROCPRIM_400000_NS6detail17trampoline_kernelINS0_14default_configENS1_38merge_sort_block_merge_config_selectorIjN6thrust23THRUST_200600_302600_NS5tupleIffNS6_9null_typeES8_S8_S8_S8_S8_S8_S8_EEEEZZNS1_27merge_sort_block_merge_implIS3_NS6_6detail15normal_iteratorINS6_10device_ptrIjEEEENSD_INSE_IS9_EEEEjNS1_19radix_merge_compareILb0ELb0EjNS0_19identity_decomposerEEEEE10hipError_tT0_T1_T2_jT3_P12ihipStream_tbPNSt15iterator_traitsISN_E10value_typeEPNST_ISO_E10value_typeEPSP_NS1_7vsmem_tEENKUlT_SN_SO_SP_E_clIPjSG_PS9_SI_EESM_S12_SN_SO_SP_EUlS12_E1_NS1_11comp_targetILNS1_3genE5ELNS1_11target_archE942ELNS1_3gpuE9ELNS1_3repE0EEENS1_36merge_oddeven_config_static_selectorELNS0_4arch9wavefront6targetE0EEEvSO_: ; @_ZN7rocprim17ROCPRIM_400000_NS6detail17trampoline_kernelINS0_14default_configENS1_38merge_sort_block_merge_config_selectorIjN6thrust23THRUST_200600_302600_NS5tupleIffNS6_9null_typeES8_S8_S8_S8_S8_S8_S8_EEEEZZNS1_27merge_sort_block_merge_implIS3_NS6_6detail15normal_iteratorINS6_10device_ptrIjEEEENSD_INSE_IS9_EEEEjNS1_19radix_merge_compareILb0ELb0EjNS0_19identity_decomposerEEEEE10hipError_tT0_T1_T2_jT3_P12ihipStream_tbPNSt15iterator_traitsISN_E10value_typeEPNST_ISO_E10value_typeEPSP_NS1_7vsmem_tEENKUlT_SN_SO_SP_E_clIPjSG_PS9_SI_EESM_S12_SN_SO_SP_EUlS12_E1_NS1_11comp_targetILNS1_3genE5ELNS1_11target_archE942ELNS1_3gpuE9ELNS1_3repE0EEENS1_36merge_oddeven_config_static_selectorELNS0_4arch9wavefront6targetE0EEEvSO_
; %bb.0:
	.section	.rodata,"a",@progbits
	.p2align	6, 0x0
	.amdhsa_kernel _ZN7rocprim17ROCPRIM_400000_NS6detail17trampoline_kernelINS0_14default_configENS1_38merge_sort_block_merge_config_selectorIjN6thrust23THRUST_200600_302600_NS5tupleIffNS6_9null_typeES8_S8_S8_S8_S8_S8_S8_EEEEZZNS1_27merge_sort_block_merge_implIS3_NS6_6detail15normal_iteratorINS6_10device_ptrIjEEEENSD_INSE_IS9_EEEEjNS1_19radix_merge_compareILb0ELb0EjNS0_19identity_decomposerEEEEE10hipError_tT0_T1_T2_jT3_P12ihipStream_tbPNSt15iterator_traitsISN_E10value_typeEPNST_ISO_E10value_typeEPSP_NS1_7vsmem_tEENKUlT_SN_SO_SP_E_clIPjSG_PS9_SI_EESM_S12_SN_SO_SP_EUlS12_E1_NS1_11comp_targetILNS1_3genE5ELNS1_11target_archE942ELNS1_3gpuE9ELNS1_3repE0EEENS1_36merge_oddeven_config_static_selectorELNS0_4arch9wavefront6targetE0EEEvSO_
		.amdhsa_group_segment_fixed_size 0
		.amdhsa_private_segment_fixed_size 0
		.amdhsa_kernarg_size 48
		.amdhsa_user_sgpr_count 6
		.amdhsa_user_sgpr_private_segment_buffer 1
		.amdhsa_user_sgpr_dispatch_ptr 0
		.amdhsa_user_sgpr_queue_ptr 0
		.amdhsa_user_sgpr_kernarg_segment_ptr 1
		.amdhsa_user_sgpr_dispatch_id 0
		.amdhsa_user_sgpr_flat_scratch_init 0
		.amdhsa_user_sgpr_private_segment_size 0
		.amdhsa_wavefront_size32 1
		.amdhsa_uses_dynamic_stack 0
		.amdhsa_system_sgpr_private_segment_wavefront_offset 0
		.amdhsa_system_sgpr_workgroup_id_x 1
		.amdhsa_system_sgpr_workgroup_id_y 0
		.amdhsa_system_sgpr_workgroup_id_z 0
		.amdhsa_system_sgpr_workgroup_info 0
		.amdhsa_system_vgpr_workitem_id 0
		.amdhsa_next_free_vgpr 1
		.amdhsa_next_free_sgpr 1
		.amdhsa_reserve_vcc 0
		.amdhsa_reserve_flat_scratch 0
		.amdhsa_float_round_mode_32 0
		.amdhsa_float_round_mode_16_64 0
		.amdhsa_float_denorm_mode_32 3
		.amdhsa_float_denorm_mode_16_64 3
		.amdhsa_dx10_clamp 1
		.amdhsa_ieee_mode 1
		.amdhsa_fp16_overflow 0
		.amdhsa_workgroup_processor_mode 1
		.amdhsa_memory_ordered 1
		.amdhsa_forward_progress 1
		.amdhsa_shared_vgpr_count 0
		.amdhsa_exception_fp_ieee_invalid_op 0
		.amdhsa_exception_fp_denorm_src 0
		.amdhsa_exception_fp_ieee_div_zero 0
		.amdhsa_exception_fp_ieee_overflow 0
		.amdhsa_exception_fp_ieee_underflow 0
		.amdhsa_exception_fp_ieee_inexact 0
		.amdhsa_exception_int_div_zero 0
	.end_amdhsa_kernel
	.section	.text._ZN7rocprim17ROCPRIM_400000_NS6detail17trampoline_kernelINS0_14default_configENS1_38merge_sort_block_merge_config_selectorIjN6thrust23THRUST_200600_302600_NS5tupleIffNS6_9null_typeES8_S8_S8_S8_S8_S8_S8_EEEEZZNS1_27merge_sort_block_merge_implIS3_NS6_6detail15normal_iteratorINS6_10device_ptrIjEEEENSD_INSE_IS9_EEEEjNS1_19radix_merge_compareILb0ELb0EjNS0_19identity_decomposerEEEEE10hipError_tT0_T1_T2_jT3_P12ihipStream_tbPNSt15iterator_traitsISN_E10value_typeEPNST_ISO_E10value_typeEPSP_NS1_7vsmem_tEENKUlT_SN_SO_SP_E_clIPjSG_PS9_SI_EESM_S12_SN_SO_SP_EUlS12_E1_NS1_11comp_targetILNS1_3genE5ELNS1_11target_archE942ELNS1_3gpuE9ELNS1_3repE0EEENS1_36merge_oddeven_config_static_selectorELNS0_4arch9wavefront6targetE0EEEvSO_,"axG",@progbits,_ZN7rocprim17ROCPRIM_400000_NS6detail17trampoline_kernelINS0_14default_configENS1_38merge_sort_block_merge_config_selectorIjN6thrust23THRUST_200600_302600_NS5tupleIffNS6_9null_typeES8_S8_S8_S8_S8_S8_S8_EEEEZZNS1_27merge_sort_block_merge_implIS3_NS6_6detail15normal_iteratorINS6_10device_ptrIjEEEENSD_INSE_IS9_EEEEjNS1_19radix_merge_compareILb0ELb0EjNS0_19identity_decomposerEEEEE10hipError_tT0_T1_T2_jT3_P12ihipStream_tbPNSt15iterator_traitsISN_E10value_typeEPNST_ISO_E10value_typeEPSP_NS1_7vsmem_tEENKUlT_SN_SO_SP_E_clIPjSG_PS9_SI_EESM_S12_SN_SO_SP_EUlS12_E1_NS1_11comp_targetILNS1_3genE5ELNS1_11target_archE942ELNS1_3gpuE9ELNS1_3repE0EEENS1_36merge_oddeven_config_static_selectorELNS0_4arch9wavefront6targetE0EEEvSO_,comdat
.Lfunc_end43:
	.size	_ZN7rocprim17ROCPRIM_400000_NS6detail17trampoline_kernelINS0_14default_configENS1_38merge_sort_block_merge_config_selectorIjN6thrust23THRUST_200600_302600_NS5tupleIffNS6_9null_typeES8_S8_S8_S8_S8_S8_S8_EEEEZZNS1_27merge_sort_block_merge_implIS3_NS6_6detail15normal_iteratorINS6_10device_ptrIjEEEENSD_INSE_IS9_EEEEjNS1_19radix_merge_compareILb0ELb0EjNS0_19identity_decomposerEEEEE10hipError_tT0_T1_T2_jT3_P12ihipStream_tbPNSt15iterator_traitsISN_E10value_typeEPNST_ISO_E10value_typeEPSP_NS1_7vsmem_tEENKUlT_SN_SO_SP_E_clIPjSG_PS9_SI_EESM_S12_SN_SO_SP_EUlS12_E1_NS1_11comp_targetILNS1_3genE5ELNS1_11target_archE942ELNS1_3gpuE9ELNS1_3repE0EEENS1_36merge_oddeven_config_static_selectorELNS0_4arch9wavefront6targetE0EEEvSO_, .Lfunc_end43-_ZN7rocprim17ROCPRIM_400000_NS6detail17trampoline_kernelINS0_14default_configENS1_38merge_sort_block_merge_config_selectorIjN6thrust23THRUST_200600_302600_NS5tupleIffNS6_9null_typeES8_S8_S8_S8_S8_S8_S8_EEEEZZNS1_27merge_sort_block_merge_implIS3_NS6_6detail15normal_iteratorINS6_10device_ptrIjEEEENSD_INSE_IS9_EEEEjNS1_19radix_merge_compareILb0ELb0EjNS0_19identity_decomposerEEEEE10hipError_tT0_T1_T2_jT3_P12ihipStream_tbPNSt15iterator_traitsISN_E10value_typeEPNST_ISO_E10value_typeEPSP_NS1_7vsmem_tEENKUlT_SN_SO_SP_E_clIPjSG_PS9_SI_EESM_S12_SN_SO_SP_EUlS12_E1_NS1_11comp_targetILNS1_3genE5ELNS1_11target_archE942ELNS1_3gpuE9ELNS1_3repE0EEENS1_36merge_oddeven_config_static_selectorELNS0_4arch9wavefront6targetE0EEEvSO_
                                        ; -- End function
	.set _ZN7rocprim17ROCPRIM_400000_NS6detail17trampoline_kernelINS0_14default_configENS1_38merge_sort_block_merge_config_selectorIjN6thrust23THRUST_200600_302600_NS5tupleIffNS6_9null_typeES8_S8_S8_S8_S8_S8_S8_EEEEZZNS1_27merge_sort_block_merge_implIS3_NS6_6detail15normal_iteratorINS6_10device_ptrIjEEEENSD_INSE_IS9_EEEEjNS1_19radix_merge_compareILb0ELb0EjNS0_19identity_decomposerEEEEE10hipError_tT0_T1_T2_jT3_P12ihipStream_tbPNSt15iterator_traitsISN_E10value_typeEPNST_ISO_E10value_typeEPSP_NS1_7vsmem_tEENKUlT_SN_SO_SP_E_clIPjSG_PS9_SI_EESM_S12_SN_SO_SP_EUlS12_E1_NS1_11comp_targetILNS1_3genE5ELNS1_11target_archE942ELNS1_3gpuE9ELNS1_3repE0EEENS1_36merge_oddeven_config_static_selectorELNS0_4arch9wavefront6targetE0EEEvSO_.num_vgpr, 0
	.set _ZN7rocprim17ROCPRIM_400000_NS6detail17trampoline_kernelINS0_14default_configENS1_38merge_sort_block_merge_config_selectorIjN6thrust23THRUST_200600_302600_NS5tupleIffNS6_9null_typeES8_S8_S8_S8_S8_S8_S8_EEEEZZNS1_27merge_sort_block_merge_implIS3_NS6_6detail15normal_iteratorINS6_10device_ptrIjEEEENSD_INSE_IS9_EEEEjNS1_19radix_merge_compareILb0ELb0EjNS0_19identity_decomposerEEEEE10hipError_tT0_T1_T2_jT3_P12ihipStream_tbPNSt15iterator_traitsISN_E10value_typeEPNST_ISO_E10value_typeEPSP_NS1_7vsmem_tEENKUlT_SN_SO_SP_E_clIPjSG_PS9_SI_EESM_S12_SN_SO_SP_EUlS12_E1_NS1_11comp_targetILNS1_3genE5ELNS1_11target_archE942ELNS1_3gpuE9ELNS1_3repE0EEENS1_36merge_oddeven_config_static_selectorELNS0_4arch9wavefront6targetE0EEEvSO_.num_agpr, 0
	.set _ZN7rocprim17ROCPRIM_400000_NS6detail17trampoline_kernelINS0_14default_configENS1_38merge_sort_block_merge_config_selectorIjN6thrust23THRUST_200600_302600_NS5tupleIffNS6_9null_typeES8_S8_S8_S8_S8_S8_S8_EEEEZZNS1_27merge_sort_block_merge_implIS3_NS6_6detail15normal_iteratorINS6_10device_ptrIjEEEENSD_INSE_IS9_EEEEjNS1_19radix_merge_compareILb0ELb0EjNS0_19identity_decomposerEEEEE10hipError_tT0_T1_T2_jT3_P12ihipStream_tbPNSt15iterator_traitsISN_E10value_typeEPNST_ISO_E10value_typeEPSP_NS1_7vsmem_tEENKUlT_SN_SO_SP_E_clIPjSG_PS9_SI_EESM_S12_SN_SO_SP_EUlS12_E1_NS1_11comp_targetILNS1_3genE5ELNS1_11target_archE942ELNS1_3gpuE9ELNS1_3repE0EEENS1_36merge_oddeven_config_static_selectorELNS0_4arch9wavefront6targetE0EEEvSO_.numbered_sgpr, 0
	.set _ZN7rocprim17ROCPRIM_400000_NS6detail17trampoline_kernelINS0_14default_configENS1_38merge_sort_block_merge_config_selectorIjN6thrust23THRUST_200600_302600_NS5tupleIffNS6_9null_typeES8_S8_S8_S8_S8_S8_S8_EEEEZZNS1_27merge_sort_block_merge_implIS3_NS6_6detail15normal_iteratorINS6_10device_ptrIjEEEENSD_INSE_IS9_EEEEjNS1_19radix_merge_compareILb0ELb0EjNS0_19identity_decomposerEEEEE10hipError_tT0_T1_T2_jT3_P12ihipStream_tbPNSt15iterator_traitsISN_E10value_typeEPNST_ISO_E10value_typeEPSP_NS1_7vsmem_tEENKUlT_SN_SO_SP_E_clIPjSG_PS9_SI_EESM_S12_SN_SO_SP_EUlS12_E1_NS1_11comp_targetILNS1_3genE5ELNS1_11target_archE942ELNS1_3gpuE9ELNS1_3repE0EEENS1_36merge_oddeven_config_static_selectorELNS0_4arch9wavefront6targetE0EEEvSO_.num_named_barrier, 0
	.set _ZN7rocprim17ROCPRIM_400000_NS6detail17trampoline_kernelINS0_14default_configENS1_38merge_sort_block_merge_config_selectorIjN6thrust23THRUST_200600_302600_NS5tupleIffNS6_9null_typeES8_S8_S8_S8_S8_S8_S8_EEEEZZNS1_27merge_sort_block_merge_implIS3_NS6_6detail15normal_iteratorINS6_10device_ptrIjEEEENSD_INSE_IS9_EEEEjNS1_19radix_merge_compareILb0ELb0EjNS0_19identity_decomposerEEEEE10hipError_tT0_T1_T2_jT3_P12ihipStream_tbPNSt15iterator_traitsISN_E10value_typeEPNST_ISO_E10value_typeEPSP_NS1_7vsmem_tEENKUlT_SN_SO_SP_E_clIPjSG_PS9_SI_EESM_S12_SN_SO_SP_EUlS12_E1_NS1_11comp_targetILNS1_3genE5ELNS1_11target_archE942ELNS1_3gpuE9ELNS1_3repE0EEENS1_36merge_oddeven_config_static_selectorELNS0_4arch9wavefront6targetE0EEEvSO_.private_seg_size, 0
	.set _ZN7rocprim17ROCPRIM_400000_NS6detail17trampoline_kernelINS0_14default_configENS1_38merge_sort_block_merge_config_selectorIjN6thrust23THRUST_200600_302600_NS5tupleIffNS6_9null_typeES8_S8_S8_S8_S8_S8_S8_EEEEZZNS1_27merge_sort_block_merge_implIS3_NS6_6detail15normal_iteratorINS6_10device_ptrIjEEEENSD_INSE_IS9_EEEEjNS1_19radix_merge_compareILb0ELb0EjNS0_19identity_decomposerEEEEE10hipError_tT0_T1_T2_jT3_P12ihipStream_tbPNSt15iterator_traitsISN_E10value_typeEPNST_ISO_E10value_typeEPSP_NS1_7vsmem_tEENKUlT_SN_SO_SP_E_clIPjSG_PS9_SI_EESM_S12_SN_SO_SP_EUlS12_E1_NS1_11comp_targetILNS1_3genE5ELNS1_11target_archE942ELNS1_3gpuE9ELNS1_3repE0EEENS1_36merge_oddeven_config_static_selectorELNS0_4arch9wavefront6targetE0EEEvSO_.uses_vcc, 0
	.set _ZN7rocprim17ROCPRIM_400000_NS6detail17trampoline_kernelINS0_14default_configENS1_38merge_sort_block_merge_config_selectorIjN6thrust23THRUST_200600_302600_NS5tupleIffNS6_9null_typeES8_S8_S8_S8_S8_S8_S8_EEEEZZNS1_27merge_sort_block_merge_implIS3_NS6_6detail15normal_iteratorINS6_10device_ptrIjEEEENSD_INSE_IS9_EEEEjNS1_19radix_merge_compareILb0ELb0EjNS0_19identity_decomposerEEEEE10hipError_tT0_T1_T2_jT3_P12ihipStream_tbPNSt15iterator_traitsISN_E10value_typeEPNST_ISO_E10value_typeEPSP_NS1_7vsmem_tEENKUlT_SN_SO_SP_E_clIPjSG_PS9_SI_EESM_S12_SN_SO_SP_EUlS12_E1_NS1_11comp_targetILNS1_3genE5ELNS1_11target_archE942ELNS1_3gpuE9ELNS1_3repE0EEENS1_36merge_oddeven_config_static_selectorELNS0_4arch9wavefront6targetE0EEEvSO_.uses_flat_scratch, 0
	.set _ZN7rocprim17ROCPRIM_400000_NS6detail17trampoline_kernelINS0_14default_configENS1_38merge_sort_block_merge_config_selectorIjN6thrust23THRUST_200600_302600_NS5tupleIffNS6_9null_typeES8_S8_S8_S8_S8_S8_S8_EEEEZZNS1_27merge_sort_block_merge_implIS3_NS6_6detail15normal_iteratorINS6_10device_ptrIjEEEENSD_INSE_IS9_EEEEjNS1_19radix_merge_compareILb0ELb0EjNS0_19identity_decomposerEEEEE10hipError_tT0_T1_T2_jT3_P12ihipStream_tbPNSt15iterator_traitsISN_E10value_typeEPNST_ISO_E10value_typeEPSP_NS1_7vsmem_tEENKUlT_SN_SO_SP_E_clIPjSG_PS9_SI_EESM_S12_SN_SO_SP_EUlS12_E1_NS1_11comp_targetILNS1_3genE5ELNS1_11target_archE942ELNS1_3gpuE9ELNS1_3repE0EEENS1_36merge_oddeven_config_static_selectorELNS0_4arch9wavefront6targetE0EEEvSO_.has_dyn_sized_stack, 0
	.set _ZN7rocprim17ROCPRIM_400000_NS6detail17trampoline_kernelINS0_14default_configENS1_38merge_sort_block_merge_config_selectorIjN6thrust23THRUST_200600_302600_NS5tupleIffNS6_9null_typeES8_S8_S8_S8_S8_S8_S8_EEEEZZNS1_27merge_sort_block_merge_implIS3_NS6_6detail15normal_iteratorINS6_10device_ptrIjEEEENSD_INSE_IS9_EEEEjNS1_19radix_merge_compareILb0ELb0EjNS0_19identity_decomposerEEEEE10hipError_tT0_T1_T2_jT3_P12ihipStream_tbPNSt15iterator_traitsISN_E10value_typeEPNST_ISO_E10value_typeEPSP_NS1_7vsmem_tEENKUlT_SN_SO_SP_E_clIPjSG_PS9_SI_EESM_S12_SN_SO_SP_EUlS12_E1_NS1_11comp_targetILNS1_3genE5ELNS1_11target_archE942ELNS1_3gpuE9ELNS1_3repE0EEENS1_36merge_oddeven_config_static_selectorELNS0_4arch9wavefront6targetE0EEEvSO_.has_recursion, 0
	.set _ZN7rocprim17ROCPRIM_400000_NS6detail17trampoline_kernelINS0_14default_configENS1_38merge_sort_block_merge_config_selectorIjN6thrust23THRUST_200600_302600_NS5tupleIffNS6_9null_typeES8_S8_S8_S8_S8_S8_S8_EEEEZZNS1_27merge_sort_block_merge_implIS3_NS6_6detail15normal_iteratorINS6_10device_ptrIjEEEENSD_INSE_IS9_EEEEjNS1_19radix_merge_compareILb0ELb0EjNS0_19identity_decomposerEEEEE10hipError_tT0_T1_T2_jT3_P12ihipStream_tbPNSt15iterator_traitsISN_E10value_typeEPNST_ISO_E10value_typeEPSP_NS1_7vsmem_tEENKUlT_SN_SO_SP_E_clIPjSG_PS9_SI_EESM_S12_SN_SO_SP_EUlS12_E1_NS1_11comp_targetILNS1_3genE5ELNS1_11target_archE942ELNS1_3gpuE9ELNS1_3repE0EEENS1_36merge_oddeven_config_static_selectorELNS0_4arch9wavefront6targetE0EEEvSO_.has_indirect_call, 0
	.section	.AMDGPU.csdata,"",@progbits
; Kernel info:
; codeLenInByte = 0
; TotalNumSgprs: 0
; NumVgprs: 0
; ScratchSize: 0
; MemoryBound: 0
; FloatMode: 240
; IeeeMode: 1
; LDSByteSize: 0 bytes/workgroup (compile time only)
; SGPRBlocks: 0
; VGPRBlocks: 0
; NumSGPRsForWavesPerEU: 1
; NumVGPRsForWavesPerEU: 1
; Occupancy: 16
; WaveLimiterHint : 0
; COMPUTE_PGM_RSRC2:SCRATCH_EN: 0
; COMPUTE_PGM_RSRC2:USER_SGPR: 6
; COMPUTE_PGM_RSRC2:TRAP_HANDLER: 0
; COMPUTE_PGM_RSRC2:TGID_X_EN: 1
; COMPUTE_PGM_RSRC2:TGID_Y_EN: 0
; COMPUTE_PGM_RSRC2:TGID_Z_EN: 0
; COMPUTE_PGM_RSRC2:TIDIG_COMP_CNT: 0
	.section	.text._ZN7rocprim17ROCPRIM_400000_NS6detail17trampoline_kernelINS0_14default_configENS1_38merge_sort_block_merge_config_selectorIjN6thrust23THRUST_200600_302600_NS5tupleIffNS6_9null_typeES8_S8_S8_S8_S8_S8_S8_EEEEZZNS1_27merge_sort_block_merge_implIS3_NS6_6detail15normal_iteratorINS6_10device_ptrIjEEEENSD_INSE_IS9_EEEEjNS1_19radix_merge_compareILb0ELb0EjNS0_19identity_decomposerEEEEE10hipError_tT0_T1_T2_jT3_P12ihipStream_tbPNSt15iterator_traitsISN_E10value_typeEPNST_ISO_E10value_typeEPSP_NS1_7vsmem_tEENKUlT_SN_SO_SP_E_clIPjSG_PS9_SI_EESM_S12_SN_SO_SP_EUlS12_E1_NS1_11comp_targetILNS1_3genE4ELNS1_11target_archE910ELNS1_3gpuE8ELNS1_3repE0EEENS1_36merge_oddeven_config_static_selectorELNS0_4arch9wavefront6targetE0EEEvSO_,"axG",@progbits,_ZN7rocprim17ROCPRIM_400000_NS6detail17trampoline_kernelINS0_14default_configENS1_38merge_sort_block_merge_config_selectorIjN6thrust23THRUST_200600_302600_NS5tupleIffNS6_9null_typeES8_S8_S8_S8_S8_S8_S8_EEEEZZNS1_27merge_sort_block_merge_implIS3_NS6_6detail15normal_iteratorINS6_10device_ptrIjEEEENSD_INSE_IS9_EEEEjNS1_19radix_merge_compareILb0ELb0EjNS0_19identity_decomposerEEEEE10hipError_tT0_T1_T2_jT3_P12ihipStream_tbPNSt15iterator_traitsISN_E10value_typeEPNST_ISO_E10value_typeEPSP_NS1_7vsmem_tEENKUlT_SN_SO_SP_E_clIPjSG_PS9_SI_EESM_S12_SN_SO_SP_EUlS12_E1_NS1_11comp_targetILNS1_3genE4ELNS1_11target_archE910ELNS1_3gpuE8ELNS1_3repE0EEENS1_36merge_oddeven_config_static_selectorELNS0_4arch9wavefront6targetE0EEEvSO_,comdat
	.protected	_ZN7rocprim17ROCPRIM_400000_NS6detail17trampoline_kernelINS0_14default_configENS1_38merge_sort_block_merge_config_selectorIjN6thrust23THRUST_200600_302600_NS5tupleIffNS6_9null_typeES8_S8_S8_S8_S8_S8_S8_EEEEZZNS1_27merge_sort_block_merge_implIS3_NS6_6detail15normal_iteratorINS6_10device_ptrIjEEEENSD_INSE_IS9_EEEEjNS1_19radix_merge_compareILb0ELb0EjNS0_19identity_decomposerEEEEE10hipError_tT0_T1_T2_jT3_P12ihipStream_tbPNSt15iterator_traitsISN_E10value_typeEPNST_ISO_E10value_typeEPSP_NS1_7vsmem_tEENKUlT_SN_SO_SP_E_clIPjSG_PS9_SI_EESM_S12_SN_SO_SP_EUlS12_E1_NS1_11comp_targetILNS1_3genE4ELNS1_11target_archE910ELNS1_3gpuE8ELNS1_3repE0EEENS1_36merge_oddeven_config_static_selectorELNS0_4arch9wavefront6targetE0EEEvSO_ ; -- Begin function _ZN7rocprim17ROCPRIM_400000_NS6detail17trampoline_kernelINS0_14default_configENS1_38merge_sort_block_merge_config_selectorIjN6thrust23THRUST_200600_302600_NS5tupleIffNS6_9null_typeES8_S8_S8_S8_S8_S8_S8_EEEEZZNS1_27merge_sort_block_merge_implIS3_NS6_6detail15normal_iteratorINS6_10device_ptrIjEEEENSD_INSE_IS9_EEEEjNS1_19radix_merge_compareILb0ELb0EjNS0_19identity_decomposerEEEEE10hipError_tT0_T1_T2_jT3_P12ihipStream_tbPNSt15iterator_traitsISN_E10value_typeEPNST_ISO_E10value_typeEPSP_NS1_7vsmem_tEENKUlT_SN_SO_SP_E_clIPjSG_PS9_SI_EESM_S12_SN_SO_SP_EUlS12_E1_NS1_11comp_targetILNS1_3genE4ELNS1_11target_archE910ELNS1_3gpuE8ELNS1_3repE0EEENS1_36merge_oddeven_config_static_selectorELNS0_4arch9wavefront6targetE0EEEvSO_
	.globl	_ZN7rocprim17ROCPRIM_400000_NS6detail17trampoline_kernelINS0_14default_configENS1_38merge_sort_block_merge_config_selectorIjN6thrust23THRUST_200600_302600_NS5tupleIffNS6_9null_typeES8_S8_S8_S8_S8_S8_S8_EEEEZZNS1_27merge_sort_block_merge_implIS3_NS6_6detail15normal_iteratorINS6_10device_ptrIjEEEENSD_INSE_IS9_EEEEjNS1_19radix_merge_compareILb0ELb0EjNS0_19identity_decomposerEEEEE10hipError_tT0_T1_T2_jT3_P12ihipStream_tbPNSt15iterator_traitsISN_E10value_typeEPNST_ISO_E10value_typeEPSP_NS1_7vsmem_tEENKUlT_SN_SO_SP_E_clIPjSG_PS9_SI_EESM_S12_SN_SO_SP_EUlS12_E1_NS1_11comp_targetILNS1_3genE4ELNS1_11target_archE910ELNS1_3gpuE8ELNS1_3repE0EEENS1_36merge_oddeven_config_static_selectorELNS0_4arch9wavefront6targetE0EEEvSO_
	.p2align	8
	.type	_ZN7rocprim17ROCPRIM_400000_NS6detail17trampoline_kernelINS0_14default_configENS1_38merge_sort_block_merge_config_selectorIjN6thrust23THRUST_200600_302600_NS5tupleIffNS6_9null_typeES8_S8_S8_S8_S8_S8_S8_EEEEZZNS1_27merge_sort_block_merge_implIS3_NS6_6detail15normal_iteratorINS6_10device_ptrIjEEEENSD_INSE_IS9_EEEEjNS1_19radix_merge_compareILb0ELb0EjNS0_19identity_decomposerEEEEE10hipError_tT0_T1_T2_jT3_P12ihipStream_tbPNSt15iterator_traitsISN_E10value_typeEPNST_ISO_E10value_typeEPSP_NS1_7vsmem_tEENKUlT_SN_SO_SP_E_clIPjSG_PS9_SI_EESM_S12_SN_SO_SP_EUlS12_E1_NS1_11comp_targetILNS1_3genE4ELNS1_11target_archE910ELNS1_3gpuE8ELNS1_3repE0EEENS1_36merge_oddeven_config_static_selectorELNS0_4arch9wavefront6targetE0EEEvSO_,@function
_ZN7rocprim17ROCPRIM_400000_NS6detail17trampoline_kernelINS0_14default_configENS1_38merge_sort_block_merge_config_selectorIjN6thrust23THRUST_200600_302600_NS5tupleIffNS6_9null_typeES8_S8_S8_S8_S8_S8_S8_EEEEZZNS1_27merge_sort_block_merge_implIS3_NS6_6detail15normal_iteratorINS6_10device_ptrIjEEEENSD_INSE_IS9_EEEEjNS1_19radix_merge_compareILb0ELb0EjNS0_19identity_decomposerEEEEE10hipError_tT0_T1_T2_jT3_P12ihipStream_tbPNSt15iterator_traitsISN_E10value_typeEPNST_ISO_E10value_typeEPSP_NS1_7vsmem_tEENKUlT_SN_SO_SP_E_clIPjSG_PS9_SI_EESM_S12_SN_SO_SP_EUlS12_E1_NS1_11comp_targetILNS1_3genE4ELNS1_11target_archE910ELNS1_3gpuE8ELNS1_3repE0EEENS1_36merge_oddeven_config_static_selectorELNS0_4arch9wavefront6targetE0EEEvSO_: ; @_ZN7rocprim17ROCPRIM_400000_NS6detail17trampoline_kernelINS0_14default_configENS1_38merge_sort_block_merge_config_selectorIjN6thrust23THRUST_200600_302600_NS5tupleIffNS6_9null_typeES8_S8_S8_S8_S8_S8_S8_EEEEZZNS1_27merge_sort_block_merge_implIS3_NS6_6detail15normal_iteratorINS6_10device_ptrIjEEEENSD_INSE_IS9_EEEEjNS1_19radix_merge_compareILb0ELb0EjNS0_19identity_decomposerEEEEE10hipError_tT0_T1_T2_jT3_P12ihipStream_tbPNSt15iterator_traitsISN_E10value_typeEPNST_ISO_E10value_typeEPSP_NS1_7vsmem_tEENKUlT_SN_SO_SP_E_clIPjSG_PS9_SI_EESM_S12_SN_SO_SP_EUlS12_E1_NS1_11comp_targetILNS1_3genE4ELNS1_11target_archE910ELNS1_3gpuE8ELNS1_3repE0EEENS1_36merge_oddeven_config_static_selectorELNS0_4arch9wavefront6targetE0EEEvSO_
; %bb.0:
	.section	.rodata,"a",@progbits
	.p2align	6, 0x0
	.amdhsa_kernel _ZN7rocprim17ROCPRIM_400000_NS6detail17trampoline_kernelINS0_14default_configENS1_38merge_sort_block_merge_config_selectorIjN6thrust23THRUST_200600_302600_NS5tupleIffNS6_9null_typeES8_S8_S8_S8_S8_S8_S8_EEEEZZNS1_27merge_sort_block_merge_implIS3_NS6_6detail15normal_iteratorINS6_10device_ptrIjEEEENSD_INSE_IS9_EEEEjNS1_19radix_merge_compareILb0ELb0EjNS0_19identity_decomposerEEEEE10hipError_tT0_T1_T2_jT3_P12ihipStream_tbPNSt15iterator_traitsISN_E10value_typeEPNST_ISO_E10value_typeEPSP_NS1_7vsmem_tEENKUlT_SN_SO_SP_E_clIPjSG_PS9_SI_EESM_S12_SN_SO_SP_EUlS12_E1_NS1_11comp_targetILNS1_3genE4ELNS1_11target_archE910ELNS1_3gpuE8ELNS1_3repE0EEENS1_36merge_oddeven_config_static_selectorELNS0_4arch9wavefront6targetE0EEEvSO_
		.amdhsa_group_segment_fixed_size 0
		.amdhsa_private_segment_fixed_size 0
		.amdhsa_kernarg_size 48
		.amdhsa_user_sgpr_count 6
		.amdhsa_user_sgpr_private_segment_buffer 1
		.amdhsa_user_sgpr_dispatch_ptr 0
		.amdhsa_user_sgpr_queue_ptr 0
		.amdhsa_user_sgpr_kernarg_segment_ptr 1
		.amdhsa_user_sgpr_dispatch_id 0
		.amdhsa_user_sgpr_flat_scratch_init 0
		.amdhsa_user_sgpr_private_segment_size 0
		.amdhsa_wavefront_size32 1
		.amdhsa_uses_dynamic_stack 0
		.amdhsa_system_sgpr_private_segment_wavefront_offset 0
		.amdhsa_system_sgpr_workgroup_id_x 1
		.amdhsa_system_sgpr_workgroup_id_y 0
		.amdhsa_system_sgpr_workgroup_id_z 0
		.amdhsa_system_sgpr_workgroup_info 0
		.amdhsa_system_vgpr_workitem_id 0
		.amdhsa_next_free_vgpr 1
		.amdhsa_next_free_sgpr 1
		.amdhsa_reserve_vcc 0
		.amdhsa_reserve_flat_scratch 0
		.amdhsa_float_round_mode_32 0
		.amdhsa_float_round_mode_16_64 0
		.amdhsa_float_denorm_mode_32 3
		.amdhsa_float_denorm_mode_16_64 3
		.amdhsa_dx10_clamp 1
		.amdhsa_ieee_mode 1
		.amdhsa_fp16_overflow 0
		.amdhsa_workgroup_processor_mode 1
		.amdhsa_memory_ordered 1
		.amdhsa_forward_progress 1
		.amdhsa_shared_vgpr_count 0
		.amdhsa_exception_fp_ieee_invalid_op 0
		.amdhsa_exception_fp_denorm_src 0
		.amdhsa_exception_fp_ieee_div_zero 0
		.amdhsa_exception_fp_ieee_overflow 0
		.amdhsa_exception_fp_ieee_underflow 0
		.amdhsa_exception_fp_ieee_inexact 0
		.amdhsa_exception_int_div_zero 0
	.end_amdhsa_kernel
	.section	.text._ZN7rocprim17ROCPRIM_400000_NS6detail17trampoline_kernelINS0_14default_configENS1_38merge_sort_block_merge_config_selectorIjN6thrust23THRUST_200600_302600_NS5tupleIffNS6_9null_typeES8_S8_S8_S8_S8_S8_S8_EEEEZZNS1_27merge_sort_block_merge_implIS3_NS6_6detail15normal_iteratorINS6_10device_ptrIjEEEENSD_INSE_IS9_EEEEjNS1_19radix_merge_compareILb0ELb0EjNS0_19identity_decomposerEEEEE10hipError_tT0_T1_T2_jT3_P12ihipStream_tbPNSt15iterator_traitsISN_E10value_typeEPNST_ISO_E10value_typeEPSP_NS1_7vsmem_tEENKUlT_SN_SO_SP_E_clIPjSG_PS9_SI_EESM_S12_SN_SO_SP_EUlS12_E1_NS1_11comp_targetILNS1_3genE4ELNS1_11target_archE910ELNS1_3gpuE8ELNS1_3repE0EEENS1_36merge_oddeven_config_static_selectorELNS0_4arch9wavefront6targetE0EEEvSO_,"axG",@progbits,_ZN7rocprim17ROCPRIM_400000_NS6detail17trampoline_kernelINS0_14default_configENS1_38merge_sort_block_merge_config_selectorIjN6thrust23THRUST_200600_302600_NS5tupleIffNS6_9null_typeES8_S8_S8_S8_S8_S8_S8_EEEEZZNS1_27merge_sort_block_merge_implIS3_NS6_6detail15normal_iteratorINS6_10device_ptrIjEEEENSD_INSE_IS9_EEEEjNS1_19radix_merge_compareILb0ELb0EjNS0_19identity_decomposerEEEEE10hipError_tT0_T1_T2_jT3_P12ihipStream_tbPNSt15iterator_traitsISN_E10value_typeEPNST_ISO_E10value_typeEPSP_NS1_7vsmem_tEENKUlT_SN_SO_SP_E_clIPjSG_PS9_SI_EESM_S12_SN_SO_SP_EUlS12_E1_NS1_11comp_targetILNS1_3genE4ELNS1_11target_archE910ELNS1_3gpuE8ELNS1_3repE0EEENS1_36merge_oddeven_config_static_selectorELNS0_4arch9wavefront6targetE0EEEvSO_,comdat
.Lfunc_end44:
	.size	_ZN7rocprim17ROCPRIM_400000_NS6detail17trampoline_kernelINS0_14default_configENS1_38merge_sort_block_merge_config_selectorIjN6thrust23THRUST_200600_302600_NS5tupleIffNS6_9null_typeES8_S8_S8_S8_S8_S8_S8_EEEEZZNS1_27merge_sort_block_merge_implIS3_NS6_6detail15normal_iteratorINS6_10device_ptrIjEEEENSD_INSE_IS9_EEEEjNS1_19radix_merge_compareILb0ELb0EjNS0_19identity_decomposerEEEEE10hipError_tT0_T1_T2_jT3_P12ihipStream_tbPNSt15iterator_traitsISN_E10value_typeEPNST_ISO_E10value_typeEPSP_NS1_7vsmem_tEENKUlT_SN_SO_SP_E_clIPjSG_PS9_SI_EESM_S12_SN_SO_SP_EUlS12_E1_NS1_11comp_targetILNS1_3genE4ELNS1_11target_archE910ELNS1_3gpuE8ELNS1_3repE0EEENS1_36merge_oddeven_config_static_selectorELNS0_4arch9wavefront6targetE0EEEvSO_, .Lfunc_end44-_ZN7rocprim17ROCPRIM_400000_NS6detail17trampoline_kernelINS0_14default_configENS1_38merge_sort_block_merge_config_selectorIjN6thrust23THRUST_200600_302600_NS5tupleIffNS6_9null_typeES8_S8_S8_S8_S8_S8_S8_EEEEZZNS1_27merge_sort_block_merge_implIS3_NS6_6detail15normal_iteratorINS6_10device_ptrIjEEEENSD_INSE_IS9_EEEEjNS1_19radix_merge_compareILb0ELb0EjNS0_19identity_decomposerEEEEE10hipError_tT0_T1_T2_jT3_P12ihipStream_tbPNSt15iterator_traitsISN_E10value_typeEPNST_ISO_E10value_typeEPSP_NS1_7vsmem_tEENKUlT_SN_SO_SP_E_clIPjSG_PS9_SI_EESM_S12_SN_SO_SP_EUlS12_E1_NS1_11comp_targetILNS1_3genE4ELNS1_11target_archE910ELNS1_3gpuE8ELNS1_3repE0EEENS1_36merge_oddeven_config_static_selectorELNS0_4arch9wavefront6targetE0EEEvSO_
                                        ; -- End function
	.set _ZN7rocprim17ROCPRIM_400000_NS6detail17trampoline_kernelINS0_14default_configENS1_38merge_sort_block_merge_config_selectorIjN6thrust23THRUST_200600_302600_NS5tupleIffNS6_9null_typeES8_S8_S8_S8_S8_S8_S8_EEEEZZNS1_27merge_sort_block_merge_implIS3_NS6_6detail15normal_iteratorINS6_10device_ptrIjEEEENSD_INSE_IS9_EEEEjNS1_19radix_merge_compareILb0ELb0EjNS0_19identity_decomposerEEEEE10hipError_tT0_T1_T2_jT3_P12ihipStream_tbPNSt15iterator_traitsISN_E10value_typeEPNST_ISO_E10value_typeEPSP_NS1_7vsmem_tEENKUlT_SN_SO_SP_E_clIPjSG_PS9_SI_EESM_S12_SN_SO_SP_EUlS12_E1_NS1_11comp_targetILNS1_3genE4ELNS1_11target_archE910ELNS1_3gpuE8ELNS1_3repE0EEENS1_36merge_oddeven_config_static_selectorELNS0_4arch9wavefront6targetE0EEEvSO_.num_vgpr, 0
	.set _ZN7rocprim17ROCPRIM_400000_NS6detail17trampoline_kernelINS0_14default_configENS1_38merge_sort_block_merge_config_selectorIjN6thrust23THRUST_200600_302600_NS5tupleIffNS6_9null_typeES8_S8_S8_S8_S8_S8_S8_EEEEZZNS1_27merge_sort_block_merge_implIS3_NS6_6detail15normal_iteratorINS6_10device_ptrIjEEEENSD_INSE_IS9_EEEEjNS1_19radix_merge_compareILb0ELb0EjNS0_19identity_decomposerEEEEE10hipError_tT0_T1_T2_jT3_P12ihipStream_tbPNSt15iterator_traitsISN_E10value_typeEPNST_ISO_E10value_typeEPSP_NS1_7vsmem_tEENKUlT_SN_SO_SP_E_clIPjSG_PS9_SI_EESM_S12_SN_SO_SP_EUlS12_E1_NS1_11comp_targetILNS1_3genE4ELNS1_11target_archE910ELNS1_3gpuE8ELNS1_3repE0EEENS1_36merge_oddeven_config_static_selectorELNS0_4arch9wavefront6targetE0EEEvSO_.num_agpr, 0
	.set _ZN7rocprim17ROCPRIM_400000_NS6detail17trampoline_kernelINS0_14default_configENS1_38merge_sort_block_merge_config_selectorIjN6thrust23THRUST_200600_302600_NS5tupleIffNS6_9null_typeES8_S8_S8_S8_S8_S8_S8_EEEEZZNS1_27merge_sort_block_merge_implIS3_NS6_6detail15normal_iteratorINS6_10device_ptrIjEEEENSD_INSE_IS9_EEEEjNS1_19radix_merge_compareILb0ELb0EjNS0_19identity_decomposerEEEEE10hipError_tT0_T1_T2_jT3_P12ihipStream_tbPNSt15iterator_traitsISN_E10value_typeEPNST_ISO_E10value_typeEPSP_NS1_7vsmem_tEENKUlT_SN_SO_SP_E_clIPjSG_PS9_SI_EESM_S12_SN_SO_SP_EUlS12_E1_NS1_11comp_targetILNS1_3genE4ELNS1_11target_archE910ELNS1_3gpuE8ELNS1_3repE0EEENS1_36merge_oddeven_config_static_selectorELNS0_4arch9wavefront6targetE0EEEvSO_.numbered_sgpr, 0
	.set _ZN7rocprim17ROCPRIM_400000_NS6detail17trampoline_kernelINS0_14default_configENS1_38merge_sort_block_merge_config_selectorIjN6thrust23THRUST_200600_302600_NS5tupleIffNS6_9null_typeES8_S8_S8_S8_S8_S8_S8_EEEEZZNS1_27merge_sort_block_merge_implIS3_NS6_6detail15normal_iteratorINS6_10device_ptrIjEEEENSD_INSE_IS9_EEEEjNS1_19radix_merge_compareILb0ELb0EjNS0_19identity_decomposerEEEEE10hipError_tT0_T1_T2_jT3_P12ihipStream_tbPNSt15iterator_traitsISN_E10value_typeEPNST_ISO_E10value_typeEPSP_NS1_7vsmem_tEENKUlT_SN_SO_SP_E_clIPjSG_PS9_SI_EESM_S12_SN_SO_SP_EUlS12_E1_NS1_11comp_targetILNS1_3genE4ELNS1_11target_archE910ELNS1_3gpuE8ELNS1_3repE0EEENS1_36merge_oddeven_config_static_selectorELNS0_4arch9wavefront6targetE0EEEvSO_.num_named_barrier, 0
	.set _ZN7rocprim17ROCPRIM_400000_NS6detail17trampoline_kernelINS0_14default_configENS1_38merge_sort_block_merge_config_selectorIjN6thrust23THRUST_200600_302600_NS5tupleIffNS6_9null_typeES8_S8_S8_S8_S8_S8_S8_EEEEZZNS1_27merge_sort_block_merge_implIS3_NS6_6detail15normal_iteratorINS6_10device_ptrIjEEEENSD_INSE_IS9_EEEEjNS1_19radix_merge_compareILb0ELb0EjNS0_19identity_decomposerEEEEE10hipError_tT0_T1_T2_jT3_P12ihipStream_tbPNSt15iterator_traitsISN_E10value_typeEPNST_ISO_E10value_typeEPSP_NS1_7vsmem_tEENKUlT_SN_SO_SP_E_clIPjSG_PS9_SI_EESM_S12_SN_SO_SP_EUlS12_E1_NS1_11comp_targetILNS1_3genE4ELNS1_11target_archE910ELNS1_3gpuE8ELNS1_3repE0EEENS1_36merge_oddeven_config_static_selectorELNS0_4arch9wavefront6targetE0EEEvSO_.private_seg_size, 0
	.set _ZN7rocprim17ROCPRIM_400000_NS6detail17trampoline_kernelINS0_14default_configENS1_38merge_sort_block_merge_config_selectorIjN6thrust23THRUST_200600_302600_NS5tupleIffNS6_9null_typeES8_S8_S8_S8_S8_S8_S8_EEEEZZNS1_27merge_sort_block_merge_implIS3_NS6_6detail15normal_iteratorINS6_10device_ptrIjEEEENSD_INSE_IS9_EEEEjNS1_19radix_merge_compareILb0ELb0EjNS0_19identity_decomposerEEEEE10hipError_tT0_T1_T2_jT3_P12ihipStream_tbPNSt15iterator_traitsISN_E10value_typeEPNST_ISO_E10value_typeEPSP_NS1_7vsmem_tEENKUlT_SN_SO_SP_E_clIPjSG_PS9_SI_EESM_S12_SN_SO_SP_EUlS12_E1_NS1_11comp_targetILNS1_3genE4ELNS1_11target_archE910ELNS1_3gpuE8ELNS1_3repE0EEENS1_36merge_oddeven_config_static_selectorELNS0_4arch9wavefront6targetE0EEEvSO_.uses_vcc, 0
	.set _ZN7rocprim17ROCPRIM_400000_NS6detail17trampoline_kernelINS0_14default_configENS1_38merge_sort_block_merge_config_selectorIjN6thrust23THRUST_200600_302600_NS5tupleIffNS6_9null_typeES8_S8_S8_S8_S8_S8_S8_EEEEZZNS1_27merge_sort_block_merge_implIS3_NS6_6detail15normal_iteratorINS6_10device_ptrIjEEEENSD_INSE_IS9_EEEEjNS1_19radix_merge_compareILb0ELb0EjNS0_19identity_decomposerEEEEE10hipError_tT0_T1_T2_jT3_P12ihipStream_tbPNSt15iterator_traitsISN_E10value_typeEPNST_ISO_E10value_typeEPSP_NS1_7vsmem_tEENKUlT_SN_SO_SP_E_clIPjSG_PS9_SI_EESM_S12_SN_SO_SP_EUlS12_E1_NS1_11comp_targetILNS1_3genE4ELNS1_11target_archE910ELNS1_3gpuE8ELNS1_3repE0EEENS1_36merge_oddeven_config_static_selectorELNS0_4arch9wavefront6targetE0EEEvSO_.uses_flat_scratch, 0
	.set _ZN7rocprim17ROCPRIM_400000_NS6detail17trampoline_kernelINS0_14default_configENS1_38merge_sort_block_merge_config_selectorIjN6thrust23THRUST_200600_302600_NS5tupleIffNS6_9null_typeES8_S8_S8_S8_S8_S8_S8_EEEEZZNS1_27merge_sort_block_merge_implIS3_NS6_6detail15normal_iteratorINS6_10device_ptrIjEEEENSD_INSE_IS9_EEEEjNS1_19radix_merge_compareILb0ELb0EjNS0_19identity_decomposerEEEEE10hipError_tT0_T1_T2_jT3_P12ihipStream_tbPNSt15iterator_traitsISN_E10value_typeEPNST_ISO_E10value_typeEPSP_NS1_7vsmem_tEENKUlT_SN_SO_SP_E_clIPjSG_PS9_SI_EESM_S12_SN_SO_SP_EUlS12_E1_NS1_11comp_targetILNS1_3genE4ELNS1_11target_archE910ELNS1_3gpuE8ELNS1_3repE0EEENS1_36merge_oddeven_config_static_selectorELNS0_4arch9wavefront6targetE0EEEvSO_.has_dyn_sized_stack, 0
	.set _ZN7rocprim17ROCPRIM_400000_NS6detail17trampoline_kernelINS0_14default_configENS1_38merge_sort_block_merge_config_selectorIjN6thrust23THRUST_200600_302600_NS5tupleIffNS6_9null_typeES8_S8_S8_S8_S8_S8_S8_EEEEZZNS1_27merge_sort_block_merge_implIS3_NS6_6detail15normal_iteratorINS6_10device_ptrIjEEEENSD_INSE_IS9_EEEEjNS1_19radix_merge_compareILb0ELb0EjNS0_19identity_decomposerEEEEE10hipError_tT0_T1_T2_jT3_P12ihipStream_tbPNSt15iterator_traitsISN_E10value_typeEPNST_ISO_E10value_typeEPSP_NS1_7vsmem_tEENKUlT_SN_SO_SP_E_clIPjSG_PS9_SI_EESM_S12_SN_SO_SP_EUlS12_E1_NS1_11comp_targetILNS1_3genE4ELNS1_11target_archE910ELNS1_3gpuE8ELNS1_3repE0EEENS1_36merge_oddeven_config_static_selectorELNS0_4arch9wavefront6targetE0EEEvSO_.has_recursion, 0
	.set _ZN7rocprim17ROCPRIM_400000_NS6detail17trampoline_kernelINS0_14default_configENS1_38merge_sort_block_merge_config_selectorIjN6thrust23THRUST_200600_302600_NS5tupleIffNS6_9null_typeES8_S8_S8_S8_S8_S8_S8_EEEEZZNS1_27merge_sort_block_merge_implIS3_NS6_6detail15normal_iteratorINS6_10device_ptrIjEEEENSD_INSE_IS9_EEEEjNS1_19radix_merge_compareILb0ELb0EjNS0_19identity_decomposerEEEEE10hipError_tT0_T1_T2_jT3_P12ihipStream_tbPNSt15iterator_traitsISN_E10value_typeEPNST_ISO_E10value_typeEPSP_NS1_7vsmem_tEENKUlT_SN_SO_SP_E_clIPjSG_PS9_SI_EESM_S12_SN_SO_SP_EUlS12_E1_NS1_11comp_targetILNS1_3genE4ELNS1_11target_archE910ELNS1_3gpuE8ELNS1_3repE0EEENS1_36merge_oddeven_config_static_selectorELNS0_4arch9wavefront6targetE0EEEvSO_.has_indirect_call, 0
	.section	.AMDGPU.csdata,"",@progbits
; Kernel info:
; codeLenInByte = 0
; TotalNumSgprs: 0
; NumVgprs: 0
; ScratchSize: 0
; MemoryBound: 0
; FloatMode: 240
; IeeeMode: 1
; LDSByteSize: 0 bytes/workgroup (compile time only)
; SGPRBlocks: 0
; VGPRBlocks: 0
; NumSGPRsForWavesPerEU: 1
; NumVGPRsForWavesPerEU: 1
; Occupancy: 16
; WaveLimiterHint : 0
; COMPUTE_PGM_RSRC2:SCRATCH_EN: 0
; COMPUTE_PGM_RSRC2:USER_SGPR: 6
; COMPUTE_PGM_RSRC2:TRAP_HANDLER: 0
; COMPUTE_PGM_RSRC2:TGID_X_EN: 1
; COMPUTE_PGM_RSRC2:TGID_Y_EN: 0
; COMPUTE_PGM_RSRC2:TGID_Z_EN: 0
; COMPUTE_PGM_RSRC2:TIDIG_COMP_CNT: 0
	.section	.text._ZN7rocprim17ROCPRIM_400000_NS6detail17trampoline_kernelINS0_14default_configENS1_38merge_sort_block_merge_config_selectorIjN6thrust23THRUST_200600_302600_NS5tupleIffNS6_9null_typeES8_S8_S8_S8_S8_S8_S8_EEEEZZNS1_27merge_sort_block_merge_implIS3_NS6_6detail15normal_iteratorINS6_10device_ptrIjEEEENSD_INSE_IS9_EEEEjNS1_19radix_merge_compareILb0ELb0EjNS0_19identity_decomposerEEEEE10hipError_tT0_T1_T2_jT3_P12ihipStream_tbPNSt15iterator_traitsISN_E10value_typeEPNST_ISO_E10value_typeEPSP_NS1_7vsmem_tEENKUlT_SN_SO_SP_E_clIPjSG_PS9_SI_EESM_S12_SN_SO_SP_EUlS12_E1_NS1_11comp_targetILNS1_3genE3ELNS1_11target_archE908ELNS1_3gpuE7ELNS1_3repE0EEENS1_36merge_oddeven_config_static_selectorELNS0_4arch9wavefront6targetE0EEEvSO_,"axG",@progbits,_ZN7rocprim17ROCPRIM_400000_NS6detail17trampoline_kernelINS0_14default_configENS1_38merge_sort_block_merge_config_selectorIjN6thrust23THRUST_200600_302600_NS5tupleIffNS6_9null_typeES8_S8_S8_S8_S8_S8_S8_EEEEZZNS1_27merge_sort_block_merge_implIS3_NS6_6detail15normal_iteratorINS6_10device_ptrIjEEEENSD_INSE_IS9_EEEEjNS1_19radix_merge_compareILb0ELb0EjNS0_19identity_decomposerEEEEE10hipError_tT0_T1_T2_jT3_P12ihipStream_tbPNSt15iterator_traitsISN_E10value_typeEPNST_ISO_E10value_typeEPSP_NS1_7vsmem_tEENKUlT_SN_SO_SP_E_clIPjSG_PS9_SI_EESM_S12_SN_SO_SP_EUlS12_E1_NS1_11comp_targetILNS1_3genE3ELNS1_11target_archE908ELNS1_3gpuE7ELNS1_3repE0EEENS1_36merge_oddeven_config_static_selectorELNS0_4arch9wavefront6targetE0EEEvSO_,comdat
	.protected	_ZN7rocprim17ROCPRIM_400000_NS6detail17trampoline_kernelINS0_14default_configENS1_38merge_sort_block_merge_config_selectorIjN6thrust23THRUST_200600_302600_NS5tupleIffNS6_9null_typeES8_S8_S8_S8_S8_S8_S8_EEEEZZNS1_27merge_sort_block_merge_implIS3_NS6_6detail15normal_iteratorINS6_10device_ptrIjEEEENSD_INSE_IS9_EEEEjNS1_19radix_merge_compareILb0ELb0EjNS0_19identity_decomposerEEEEE10hipError_tT0_T1_T2_jT3_P12ihipStream_tbPNSt15iterator_traitsISN_E10value_typeEPNST_ISO_E10value_typeEPSP_NS1_7vsmem_tEENKUlT_SN_SO_SP_E_clIPjSG_PS9_SI_EESM_S12_SN_SO_SP_EUlS12_E1_NS1_11comp_targetILNS1_3genE3ELNS1_11target_archE908ELNS1_3gpuE7ELNS1_3repE0EEENS1_36merge_oddeven_config_static_selectorELNS0_4arch9wavefront6targetE0EEEvSO_ ; -- Begin function _ZN7rocprim17ROCPRIM_400000_NS6detail17trampoline_kernelINS0_14default_configENS1_38merge_sort_block_merge_config_selectorIjN6thrust23THRUST_200600_302600_NS5tupleIffNS6_9null_typeES8_S8_S8_S8_S8_S8_S8_EEEEZZNS1_27merge_sort_block_merge_implIS3_NS6_6detail15normal_iteratorINS6_10device_ptrIjEEEENSD_INSE_IS9_EEEEjNS1_19radix_merge_compareILb0ELb0EjNS0_19identity_decomposerEEEEE10hipError_tT0_T1_T2_jT3_P12ihipStream_tbPNSt15iterator_traitsISN_E10value_typeEPNST_ISO_E10value_typeEPSP_NS1_7vsmem_tEENKUlT_SN_SO_SP_E_clIPjSG_PS9_SI_EESM_S12_SN_SO_SP_EUlS12_E1_NS1_11comp_targetILNS1_3genE3ELNS1_11target_archE908ELNS1_3gpuE7ELNS1_3repE0EEENS1_36merge_oddeven_config_static_selectorELNS0_4arch9wavefront6targetE0EEEvSO_
	.globl	_ZN7rocprim17ROCPRIM_400000_NS6detail17trampoline_kernelINS0_14default_configENS1_38merge_sort_block_merge_config_selectorIjN6thrust23THRUST_200600_302600_NS5tupleIffNS6_9null_typeES8_S8_S8_S8_S8_S8_S8_EEEEZZNS1_27merge_sort_block_merge_implIS3_NS6_6detail15normal_iteratorINS6_10device_ptrIjEEEENSD_INSE_IS9_EEEEjNS1_19radix_merge_compareILb0ELb0EjNS0_19identity_decomposerEEEEE10hipError_tT0_T1_T2_jT3_P12ihipStream_tbPNSt15iterator_traitsISN_E10value_typeEPNST_ISO_E10value_typeEPSP_NS1_7vsmem_tEENKUlT_SN_SO_SP_E_clIPjSG_PS9_SI_EESM_S12_SN_SO_SP_EUlS12_E1_NS1_11comp_targetILNS1_3genE3ELNS1_11target_archE908ELNS1_3gpuE7ELNS1_3repE0EEENS1_36merge_oddeven_config_static_selectorELNS0_4arch9wavefront6targetE0EEEvSO_
	.p2align	8
	.type	_ZN7rocprim17ROCPRIM_400000_NS6detail17trampoline_kernelINS0_14default_configENS1_38merge_sort_block_merge_config_selectorIjN6thrust23THRUST_200600_302600_NS5tupleIffNS6_9null_typeES8_S8_S8_S8_S8_S8_S8_EEEEZZNS1_27merge_sort_block_merge_implIS3_NS6_6detail15normal_iteratorINS6_10device_ptrIjEEEENSD_INSE_IS9_EEEEjNS1_19radix_merge_compareILb0ELb0EjNS0_19identity_decomposerEEEEE10hipError_tT0_T1_T2_jT3_P12ihipStream_tbPNSt15iterator_traitsISN_E10value_typeEPNST_ISO_E10value_typeEPSP_NS1_7vsmem_tEENKUlT_SN_SO_SP_E_clIPjSG_PS9_SI_EESM_S12_SN_SO_SP_EUlS12_E1_NS1_11comp_targetILNS1_3genE3ELNS1_11target_archE908ELNS1_3gpuE7ELNS1_3repE0EEENS1_36merge_oddeven_config_static_selectorELNS0_4arch9wavefront6targetE0EEEvSO_,@function
_ZN7rocprim17ROCPRIM_400000_NS6detail17trampoline_kernelINS0_14default_configENS1_38merge_sort_block_merge_config_selectorIjN6thrust23THRUST_200600_302600_NS5tupleIffNS6_9null_typeES8_S8_S8_S8_S8_S8_S8_EEEEZZNS1_27merge_sort_block_merge_implIS3_NS6_6detail15normal_iteratorINS6_10device_ptrIjEEEENSD_INSE_IS9_EEEEjNS1_19radix_merge_compareILb0ELb0EjNS0_19identity_decomposerEEEEE10hipError_tT0_T1_T2_jT3_P12ihipStream_tbPNSt15iterator_traitsISN_E10value_typeEPNST_ISO_E10value_typeEPSP_NS1_7vsmem_tEENKUlT_SN_SO_SP_E_clIPjSG_PS9_SI_EESM_S12_SN_SO_SP_EUlS12_E1_NS1_11comp_targetILNS1_3genE3ELNS1_11target_archE908ELNS1_3gpuE7ELNS1_3repE0EEENS1_36merge_oddeven_config_static_selectorELNS0_4arch9wavefront6targetE0EEEvSO_: ; @_ZN7rocprim17ROCPRIM_400000_NS6detail17trampoline_kernelINS0_14default_configENS1_38merge_sort_block_merge_config_selectorIjN6thrust23THRUST_200600_302600_NS5tupleIffNS6_9null_typeES8_S8_S8_S8_S8_S8_S8_EEEEZZNS1_27merge_sort_block_merge_implIS3_NS6_6detail15normal_iteratorINS6_10device_ptrIjEEEENSD_INSE_IS9_EEEEjNS1_19radix_merge_compareILb0ELb0EjNS0_19identity_decomposerEEEEE10hipError_tT0_T1_T2_jT3_P12ihipStream_tbPNSt15iterator_traitsISN_E10value_typeEPNST_ISO_E10value_typeEPSP_NS1_7vsmem_tEENKUlT_SN_SO_SP_E_clIPjSG_PS9_SI_EESM_S12_SN_SO_SP_EUlS12_E1_NS1_11comp_targetILNS1_3genE3ELNS1_11target_archE908ELNS1_3gpuE7ELNS1_3repE0EEENS1_36merge_oddeven_config_static_selectorELNS0_4arch9wavefront6targetE0EEEvSO_
; %bb.0:
	.section	.rodata,"a",@progbits
	.p2align	6, 0x0
	.amdhsa_kernel _ZN7rocprim17ROCPRIM_400000_NS6detail17trampoline_kernelINS0_14default_configENS1_38merge_sort_block_merge_config_selectorIjN6thrust23THRUST_200600_302600_NS5tupleIffNS6_9null_typeES8_S8_S8_S8_S8_S8_S8_EEEEZZNS1_27merge_sort_block_merge_implIS3_NS6_6detail15normal_iteratorINS6_10device_ptrIjEEEENSD_INSE_IS9_EEEEjNS1_19radix_merge_compareILb0ELb0EjNS0_19identity_decomposerEEEEE10hipError_tT0_T1_T2_jT3_P12ihipStream_tbPNSt15iterator_traitsISN_E10value_typeEPNST_ISO_E10value_typeEPSP_NS1_7vsmem_tEENKUlT_SN_SO_SP_E_clIPjSG_PS9_SI_EESM_S12_SN_SO_SP_EUlS12_E1_NS1_11comp_targetILNS1_3genE3ELNS1_11target_archE908ELNS1_3gpuE7ELNS1_3repE0EEENS1_36merge_oddeven_config_static_selectorELNS0_4arch9wavefront6targetE0EEEvSO_
		.amdhsa_group_segment_fixed_size 0
		.amdhsa_private_segment_fixed_size 0
		.amdhsa_kernarg_size 48
		.amdhsa_user_sgpr_count 6
		.amdhsa_user_sgpr_private_segment_buffer 1
		.amdhsa_user_sgpr_dispatch_ptr 0
		.amdhsa_user_sgpr_queue_ptr 0
		.amdhsa_user_sgpr_kernarg_segment_ptr 1
		.amdhsa_user_sgpr_dispatch_id 0
		.amdhsa_user_sgpr_flat_scratch_init 0
		.amdhsa_user_sgpr_private_segment_size 0
		.amdhsa_wavefront_size32 1
		.amdhsa_uses_dynamic_stack 0
		.amdhsa_system_sgpr_private_segment_wavefront_offset 0
		.amdhsa_system_sgpr_workgroup_id_x 1
		.amdhsa_system_sgpr_workgroup_id_y 0
		.amdhsa_system_sgpr_workgroup_id_z 0
		.amdhsa_system_sgpr_workgroup_info 0
		.amdhsa_system_vgpr_workitem_id 0
		.amdhsa_next_free_vgpr 1
		.amdhsa_next_free_sgpr 1
		.amdhsa_reserve_vcc 0
		.amdhsa_reserve_flat_scratch 0
		.amdhsa_float_round_mode_32 0
		.amdhsa_float_round_mode_16_64 0
		.amdhsa_float_denorm_mode_32 3
		.amdhsa_float_denorm_mode_16_64 3
		.amdhsa_dx10_clamp 1
		.amdhsa_ieee_mode 1
		.amdhsa_fp16_overflow 0
		.amdhsa_workgroup_processor_mode 1
		.amdhsa_memory_ordered 1
		.amdhsa_forward_progress 1
		.amdhsa_shared_vgpr_count 0
		.amdhsa_exception_fp_ieee_invalid_op 0
		.amdhsa_exception_fp_denorm_src 0
		.amdhsa_exception_fp_ieee_div_zero 0
		.amdhsa_exception_fp_ieee_overflow 0
		.amdhsa_exception_fp_ieee_underflow 0
		.amdhsa_exception_fp_ieee_inexact 0
		.amdhsa_exception_int_div_zero 0
	.end_amdhsa_kernel
	.section	.text._ZN7rocprim17ROCPRIM_400000_NS6detail17trampoline_kernelINS0_14default_configENS1_38merge_sort_block_merge_config_selectorIjN6thrust23THRUST_200600_302600_NS5tupleIffNS6_9null_typeES8_S8_S8_S8_S8_S8_S8_EEEEZZNS1_27merge_sort_block_merge_implIS3_NS6_6detail15normal_iteratorINS6_10device_ptrIjEEEENSD_INSE_IS9_EEEEjNS1_19radix_merge_compareILb0ELb0EjNS0_19identity_decomposerEEEEE10hipError_tT0_T1_T2_jT3_P12ihipStream_tbPNSt15iterator_traitsISN_E10value_typeEPNST_ISO_E10value_typeEPSP_NS1_7vsmem_tEENKUlT_SN_SO_SP_E_clIPjSG_PS9_SI_EESM_S12_SN_SO_SP_EUlS12_E1_NS1_11comp_targetILNS1_3genE3ELNS1_11target_archE908ELNS1_3gpuE7ELNS1_3repE0EEENS1_36merge_oddeven_config_static_selectorELNS0_4arch9wavefront6targetE0EEEvSO_,"axG",@progbits,_ZN7rocprim17ROCPRIM_400000_NS6detail17trampoline_kernelINS0_14default_configENS1_38merge_sort_block_merge_config_selectorIjN6thrust23THRUST_200600_302600_NS5tupleIffNS6_9null_typeES8_S8_S8_S8_S8_S8_S8_EEEEZZNS1_27merge_sort_block_merge_implIS3_NS6_6detail15normal_iteratorINS6_10device_ptrIjEEEENSD_INSE_IS9_EEEEjNS1_19radix_merge_compareILb0ELb0EjNS0_19identity_decomposerEEEEE10hipError_tT0_T1_T2_jT3_P12ihipStream_tbPNSt15iterator_traitsISN_E10value_typeEPNST_ISO_E10value_typeEPSP_NS1_7vsmem_tEENKUlT_SN_SO_SP_E_clIPjSG_PS9_SI_EESM_S12_SN_SO_SP_EUlS12_E1_NS1_11comp_targetILNS1_3genE3ELNS1_11target_archE908ELNS1_3gpuE7ELNS1_3repE0EEENS1_36merge_oddeven_config_static_selectorELNS0_4arch9wavefront6targetE0EEEvSO_,comdat
.Lfunc_end45:
	.size	_ZN7rocprim17ROCPRIM_400000_NS6detail17trampoline_kernelINS0_14default_configENS1_38merge_sort_block_merge_config_selectorIjN6thrust23THRUST_200600_302600_NS5tupleIffNS6_9null_typeES8_S8_S8_S8_S8_S8_S8_EEEEZZNS1_27merge_sort_block_merge_implIS3_NS6_6detail15normal_iteratorINS6_10device_ptrIjEEEENSD_INSE_IS9_EEEEjNS1_19radix_merge_compareILb0ELb0EjNS0_19identity_decomposerEEEEE10hipError_tT0_T1_T2_jT3_P12ihipStream_tbPNSt15iterator_traitsISN_E10value_typeEPNST_ISO_E10value_typeEPSP_NS1_7vsmem_tEENKUlT_SN_SO_SP_E_clIPjSG_PS9_SI_EESM_S12_SN_SO_SP_EUlS12_E1_NS1_11comp_targetILNS1_3genE3ELNS1_11target_archE908ELNS1_3gpuE7ELNS1_3repE0EEENS1_36merge_oddeven_config_static_selectorELNS0_4arch9wavefront6targetE0EEEvSO_, .Lfunc_end45-_ZN7rocprim17ROCPRIM_400000_NS6detail17trampoline_kernelINS0_14default_configENS1_38merge_sort_block_merge_config_selectorIjN6thrust23THRUST_200600_302600_NS5tupleIffNS6_9null_typeES8_S8_S8_S8_S8_S8_S8_EEEEZZNS1_27merge_sort_block_merge_implIS3_NS6_6detail15normal_iteratorINS6_10device_ptrIjEEEENSD_INSE_IS9_EEEEjNS1_19radix_merge_compareILb0ELb0EjNS0_19identity_decomposerEEEEE10hipError_tT0_T1_T2_jT3_P12ihipStream_tbPNSt15iterator_traitsISN_E10value_typeEPNST_ISO_E10value_typeEPSP_NS1_7vsmem_tEENKUlT_SN_SO_SP_E_clIPjSG_PS9_SI_EESM_S12_SN_SO_SP_EUlS12_E1_NS1_11comp_targetILNS1_3genE3ELNS1_11target_archE908ELNS1_3gpuE7ELNS1_3repE0EEENS1_36merge_oddeven_config_static_selectorELNS0_4arch9wavefront6targetE0EEEvSO_
                                        ; -- End function
	.set _ZN7rocprim17ROCPRIM_400000_NS6detail17trampoline_kernelINS0_14default_configENS1_38merge_sort_block_merge_config_selectorIjN6thrust23THRUST_200600_302600_NS5tupleIffNS6_9null_typeES8_S8_S8_S8_S8_S8_S8_EEEEZZNS1_27merge_sort_block_merge_implIS3_NS6_6detail15normal_iteratorINS6_10device_ptrIjEEEENSD_INSE_IS9_EEEEjNS1_19radix_merge_compareILb0ELb0EjNS0_19identity_decomposerEEEEE10hipError_tT0_T1_T2_jT3_P12ihipStream_tbPNSt15iterator_traitsISN_E10value_typeEPNST_ISO_E10value_typeEPSP_NS1_7vsmem_tEENKUlT_SN_SO_SP_E_clIPjSG_PS9_SI_EESM_S12_SN_SO_SP_EUlS12_E1_NS1_11comp_targetILNS1_3genE3ELNS1_11target_archE908ELNS1_3gpuE7ELNS1_3repE0EEENS1_36merge_oddeven_config_static_selectorELNS0_4arch9wavefront6targetE0EEEvSO_.num_vgpr, 0
	.set _ZN7rocprim17ROCPRIM_400000_NS6detail17trampoline_kernelINS0_14default_configENS1_38merge_sort_block_merge_config_selectorIjN6thrust23THRUST_200600_302600_NS5tupleIffNS6_9null_typeES8_S8_S8_S8_S8_S8_S8_EEEEZZNS1_27merge_sort_block_merge_implIS3_NS6_6detail15normal_iteratorINS6_10device_ptrIjEEEENSD_INSE_IS9_EEEEjNS1_19radix_merge_compareILb0ELb0EjNS0_19identity_decomposerEEEEE10hipError_tT0_T1_T2_jT3_P12ihipStream_tbPNSt15iterator_traitsISN_E10value_typeEPNST_ISO_E10value_typeEPSP_NS1_7vsmem_tEENKUlT_SN_SO_SP_E_clIPjSG_PS9_SI_EESM_S12_SN_SO_SP_EUlS12_E1_NS1_11comp_targetILNS1_3genE3ELNS1_11target_archE908ELNS1_3gpuE7ELNS1_3repE0EEENS1_36merge_oddeven_config_static_selectorELNS0_4arch9wavefront6targetE0EEEvSO_.num_agpr, 0
	.set _ZN7rocprim17ROCPRIM_400000_NS6detail17trampoline_kernelINS0_14default_configENS1_38merge_sort_block_merge_config_selectorIjN6thrust23THRUST_200600_302600_NS5tupleIffNS6_9null_typeES8_S8_S8_S8_S8_S8_S8_EEEEZZNS1_27merge_sort_block_merge_implIS3_NS6_6detail15normal_iteratorINS6_10device_ptrIjEEEENSD_INSE_IS9_EEEEjNS1_19radix_merge_compareILb0ELb0EjNS0_19identity_decomposerEEEEE10hipError_tT0_T1_T2_jT3_P12ihipStream_tbPNSt15iterator_traitsISN_E10value_typeEPNST_ISO_E10value_typeEPSP_NS1_7vsmem_tEENKUlT_SN_SO_SP_E_clIPjSG_PS9_SI_EESM_S12_SN_SO_SP_EUlS12_E1_NS1_11comp_targetILNS1_3genE3ELNS1_11target_archE908ELNS1_3gpuE7ELNS1_3repE0EEENS1_36merge_oddeven_config_static_selectorELNS0_4arch9wavefront6targetE0EEEvSO_.numbered_sgpr, 0
	.set _ZN7rocprim17ROCPRIM_400000_NS6detail17trampoline_kernelINS0_14default_configENS1_38merge_sort_block_merge_config_selectorIjN6thrust23THRUST_200600_302600_NS5tupleIffNS6_9null_typeES8_S8_S8_S8_S8_S8_S8_EEEEZZNS1_27merge_sort_block_merge_implIS3_NS6_6detail15normal_iteratorINS6_10device_ptrIjEEEENSD_INSE_IS9_EEEEjNS1_19radix_merge_compareILb0ELb0EjNS0_19identity_decomposerEEEEE10hipError_tT0_T1_T2_jT3_P12ihipStream_tbPNSt15iterator_traitsISN_E10value_typeEPNST_ISO_E10value_typeEPSP_NS1_7vsmem_tEENKUlT_SN_SO_SP_E_clIPjSG_PS9_SI_EESM_S12_SN_SO_SP_EUlS12_E1_NS1_11comp_targetILNS1_3genE3ELNS1_11target_archE908ELNS1_3gpuE7ELNS1_3repE0EEENS1_36merge_oddeven_config_static_selectorELNS0_4arch9wavefront6targetE0EEEvSO_.num_named_barrier, 0
	.set _ZN7rocprim17ROCPRIM_400000_NS6detail17trampoline_kernelINS0_14default_configENS1_38merge_sort_block_merge_config_selectorIjN6thrust23THRUST_200600_302600_NS5tupleIffNS6_9null_typeES8_S8_S8_S8_S8_S8_S8_EEEEZZNS1_27merge_sort_block_merge_implIS3_NS6_6detail15normal_iteratorINS6_10device_ptrIjEEEENSD_INSE_IS9_EEEEjNS1_19radix_merge_compareILb0ELb0EjNS0_19identity_decomposerEEEEE10hipError_tT0_T1_T2_jT3_P12ihipStream_tbPNSt15iterator_traitsISN_E10value_typeEPNST_ISO_E10value_typeEPSP_NS1_7vsmem_tEENKUlT_SN_SO_SP_E_clIPjSG_PS9_SI_EESM_S12_SN_SO_SP_EUlS12_E1_NS1_11comp_targetILNS1_3genE3ELNS1_11target_archE908ELNS1_3gpuE7ELNS1_3repE0EEENS1_36merge_oddeven_config_static_selectorELNS0_4arch9wavefront6targetE0EEEvSO_.private_seg_size, 0
	.set _ZN7rocprim17ROCPRIM_400000_NS6detail17trampoline_kernelINS0_14default_configENS1_38merge_sort_block_merge_config_selectorIjN6thrust23THRUST_200600_302600_NS5tupleIffNS6_9null_typeES8_S8_S8_S8_S8_S8_S8_EEEEZZNS1_27merge_sort_block_merge_implIS3_NS6_6detail15normal_iteratorINS6_10device_ptrIjEEEENSD_INSE_IS9_EEEEjNS1_19radix_merge_compareILb0ELb0EjNS0_19identity_decomposerEEEEE10hipError_tT0_T1_T2_jT3_P12ihipStream_tbPNSt15iterator_traitsISN_E10value_typeEPNST_ISO_E10value_typeEPSP_NS1_7vsmem_tEENKUlT_SN_SO_SP_E_clIPjSG_PS9_SI_EESM_S12_SN_SO_SP_EUlS12_E1_NS1_11comp_targetILNS1_3genE3ELNS1_11target_archE908ELNS1_3gpuE7ELNS1_3repE0EEENS1_36merge_oddeven_config_static_selectorELNS0_4arch9wavefront6targetE0EEEvSO_.uses_vcc, 0
	.set _ZN7rocprim17ROCPRIM_400000_NS6detail17trampoline_kernelINS0_14default_configENS1_38merge_sort_block_merge_config_selectorIjN6thrust23THRUST_200600_302600_NS5tupleIffNS6_9null_typeES8_S8_S8_S8_S8_S8_S8_EEEEZZNS1_27merge_sort_block_merge_implIS3_NS6_6detail15normal_iteratorINS6_10device_ptrIjEEEENSD_INSE_IS9_EEEEjNS1_19radix_merge_compareILb0ELb0EjNS0_19identity_decomposerEEEEE10hipError_tT0_T1_T2_jT3_P12ihipStream_tbPNSt15iterator_traitsISN_E10value_typeEPNST_ISO_E10value_typeEPSP_NS1_7vsmem_tEENKUlT_SN_SO_SP_E_clIPjSG_PS9_SI_EESM_S12_SN_SO_SP_EUlS12_E1_NS1_11comp_targetILNS1_3genE3ELNS1_11target_archE908ELNS1_3gpuE7ELNS1_3repE0EEENS1_36merge_oddeven_config_static_selectorELNS0_4arch9wavefront6targetE0EEEvSO_.uses_flat_scratch, 0
	.set _ZN7rocprim17ROCPRIM_400000_NS6detail17trampoline_kernelINS0_14default_configENS1_38merge_sort_block_merge_config_selectorIjN6thrust23THRUST_200600_302600_NS5tupleIffNS6_9null_typeES8_S8_S8_S8_S8_S8_S8_EEEEZZNS1_27merge_sort_block_merge_implIS3_NS6_6detail15normal_iteratorINS6_10device_ptrIjEEEENSD_INSE_IS9_EEEEjNS1_19radix_merge_compareILb0ELb0EjNS0_19identity_decomposerEEEEE10hipError_tT0_T1_T2_jT3_P12ihipStream_tbPNSt15iterator_traitsISN_E10value_typeEPNST_ISO_E10value_typeEPSP_NS1_7vsmem_tEENKUlT_SN_SO_SP_E_clIPjSG_PS9_SI_EESM_S12_SN_SO_SP_EUlS12_E1_NS1_11comp_targetILNS1_3genE3ELNS1_11target_archE908ELNS1_3gpuE7ELNS1_3repE0EEENS1_36merge_oddeven_config_static_selectorELNS0_4arch9wavefront6targetE0EEEvSO_.has_dyn_sized_stack, 0
	.set _ZN7rocprim17ROCPRIM_400000_NS6detail17trampoline_kernelINS0_14default_configENS1_38merge_sort_block_merge_config_selectorIjN6thrust23THRUST_200600_302600_NS5tupleIffNS6_9null_typeES8_S8_S8_S8_S8_S8_S8_EEEEZZNS1_27merge_sort_block_merge_implIS3_NS6_6detail15normal_iteratorINS6_10device_ptrIjEEEENSD_INSE_IS9_EEEEjNS1_19radix_merge_compareILb0ELb0EjNS0_19identity_decomposerEEEEE10hipError_tT0_T1_T2_jT3_P12ihipStream_tbPNSt15iterator_traitsISN_E10value_typeEPNST_ISO_E10value_typeEPSP_NS1_7vsmem_tEENKUlT_SN_SO_SP_E_clIPjSG_PS9_SI_EESM_S12_SN_SO_SP_EUlS12_E1_NS1_11comp_targetILNS1_3genE3ELNS1_11target_archE908ELNS1_3gpuE7ELNS1_3repE0EEENS1_36merge_oddeven_config_static_selectorELNS0_4arch9wavefront6targetE0EEEvSO_.has_recursion, 0
	.set _ZN7rocprim17ROCPRIM_400000_NS6detail17trampoline_kernelINS0_14default_configENS1_38merge_sort_block_merge_config_selectorIjN6thrust23THRUST_200600_302600_NS5tupleIffNS6_9null_typeES8_S8_S8_S8_S8_S8_S8_EEEEZZNS1_27merge_sort_block_merge_implIS3_NS6_6detail15normal_iteratorINS6_10device_ptrIjEEEENSD_INSE_IS9_EEEEjNS1_19radix_merge_compareILb0ELb0EjNS0_19identity_decomposerEEEEE10hipError_tT0_T1_T2_jT3_P12ihipStream_tbPNSt15iterator_traitsISN_E10value_typeEPNST_ISO_E10value_typeEPSP_NS1_7vsmem_tEENKUlT_SN_SO_SP_E_clIPjSG_PS9_SI_EESM_S12_SN_SO_SP_EUlS12_E1_NS1_11comp_targetILNS1_3genE3ELNS1_11target_archE908ELNS1_3gpuE7ELNS1_3repE0EEENS1_36merge_oddeven_config_static_selectorELNS0_4arch9wavefront6targetE0EEEvSO_.has_indirect_call, 0
	.section	.AMDGPU.csdata,"",@progbits
; Kernel info:
; codeLenInByte = 0
; TotalNumSgprs: 0
; NumVgprs: 0
; ScratchSize: 0
; MemoryBound: 0
; FloatMode: 240
; IeeeMode: 1
; LDSByteSize: 0 bytes/workgroup (compile time only)
; SGPRBlocks: 0
; VGPRBlocks: 0
; NumSGPRsForWavesPerEU: 1
; NumVGPRsForWavesPerEU: 1
; Occupancy: 16
; WaveLimiterHint : 0
; COMPUTE_PGM_RSRC2:SCRATCH_EN: 0
; COMPUTE_PGM_RSRC2:USER_SGPR: 6
; COMPUTE_PGM_RSRC2:TRAP_HANDLER: 0
; COMPUTE_PGM_RSRC2:TGID_X_EN: 1
; COMPUTE_PGM_RSRC2:TGID_Y_EN: 0
; COMPUTE_PGM_RSRC2:TGID_Z_EN: 0
; COMPUTE_PGM_RSRC2:TIDIG_COMP_CNT: 0
	.section	.text._ZN7rocprim17ROCPRIM_400000_NS6detail17trampoline_kernelINS0_14default_configENS1_38merge_sort_block_merge_config_selectorIjN6thrust23THRUST_200600_302600_NS5tupleIffNS6_9null_typeES8_S8_S8_S8_S8_S8_S8_EEEEZZNS1_27merge_sort_block_merge_implIS3_NS6_6detail15normal_iteratorINS6_10device_ptrIjEEEENSD_INSE_IS9_EEEEjNS1_19radix_merge_compareILb0ELb0EjNS0_19identity_decomposerEEEEE10hipError_tT0_T1_T2_jT3_P12ihipStream_tbPNSt15iterator_traitsISN_E10value_typeEPNST_ISO_E10value_typeEPSP_NS1_7vsmem_tEENKUlT_SN_SO_SP_E_clIPjSG_PS9_SI_EESM_S12_SN_SO_SP_EUlS12_E1_NS1_11comp_targetILNS1_3genE2ELNS1_11target_archE906ELNS1_3gpuE6ELNS1_3repE0EEENS1_36merge_oddeven_config_static_selectorELNS0_4arch9wavefront6targetE0EEEvSO_,"axG",@progbits,_ZN7rocprim17ROCPRIM_400000_NS6detail17trampoline_kernelINS0_14default_configENS1_38merge_sort_block_merge_config_selectorIjN6thrust23THRUST_200600_302600_NS5tupleIffNS6_9null_typeES8_S8_S8_S8_S8_S8_S8_EEEEZZNS1_27merge_sort_block_merge_implIS3_NS6_6detail15normal_iteratorINS6_10device_ptrIjEEEENSD_INSE_IS9_EEEEjNS1_19radix_merge_compareILb0ELb0EjNS0_19identity_decomposerEEEEE10hipError_tT0_T1_T2_jT3_P12ihipStream_tbPNSt15iterator_traitsISN_E10value_typeEPNST_ISO_E10value_typeEPSP_NS1_7vsmem_tEENKUlT_SN_SO_SP_E_clIPjSG_PS9_SI_EESM_S12_SN_SO_SP_EUlS12_E1_NS1_11comp_targetILNS1_3genE2ELNS1_11target_archE906ELNS1_3gpuE6ELNS1_3repE0EEENS1_36merge_oddeven_config_static_selectorELNS0_4arch9wavefront6targetE0EEEvSO_,comdat
	.protected	_ZN7rocprim17ROCPRIM_400000_NS6detail17trampoline_kernelINS0_14default_configENS1_38merge_sort_block_merge_config_selectorIjN6thrust23THRUST_200600_302600_NS5tupleIffNS6_9null_typeES8_S8_S8_S8_S8_S8_S8_EEEEZZNS1_27merge_sort_block_merge_implIS3_NS6_6detail15normal_iteratorINS6_10device_ptrIjEEEENSD_INSE_IS9_EEEEjNS1_19radix_merge_compareILb0ELb0EjNS0_19identity_decomposerEEEEE10hipError_tT0_T1_T2_jT3_P12ihipStream_tbPNSt15iterator_traitsISN_E10value_typeEPNST_ISO_E10value_typeEPSP_NS1_7vsmem_tEENKUlT_SN_SO_SP_E_clIPjSG_PS9_SI_EESM_S12_SN_SO_SP_EUlS12_E1_NS1_11comp_targetILNS1_3genE2ELNS1_11target_archE906ELNS1_3gpuE6ELNS1_3repE0EEENS1_36merge_oddeven_config_static_selectorELNS0_4arch9wavefront6targetE0EEEvSO_ ; -- Begin function _ZN7rocprim17ROCPRIM_400000_NS6detail17trampoline_kernelINS0_14default_configENS1_38merge_sort_block_merge_config_selectorIjN6thrust23THRUST_200600_302600_NS5tupleIffNS6_9null_typeES8_S8_S8_S8_S8_S8_S8_EEEEZZNS1_27merge_sort_block_merge_implIS3_NS6_6detail15normal_iteratorINS6_10device_ptrIjEEEENSD_INSE_IS9_EEEEjNS1_19radix_merge_compareILb0ELb0EjNS0_19identity_decomposerEEEEE10hipError_tT0_T1_T2_jT3_P12ihipStream_tbPNSt15iterator_traitsISN_E10value_typeEPNST_ISO_E10value_typeEPSP_NS1_7vsmem_tEENKUlT_SN_SO_SP_E_clIPjSG_PS9_SI_EESM_S12_SN_SO_SP_EUlS12_E1_NS1_11comp_targetILNS1_3genE2ELNS1_11target_archE906ELNS1_3gpuE6ELNS1_3repE0EEENS1_36merge_oddeven_config_static_selectorELNS0_4arch9wavefront6targetE0EEEvSO_
	.globl	_ZN7rocprim17ROCPRIM_400000_NS6detail17trampoline_kernelINS0_14default_configENS1_38merge_sort_block_merge_config_selectorIjN6thrust23THRUST_200600_302600_NS5tupleIffNS6_9null_typeES8_S8_S8_S8_S8_S8_S8_EEEEZZNS1_27merge_sort_block_merge_implIS3_NS6_6detail15normal_iteratorINS6_10device_ptrIjEEEENSD_INSE_IS9_EEEEjNS1_19radix_merge_compareILb0ELb0EjNS0_19identity_decomposerEEEEE10hipError_tT0_T1_T2_jT3_P12ihipStream_tbPNSt15iterator_traitsISN_E10value_typeEPNST_ISO_E10value_typeEPSP_NS1_7vsmem_tEENKUlT_SN_SO_SP_E_clIPjSG_PS9_SI_EESM_S12_SN_SO_SP_EUlS12_E1_NS1_11comp_targetILNS1_3genE2ELNS1_11target_archE906ELNS1_3gpuE6ELNS1_3repE0EEENS1_36merge_oddeven_config_static_selectorELNS0_4arch9wavefront6targetE0EEEvSO_
	.p2align	8
	.type	_ZN7rocprim17ROCPRIM_400000_NS6detail17trampoline_kernelINS0_14default_configENS1_38merge_sort_block_merge_config_selectorIjN6thrust23THRUST_200600_302600_NS5tupleIffNS6_9null_typeES8_S8_S8_S8_S8_S8_S8_EEEEZZNS1_27merge_sort_block_merge_implIS3_NS6_6detail15normal_iteratorINS6_10device_ptrIjEEEENSD_INSE_IS9_EEEEjNS1_19radix_merge_compareILb0ELb0EjNS0_19identity_decomposerEEEEE10hipError_tT0_T1_T2_jT3_P12ihipStream_tbPNSt15iterator_traitsISN_E10value_typeEPNST_ISO_E10value_typeEPSP_NS1_7vsmem_tEENKUlT_SN_SO_SP_E_clIPjSG_PS9_SI_EESM_S12_SN_SO_SP_EUlS12_E1_NS1_11comp_targetILNS1_3genE2ELNS1_11target_archE906ELNS1_3gpuE6ELNS1_3repE0EEENS1_36merge_oddeven_config_static_selectorELNS0_4arch9wavefront6targetE0EEEvSO_,@function
_ZN7rocprim17ROCPRIM_400000_NS6detail17trampoline_kernelINS0_14default_configENS1_38merge_sort_block_merge_config_selectorIjN6thrust23THRUST_200600_302600_NS5tupleIffNS6_9null_typeES8_S8_S8_S8_S8_S8_S8_EEEEZZNS1_27merge_sort_block_merge_implIS3_NS6_6detail15normal_iteratorINS6_10device_ptrIjEEEENSD_INSE_IS9_EEEEjNS1_19radix_merge_compareILb0ELb0EjNS0_19identity_decomposerEEEEE10hipError_tT0_T1_T2_jT3_P12ihipStream_tbPNSt15iterator_traitsISN_E10value_typeEPNST_ISO_E10value_typeEPSP_NS1_7vsmem_tEENKUlT_SN_SO_SP_E_clIPjSG_PS9_SI_EESM_S12_SN_SO_SP_EUlS12_E1_NS1_11comp_targetILNS1_3genE2ELNS1_11target_archE906ELNS1_3gpuE6ELNS1_3repE0EEENS1_36merge_oddeven_config_static_selectorELNS0_4arch9wavefront6targetE0EEEvSO_: ; @_ZN7rocprim17ROCPRIM_400000_NS6detail17trampoline_kernelINS0_14default_configENS1_38merge_sort_block_merge_config_selectorIjN6thrust23THRUST_200600_302600_NS5tupleIffNS6_9null_typeES8_S8_S8_S8_S8_S8_S8_EEEEZZNS1_27merge_sort_block_merge_implIS3_NS6_6detail15normal_iteratorINS6_10device_ptrIjEEEENSD_INSE_IS9_EEEEjNS1_19radix_merge_compareILb0ELb0EjNS0_19identity_decomposerEEEEE10hipError_tT0_T1_T2_jT3_P12ihipStream_tbPNSt15iterator_traitsISN_E10value_typeEPNST_ISO_E10value_typeEPSP_NS1_7vsmem_tEENKUlT_SN_SO_SP_E_clIPjSG_PS9_SI_EESM_S12_SN_SO_SP_EUlS12_E1_NS1_11comp_targetILNS1_3genE2ELNS1_11target_archE906ELNS1_3gpuE6ELNS1_3repE0EEENS1_36merge_oddeven_config_static_selectorELNS0_4arch9wavefront6targetE0EEEvSO_
; %bb.0:
	.section	.rodata,"a",@progbits
	.p2align	6, 0x0
	.amdhsa_kernel _ZN7rocprim17ROCPRIM_400000_NS6detail17trampoline_kernelINS0_14default_configENS1_38merge_sort_block_merge_config_selectorIjN6thrust23THRUST_200600_302600_NS5tupleIffNS6_9null_typeES8_S8_S8_S8_S8_S8_S8_EEEEZZNS1_27merge_sort_block_merge_implIS3_NS6_6detail15normal_iteratorINS6_10device_ptrIjEEEENSD_INSE_IS9_EEEEjNS1_19radix_merge_compareILb0ELb0EjNS0_19identity_decomposerEEEEE10hipError_tT0_T1_T2_jT3_P12ihipStream_tbPNSt15iterator_traitsISN_E10value_typeEPNST_ISO_E10value_typeEPSP_NS1_7vsmem_tEENKUlT_SN_SO_SP_E_clIPjSG_PS9_SI_EESM_S12_SN_SO_SP_EUlS12_E1_NS1_11comp_targetILNS1_3genE2ELNS1_11target_archE906ELNS1_3gpuE6ELNS1_3repE0EEENS1_36merge_oddeven_config_static_selectorELNS0_4arch9wavefront6targetE0EEEvSO_
		.amdhsa_group_segment_fixed_size 0
		.amdhsa_private_segment_fixed_size 0
		.amdhsa_kernarg_size 48
		.amdhsa_user_sgpr_count 6
		.amdhsa_user_sgpr_private_segment_buffer 1
		.amdhsa_user_sgpr_dispatch_ptr 0
		.amdhsa_user_sgpr_queue_ptr 0
		.amdhsa_user_sgpr_kernarg_segment_ptr 1
		.amdhsa_user_sgpr_dispatch_id 0
		.amdhsa_user_sgpr_flat_scratch_init 0
		.amdhsa_user_sgpr_private_segment_size 0
		.amdhsa_wavefront_size32 1
		.amdhsa_uses_dynamic_stack 0
		.amdhsa_system_sgpr_private_segment_wavefront_offset 0
		.amdhsa_system_sgpr_workgroup_id_x 1
		.amdhsa_system_sgpr_workgroup_id_y 0
		.amdhsa_system_sgpr_workgroup_id_z 0
		.amdhsa_system_sgpr_workgroup_info 0
		.amdhsa_system_vgpr_workitem_id 0
		.amdhsa_next_free_vgpr 1
		.amdhsa_next_free_sgpr 1
		.amdhsa_reserve_vcc 0
		.amdhsa_reserve_flat_scratch 0
		.amdhsa_float_round_mode_32 0
		.amdhsa_float_round_mode_16_64 0
		.amdhsa_float_denorm_mode_32 3
		.amdhsa_float_denorm_mode_16_64 3
		.amdhsa_dx10_clamp 1
		.amdhsa_ieee_mode 1
		.amdhsa_fp16_overflow 0
		.amdhsa_workgroup_processor_mode 1
		.amdhsa_memory_ordered 1
		.amdhsa_forward_progress 1
		.amdhsa_shared_vgpr_count 0
		.amdhsa_exception_fp_ieee_invalid_op 0
		.amdhsa_exception_fp_denorm_src 0
		.amdhsa_exception_fp_ieee_div_zero 0
		.amdhsa_exception_fp_ieee_overflow 0
		.amdhsa_exception_fp_ieee_underflow 0
		.amdhsa_exception_fp_ieee_inexact 0
		.amdhsa_exception_int_div_zero 0
	.end_amdhsa_kernel
	.section	.text._ZN7rocprim17ROCPRIM_400000_NS6detail17trampoline_kernelINS0_14default_configENS1_38merge_sort_block_merge_config_selectorIjN6thrust23THRUST_200600_302600_NS5tupleIffNS6_9null_typeES8_S8_S8_S8_S8_S8_S8_EEEEZZNS1_27merge_sort_block_merge_implIS3_NS6_6detail15normal_iteratorINS6_10device_ptrIjEEEENSD_INSE_IS9_EEEEjNS1_19radix_merge_compareILb0ELb0EjNS0_19identity_decomposerEEEEE10hipError_tT0_T1_T2_jT3_P12ihipStream_tbPNSt15iterator_traitsISN_E10value_typeEPNST_ISO_E10value_typeEPSP_NS1_7vsmem_tEENKUlT_SN_SO_SP_E_clIPjSG_PS9_SI_EESM_S12_SN_SO_SP_EUlS12_E1_NS1_11comp_targetILNS1_3genE2ELNS1_11target_archE906ELNS1_3gpuE6ELNS1_3repE0EEENS1_36merge_oddeven_config_static_selectorELNS0_4arch9wavefront6targetE0EEEvSO_,"axG",@progbits,_ZN7rocprim17ROCPRIM_400000_NS6detail17trampoline_kernelINS0_14default_configENS1_38merge_sort_block_merge_config_selectorIjN6thrust23THRUST_200600_302600_NS5tupleIffNS6_9null_typeES8_S8_S8_S8_S8_S8_S8_EEEEZZNS1_27merge_sort_block_merge_implIS3_NS6_6detail15normal_iteratorINS6_10device_ptrIjEEEENSD_INSE_IS9_EEEEjNS1_19radix_merge_compareILb0ELb0EjNS0_19identity_decomposerEEEEE10hipError_tT0_T1_T2_jT3_P12ihipStream_tbPNSt15iterator_traitsISN_E10value_typeEPNST_ISO_E10value_typeEPSP_NS1_7vsmem_tEENKUlT_SN_SO_SP_E_clIPjSG_PS9_SI_EESM_S12_SN_SO_SP_EUlS12_E1_NS1_11comp_targetILNS1_3genE2ELNS1_11target_archE906ELNS1_3gpuE6ELNS1_3repE0EEENS1_36merge_oddeven_config_static_selectorELNS0_4arch9wavefront6targetE0EEEvSO_,comdat
.Lfunc_end46:
	.size	_ZN7rocprim17ROCPRIM_400000_NS6detail17trampoline_kernelINS0_14default_configENS1_38merge_sort_block_merge_config_selectorIjN6thrust23THRUST_200600_302600_NS5tupleIffNS6_9null_typeES8_S8_S8_S8_S8_S8_S8_EEEEZZNS1_27merge_sort_block_merge_implIS3_NS6_6detail15normal_iteratorINS6_10device_ptrIjEEEENSD_INSE_IS9_EEEEjNS1_19radix_merge_compareILb0ELb0EjNS0_19identity_decomposerEEEEE10hipError_tT0_T1_T2_jT3_P12ihipStream_tbPNSt15iterator_traitsISN_E10value_typeEPNST_ISO_E10value_typeEPSP_NS1_7vsmem_tEENKUlT_SN_SO_SP_E_clIPjSG_PS9_SI_EESM_S12_SN_SO_SP_EUlS12_E1_NS1_11comp_targetILNS1_3genE2ELNS1_11target_archE906ELNS1_3gpuE6ELNS1_3repE0EEENS1_36merge_oddeven_config_static_selectorELNS0_4arch9wavefront6targetE0EEEvSO_, .Lfunc_end46-_ZN7rocprim17ROCPRIM_400000_NS6detail17trampoline_kernelINS0_14default_configENS1_38merge_sort_block_merge_config_selectorIjN6thrust23THRUST_200600_302600_NS5tupleIffNS6_9null_typeES8_S8_S8_S8_S8_S8_S8_EEEEZZNS1_27merge_sort_block_merge_implIS3_NS6_6detail15normal_iteratorINS6_10device_ptrIjEEEENSD_INSE_IS9_EEEEjNS1_19radix_merge_compareILb0ELb0EjNS0_19identity_decomposerEEEEE10hipError_tT0_T1_T2_jT3_P12ihipStream_tbPNSt15iterator_traitsISN_E10value_typeEPNST_ISO_E10value_typeEPSP_NS1_7vsmem_tEENKUlT_SN_SO_SP_E_clIPjSG_PS9_SI_EESM_S12_SN_SO_SP_EUlS12_E1_NS1_11comp_targetILNS1_3genE2ELNS1_11target_archE906ELNS1_3gpuE6ELNS1_3repE0EEENS1_36merge_oddeven_config_static_selectorELNS0_4arch9wavefront6targetE0EEEvSO_
                                        ; -- End function
	.set _ZN7rocprim17ROCPRIM_400000_NS6detail17trampoline_kernelINS0_14default_configENS1_38merge_sort_block_merge_config_selectorIjN6thrust23THRUST_200600_302600_NS5tupleIffNS6_9null_typeES8_S8_S8_S8_S8_S8_S8_EEEEZZNS1_27merge_sort_block_merge_implIS3_NS6_6detail15normal_iteratorINS6_10device_ptrIjEEEENSD_INSE_IS9_EEEEjNS1_19radix_merge_compareILb0ELb0EjNS0_19identity_decomposerEEEEE10hipError_tT0_T1_T2_jT3_P12ihipStream_tbPNSt15iterator_traitsISN_E10value_typeEPNST_ISO_E10value_typeEPSP_NS1_7vsmem_tEENKUlT_SN_SO_SP_E_clIPjSG_PS9_SI_EESM_S12_SN_SO_SP_EUlS12_E1_NS1_11comp_targetILNS1_3genE2ELNS1_11target_archE906ELNS1_3gpuE6ELNS1_3repE0EEENS1_36merge_oddeven_config_static_selectorELNS0_4arch9wavefront6targetE0EEEvSO_.num_vgpr, 0
	.set _ZN7rocprim17ROCPRIM_400000_NS6detail17trampoline_kernelINS0_14default_configENS1_38merge_sort_block_merge_config_selectorIjN6thrust23THRUST_200600_302600_NS5tupleIffNS6_9null_typeES8_S8_S8_S8_S8_S8_S8_EEEEZZNS1_27merge_sort_block_merge_implIS3_NS6_6detail15normal_iteratorINS6_10device_ptrIjEEEENSD_INSE_IS9_EEEEjNS1_19radix_merge_compareILb0ELb0EjNS0_19identity_decomposerEEEEE10hipError_tT0_T1_T2_jT3_P12ihipStream_tbPNSt15iterator_traitsISN_E10value_typeEPNST_ISO_E10value_typeEPSP_NS1_7vsmem_tEENKUlT_SN_SO_SP_E_clIPjSG_PS9_SI_EESM_S12_SN_SO_SP_EUlS12_E1_NS1_11comp_targetILNS1_3genE2ELNS1_11target_archE906ELNS1_3gpuE6ELNS1_3repE0EEENS1_36merge_oddeven_config_static_selectorELNS0_4arch9wavefront6targetE0EEEvSO_.num_agpr, 0
	.set _ZN7rocprim17ROCPRIM_400000_NS6detail17trampoline_kernelINS0_14default_configENS1_38merge_sort_block_merge_config_selectorIjN6thrust23THRUST_200600_302600_NS5tupleIffNS6_9null_typeES8_S8_S8_S8_S8_S8_S8_EEEEZZNS1_27merge_sort_block_merge_implIS3_NS6_6detail15normal_iteratorINS6_10device_ptrIjEEEENSD_INSE_IS9_EEEEjNS1_19radix_merge_compareILb0ELb0EjNS0_19identity_decomposerEEEEE10hipError_tT0_T1_T2_jT3_P12ihipStream_tbPNSt15iterator_traitsISN_E10value_typeEPNST_ISO_E10value_typeEPSP_NS1_7vsmem_tEENKUlT_SN_SO_SP_E_clIPjSG_PS9_SI_EESM_S12_SN_SO_SP_EUlS12_E1_NS1_11comp_targetILNS1_3genE2ELNS1_11target_archE906ELNS1_3gpuE6ELNS1_3repE0EEENS1_36merge_oddeven_config_static_selectorELNS0_4arch9wavefront6targetE0EEEvSO_.numbered_sgpr, 0
	.set _ZN7rocprim17ROCPRIM_400000_NS6detail17trampoline_kernelINS0_14default_configENS1_38merge_sort_block_merge_config_selectorIjN6thrust23THRUST_200600_302600_NS5tupleIffNS6_9null_typeES8_S8_S8_S8_S8_S8_S8_EEEEZZNS1_27merge_sort_block_merge_implIS3_NS6_6detail15normal_iteratorINS6_10device_ptrIjEEEENSD_INSE_IS9_EEEEjNS1_19radix_merge_compareILb0ELb0EjNS0_19identity_decomposerEEEEE10hipError_tT0_T1_T2_jT3_P12ihipStream_tbPNSt15iterator_traitsISN_E10value_typeEPNST_ISO_E10value_typeEPSP_NS1_7vsmem_tEENKUlT_SN_SO_SP_E_clIPjSG_PS9_SI_EESM_S12_SN_SO_SP_EUlS12_E1_NS1_11comp_targetILNS1_3genE2ELNS1_11target_archE906ELNS1_3gpuE6ELNS1_3repE0EEENS1_36merge_oddeven_config_static_selectorELNS0_4arch9wavefront6targetE0EEEvSO_.num_named_barrier, 0
	.set _ZN7rocprim17ROCPRIM_400000_NS6detail17trampoline_kernelINS0_14default_configENS1_38merge_sort_block_merge_config_selectorIjN6thrust23THRUST_200600_302600_NS5tupleIffNS6_9null_typeES8_S8_S8_S8_S8_S8_S8_EEEEZZNS1_27merge_sort_block_merge_implIS3_NS6_6detail15normal_iteratorINS6_10device_ptrIjEEEENSD_INSE_IS9_EEEEjNS1_19radix_merge_compareILb0ELb0EjNS0_19identity_decomposerEEEEE10hipError_tT0_T1_T2_jT3_P12ihipStream_tbPNSt15iterator_traitsISN_E10value_typeEPNST_ISO_E10value_typeEPSP_NS1_7vsmem_tEENKUlT_SN_SO_SP_E_clIPjSG_PS9_SI_EESM_S12_SN_SO_SP_EUlS12_E1_NS1_11comp_targetILNS1_3genE2ELNS1_11target_archE906ELNS1_3gpuE6ELNS1_3repE0EEENS1_36merge_oddeven_config_static_selectorELNS0_4arch9wavefront6targetE0EEEvSO_.private_seg_size, 0
	.set _ZN7rocprim17ROCPRIM_400000_NS6detail17trampoline_kernelINS0_14default_configENS1_38merge_sort_block_merge_config_selectorIjN6thrust23THRUST_200600_302600_NS5tupleIffNS6_9null_typeES8_S8_S8_S8_S8_S8_S8_EEEEZZNS1_27merge_sort_block_merge_implIS3_NS6_6detail15normal_iteratorINS6_10device_ptrIjEEEENSD_INSE_IS9_EEEEjNS1_19radix_merge_compareILb0ELb0EjNS0_19identity_decomposerEEEEE10hipError_tT0_T1_T2_jT3_P12ihipStream_tbPNSt15iterator_traitsISN_E10value_typeEPNST_ISO_E10value_typeEPSP_NS1_7vsmem_tEENKUlT_SN_SO_SP_E_clIPjSG_PS9_SI_EESM_S12_SN_SO_SP_EUlS12_E1_NS1_11comp_targetILNS1_3genE2ELNS1_11target_archE906ELNS1_3gpuE6ELNS1_3repE0EEENS1_36merge_oddeven_config_static_selectorELNS0_4arch9wavefront6targetE0EEEvSO_.uses_vcc, 0
	.set _ZN7rocprim17ROCPRIM_400000_NS6detail17trampoline_kernelINS0_14default_configENS1_38merge_sort_block_merge_config_selectorIjN6thrust23THRUST_200600_302600_NS5tupleIffNS6_9null_typeES8_S8_S8_S8_S8_S8_S8_EEEEZZNS1_27merge_sort_block_merge_implIS3_NS6_6detail15normal_iteratorINS6_10device_ptrIjEEEENSD_INSE_IS9_EEEEjNS1_19radix_merge_compareILb0ELb0EjNS0_19identity_decomposerEEEEE10hipError_tT0_T1_T2_jT3_P12ihipStream_tbPNSt15iterator_traitsISN_E10value_typeEPNST_ISO_E10value_typeEPSP_NS1_7vsmem_tEENKUlT_SN_SO_SP_E_clIPjSG_PS9_SI_EESM_S12_SN_SO_SP_EUlS12_E1_NS1_11comp_targetILNS1_3genE2ELNS1_11target_archE906ELNS1_3gpuE6ELNS1_3repE0EEENS1_36merge_oddeven_config_static_selectorELNS0_4arch9wavefront6targetE0EEEvSO_.uses_flat_scratch, 0
	.set _ZN7rocprim17ROCPRIM_400000_NS6detail17trampoline_kernelINS0_14default_configENS1_38merge_sort_block_merge_config_selectorIjN6thrust23THRUST_200600_302600_NS5tupleIffNS6_9null_typeES8_S8_S8_S8_S8_S8_S8_EEEEZZNS1_27merge_sort_block_merge_implIS3_NS6_6detail15normal_iteratorINS6_10device_ptrIjEEEENSD_INSE_IS9_EEEEjNS1_19radix_merge_compareILb0ELb0EjNS0_19identity_decomposerEEEEE10hipError_tT0_T1_T2_jT3_P12ihipStream_tbPNSt15iterator_traitsISN_E10value_typeEPNST_ISO_E10value_typeEPSP_NS1_7vsmem_tEENKUlT_SN_SO_SP_E_clIPjSG_PS9_SI_EESM_S12_SN_SO_SP_EUlS12_E1_NS1_11comp_targetILNS1_3genE2ELNS1_11target_archE906ELNS1_3gpuE6ELNS1_3repE0EEENS1_36merge_oddeven_config_static_selectorELNS0_4arch9wavefront6targetE0EEEvSO_.has_dyn_sized_stack, 0
	.set _ZN7rocprim17ROCPRIM_400000_NS6detail17trampoline_kernelINS0_14default_configENS1_38merge_sort_block_merge_config_selectorIjN6thrust23THRUST_200600_302600_NS5tupleIffNS6_9null_typeES8_S8_S8_S8_S8_S8_S8_EEEEZZNS1_27merge_sort_block_merge_implIS3_NS6_6detail15normal_iteratorINS6_10device_ptrIjEEEENSD_INSE_IS9_EEEEjNS1_19radix_merge_compareILb0ELb0EjNS0_19identity_decomposerEEEEE10hipError_tT0_T1_T2_jT3_P12ihipStream_tbPNSt15iterator_traitsISN_E10value_typeEPNST_ISO_E10value_typeEPSP_NS1_7vsmem_tEENKUlT_SN_SO_SP_E_clIPjSG_PS9_SI_EESM_S12_SN_SO_SP_EUlS12_E1_NS1_11comp_targetILNS1_3genE2ELNS1_11target_archE906ELNS1_3gpuE6ELNS1_3repE0EEENS1_36merge_oddeven_config_static_selectorELNS0_4arch9wavefront6targetE0EEEvSO_.has_recursion, 0
	.set _ZN7rocprim17ROCPRIM_400000_NS6detail17trampoline_kernelINS0_14default_configENS1_38merge_sort_block_merge_config_selectorIjN6thrust23THRUST_200600_302600_NS5tupleIffNS6_9null_typeES8_S8_S8_S8_S8_S8_S8_EEEEZZNS1_27merge_sort_block_merge_implIS3_NS6_6detail15normal_iteratorINS6_10device_ptrIjEEEENSD_INSE_IS9_EEEEjNS1_19radix_merge_compareILb0ELb0EjNS0_19identity_decomposerEEEEE10hipError_tT0_T1_T2_jT3_P12ihipStream_tbPNSt15iterator_traitsISN_E10value_typeEPNST_ISO_E10value_typeEPSP_NS1_7vsmem_tEENKUlT_SN_SO_SP_E_clIPjSG_PS9_SI_EESM_S12_SN_SO_SP_EUlS12_E1_NS1_11comp_targetILNS1_3genE2ELNS1_11target_archE906ELNS1_3gpuE6ELNS1_3repE0EEENS1_36merge_oddeven_config_static_selectorELNS0_4arch9wavefront6targetE0EEEvSO_.has_indirect_call, 0
	.section	.AMDGPU.csdata,"",@progbits
; Kernel info:
; codeLenInByte = 0
; TotalNumSgprs: 0
; NumVgprs: 0
; ScratchSize: 0
; MemoryBound: 0
; FloatMode: 240
; IeeeMode: 1
; LDSByteSize: 0 bytes/workgroup (compile time only)
; SGPRBlocks: 0
; VGPRBlocks: 0
; NumSGPRsForWavesPerEU: 1
; NumVGPRsForWavesPerEU: 1
; Occupancy: 16
; WaveLimiterHint : 0
; COMPUTE_PGM_RSRC2:SCRATCH_EN: 0
; COMPUTE_PGM_RSRC2:USER_SGPR: 6
; COMPUTE_PGM_RSRC2:TRAP_HANDLER: 0
; COMPUTE_PGM_RSRC2:TGID_X_EN: 1
; COMPUTE_PGM_RSRC2:TGID_Y_EN: 0
; COMPUTE_PGM_RSRC2:TGID_Z_EN: 0
; COMPUTE_PGM_RSRC2:TIDIG_COMP_CNT: 0
	.section	.text._ZN7rocprim17ROCPRIM_400000_NS6detail17trampoline_kernelINS0_14default_configENS1_38merge_sort_block_merge_config_selectorIjN6thrust23THRUST_200600_302600_NS5tupleIffNS6_9null_typeES8_S8_S8_S8_S8_S8_S8_EEEEZZNS1_27merge_sort_block_merge_implIS3_NS6_6detail15normal_iteratorINS6_10device_ptrIjEEEENSD_INSE_IS9_EEEEjNS1_19radix_merge_compareILb0ELb0EjNS0_19identity_decomposerEEEEE10hipError_tT0_T1_T2_jT3_P12ihipStream_tbPNSt15iterator_traitsISN_E10value_typeEPNST_ISO_E10value_typeEPSP_NS1_7vsmem_tEENKUlT_SN_SO_SP_E_clIPjSG_PS9_SI_EESM_S12_SN_SO_SP_EUlS12_E1_NS1_11comp_targetILNS1_3genE9ELNS1_11target_archE1100ELNS1_3gpuE3ELNS1_3repE0EEENS1_36merge_oddeven_config_static_selectorELNS0_4arch9wavefront6targetE0EEEvSO_,"axG",@progbits,_ZN7rocprim17ROCPRIM_400000_NS6detail17trampoline_kernelINS0_14default_configENS1_38merge_sort_block_merge_config_selectorIjN6thrust23THRUST_200600_302600_NS5tupleIffNS6_9null_typeES8_S8_S8_S8_S8_S8_S8_EEEEZZNS1_27merge_sort_block_merge_implIS3_NS6_6detail15normal_iteratorINS6_10device_ptrIjEEEENSD_INSE_IS9_EEEEjNS1_19radix_merge_compareILb0ELb0EjNS0_19identity_decomposerEEEEE10hipError_tT0_T1_T2_jT3_P12ihipStream_tbPNSt15iterator_traitsISN_E10value_typeEPNST_ISO_E10value_typeEPSP_NS1_7vsmem_tEENKUlT_SN_SO_SP_E_clIPjSG_PS9_SI_EESM_S12_SN_SO_SP_EUlS12_E1_NS1_11comp_targetILNS1_3genE9ELNS1_11target_archE1100ELNS1_3gpuE3ELNS1_3repE0EEENS1_36merge_oddeven_config_static_selectorELNS0_4arch9wavefront6targetE0EEEvSO_,comdat
	.protected	_ZN7rocprim17ROCPRIM_400000_NS6detail17trampoline_kernelINS0_14default_configENS1_38merge_sort_block_merge_config_selectorIjN6thrust23THRUST_200600_302600_NS5tupleIffNS6_9null_typeES8_S8_S8_S8_S8_S8_S8_EEEEZZNS1_27merge_sort_block_merge_implIS3_NS6_6detail15normal_iteratorINS6_10device_ptrIjEEEENSD_INSE_IS9_EEEEjNS1_19radix_merge_compareILb0ELb0EjNS0_19identity_decomposerEEEEE10hipError_tT0_T1_T2_jT3_P12ihipStream_tbPNSt15iterator_traitsISN_E10value_typeEPNST_ISO_E10value_typeEPSP_NS1_7vsmem_tEENKUlT_SN_SO_SP_E_clIPjSG_PS9_SI_EESM_S12_SN_SO_SP_EUlS12_E1_NS1_11comp_targetILNS1_3genE9ELNS1_11target_archE1100ELNS1_3gpuE3ELNS1_3repE0EEENS1_36merge_oddeven_config_static_selectorELNS0_4arch9wavefront6targetE0EEEvSO_ ; -- Begin function _ZN7rocprim17ROCPRIM_400000_NS6detail17trampoline_kernelINS0_14default_configENS1_38merge_sort_block_merge_config_selectorIjN6thrust23THRUST_200600_302600_NS5tupleIffNS6_9null_typeES8_S8_S8_S8_S8_S8_S8_EEEEZZNS1_27merge_sort_block_merge_implIS3_NS6_6detail15normal_iteratorINS6_10device_ptrIjEEEENSD_INSE_IS9_EEEEjNS1_19radix_merge_compareILb0ELb0EjNS0_19identity_decomposerEEEEE10hipError_tT0_T1_T2_jT3_P12ihipStream_tbPNSt15iterator_traitsISN_E10value_typeEPNST_ISO_E10value_typeEPSP_NS1_7vsmem_tEENKUlT_SN_SO_SP_E_clIPjSG_PS9_SI_EESM_S12_SN_SO_SP_EUlS12_E1_NS1_11comp_targetILNS1_3genE9ELNS1_11target_archE1100ELNS1_3gpuE3ELNS1_3repE0EEENS1_36merge_oddeven_config_static_selectorELNS0_4arch9wavefront6targetE0EEEvSO_
	.globl	_ZN7rocprim17ROCPRIM_400000_NS6detail17trampoline_kernelINS0_14default_configENS1_38merge_sort_block_merge_config_selectorIjN6thrust23THRUST_200600_302600_NS5tupleIffNS6_9null_typeES8_S8_S8_S8_S8_S8_S8_EEEEZZNS1_27merge_sort_block_merge_implIS3_NS6_6detail15normal_iteratorINS6_10device_ptrIjEEEENSD_INSE_IS9_EEEEjNS1_19radix_merge_compareILb0ELb0EjNS0_19identity_decomposerEEEEE10hipError_tT0_T1_T2_jT3_P12ihipStream_tbPNSt15iterator_traitsISN_E10value_typeEPNST_ISO_E10value_typeEPSP_NS1_7vsmem_tEENKUlT_SN_SO_SP_E_clIPjSG_PS9_SI_EESM_S12_SN_SO_SP_EUlS12_E1_NS1_11comp_targetILNS1_3genE9ELNS1_11target_archE1100ELNS1_3gpuE3ELNS1_3repE0EEENS1_36merge_oddeven_config_static_selectorELNS0_4arch9wavefront6targetE0EEEvSO_
	.p2align	8
	.type	_ZN7rocprim17ROCPRIM_400000_NS6detail17trampoline_kernelINS0_14default_configENS1_38merge_sort_block_merge_config_selectorIjN6thrust23THRUST_200600_302600_NS5tupleIffNS6_9null_typeES8_S8_S8_S8_S8_S8_S8_EEEEZZNS1_27merge_sort_block_merge_implIS3_NS6_6detail15normal_iteratorINS6_10device_ptrIjEEEENSD_INSE_IS9_EEEEjNS1_19radix_merge_compareILb0ELb0EjNS0_19identity_decomposerEEEEE10hipError_tT0_T1_T2_jT3_P12ihipStream_tbPNSt15iterator_traitsISN_E10value_typeEPNST_ISO_E10value_typeEPSP_NS1_7vsmem_tEENKUlT_SN_SO_SP_E_clIPjSG_PS9_SI_EESM_S12_SN_SO_SP_EUlS12_E1_NS1_11comp_targetILNS1_3genE9ELNS1_11target_archE1100ELNS1_3gpuE3ELNS1_3repE0EEENS1_36merge_oddeven_config_static_selectorELNS0_4arch9wavefront6targetE0EEEvSO_,@function
_ZN7rocprim17ROCPRIM_400000_NS6detail17trampoline_kernelINS0_14default_configENS1_38merge_sort_block_merge_config_selectorIjN6thrust23THRUST_200600_302600_NS5tupleIffNS6_9null_typeES8_S8_S8_S8_S8_S8_S8_EEEEZZNS1_27merge_sort_block_merge_implIS3_NS6_6detail15normal_iteratorINS6_10device_ptrIjEEEENSD_INSE_IS9_EEEEjNS1_19radix_merge_compareILb0ELb0EjNS0_19identity_decomposerEEEEE10hipError_tT0_T1_T2_jT3_P12ihipStream_tbPNSt15iterator_traitsISN_E10value_typeEPNST_ISO_E10value_typeEPSP_NS1_7vsmem_tEENKUlT_SN_SO_SP_E_clIPjSG_PS9_SI_EESM_S12_SN_SO_SP_EUlS12_E1_NS1_11comp_targetILNS1_3genE9ELNS1_11target_archE1100ELNS1_3gpuE3ELNS1_3repE0EEENS1_36merge_oddeven_config_static_selectorELNS0_4arch9wavefront6targetE0EEEvSO_: ; @_ZN7rocprim17ROCPRIM_400000_NS6detail17trampoline_kernelINS0_14default_configENS1_38merge_sort_block_merge_config_selectorIjN6thrust23THRUST_200600_302600_NS5tupleIffNS6_9null_typeES8_S8_S8_S8_S8_S8_S8_EEEEZZNS1_27merge_sort_block_merge_implIS3_NS6_6detail15normal_iteratorINS6_10device_ptrIjEEEENSD_INSE_IS9_EEEEjNS1_19radix_merge_compareILb0ELb0EjNS0_19identity_decomposerEEEEE10hipError_tT0_T1_T2_jT3_P12ihipStream_tbPNSt15iterator_traitsISN_E10value_typeEPNST_ISO_E10value_typeEPSP_NS1_7vsmem_tEENKUlT_SN_SO_SP_E_clIPjSG_PS9_SI_EESM_S12_SN_SO_SP_EUlS12_E1_NS1_11comp_targetILNS1_3genE9ELNS1_11target_archE1100ELNS1_3gpuE3ELNS1_3repE0EEENS1_36merge_oddeven_config_static_selectorELNS0_4arch9wavefront6targetE0EEEvSO_
; %bb.0:
	.section	.rodata,"a",@progbits
	.p2align	6, 0x0
	.amdhsa_kernel _ZN7rocprim17ROCPRIM_400000_NS6detail17trampoline_kernelINS0_14default_configENS1_38merge_sort_block_merge_config_selectorIjN6thrust23THRUST_200600_302600_NS5tupleIffNS6_9null_typeES8_S8_S8_S8_S8_S8_S8_EEEEZZNS1_27merge_sort_block_merge_implIS3_NS6_6detail15normal_iteratorINS6_10device_ptrIjEEEENSD_INSE_IS9_EEEEjNS1_19radix_merge_compareILb0ELb0EjNS0_19identity_decomposerEEEEE10hipError_tT0_T1_T2_jT3_P12ihipStream_tbPNSt15iterator_traitsISN_E10value_typeEPNST_ISO_E10value_typeEPSP_NS1_7vsmem_tEENKUlT_SN_SO_SP_E_clIPjSG_PS9_SI_EESM_S12_SN_SO_SP_EUlS12_E1_NS1_11comp_targetILNS1_3genE9ELNS1_11target_archE1100ELNS1_3gpuE3ELNS1_3repE0EEENS1_36merge_oddeven_config_static_selectorELNS0_4arch9wavefront6targetE0EEEvSO_
		.amdhsa_group_segment_fixed_size 0
		.amdhsa_private_segment_fixed_size 0
		.amdhsa_kernarg_size 48
		.amdhsa_user_sgpr_count 6
		.amdhsa_user_sgpr_private_segment_buffer 1
		.amdhsa_user_sgpr_dispatch_ptr 0
		.amdhsa_user_sgpr_queue_ptr 0
		.amdhsa_user_sgpr_kernarg_segment_ptr 1
		.amdhsa_user_sgpr_dispatch_id 0
		.amdhsa_user_sgpr_flat_scratch_init 0
		.amdhsa_user_sgpr_private_segment_size 0
		.amdhsa_wavefront_size32 1
		.amdhsa_uses_dynamic_stack 0
		.amdhsa_system_sgpr_private_segment_wavefront_offset 0
		.amdhsa_system_sgpr_workgroup_id_x 1
		.amdhsa_system_sgpr_workgroup_id_y 0
		.amdhsa_system_sgpr_workgroup_id_z 0
		.amdhsa_system_sgpr_workgroup_info 0
		.amdhsa_system_vgpr_workitem_id 0
		.amdhsa_next_free_vgpr 1
		.amdhsa_next_free_sgpr 1
		.amdhsa_reserve_vcc 0
		.amdhsa_reserve_flat_scratch 0
		.amdhsa_float_round_mode_32 0
		.amdhsa_float_round_mode_16_64 0
		.amdhsa_float_denorm_mode_32 3
		.amdhsa_float_denorm_mode_16_64 3
		.amdhsa_dx10_clamp 1
		.amdhsa_ieee_mode 1
		.amdhsa_fp16_overflow 0
		.amdhsa_workgroup_processor_mode 1
		.amdhsa_memory_ordered 1
		.amdhsa_forward_progress 1
		.amdhsa_shared_vgpr_count 0
		.amdhsa_exception_fp_ieee_invalid_op 0
		.amdhsa_exception_fp_denorm_src 0
		.amdhsa_exception_fp_ieee_div_zero 0
		.amdhsa_exception_fp_ieee_overflow 0
		.amdhsa_exception_fp_ieee_underflow 0
		.amdhsa_exception_fp_ieee_inexact 0
		.amdhsa_exception_int_div_zero 0
	.end_amdhsa_kernel
	.section	.text._ZN7rocprim17ROCPRIM_400000_NS6detail17trampoline_kernelINS0_14default_configENS1_38merge_sort_block_merge_config_selectorIjN6thrust23THRUST_200600_302600_NS5tupleIffNS6_9null_typeES8_S8_S8_S8_S8_S8_S8_EEEEZZNS1_27merge_sort_block_merge_implIS3_NS6_6detail15normal_iteratorINS6_10device_ptrIjEEEENSD_INSE_IS9_EEEEjNS1_19radix_merge_compareILb0ELb0EjNS0_19identity_decomposerEEEEE10hipError_tT0_T1_T2_jT3_P12ihipStream_tbPNSt15iterator_traitsISN_E10value_typeEPNST_ISO_E10value_typeEPSP_NS1_7vsmem_tEENKUlT_SN_SO_SP_E_clIPjSG_PS9_SI_EESM_S12_SN_SO_SP_EUlS12_E1_NS1_11comp_targetILNS1_3genE9ELNS1_11target_archE1100ELNS1_3gpuE3ELNS1_3repE0EEENS1_36merge_oddeven_config_static_selectorELNS0_4arch9wavefront6targetE0EEEvSO_,"axG",@progbits,_ZN7rocprim17ROCPRIM_400000_NS6detail17trampoline_kernelINS0_14default_configENS1_38merge_sort_block_merge_config_selectorIjN6thrust23THRUST_200600_302600_NS5tupleIffNS6_9null_typeES8_S8_S8_S8_S8_S8_S8_EEEEZZNS1_27merge_sort_block_merge_implIS3_NS6_6detail15normal_iteratorINS6_10device_ptrIjEEEENSD_INSE_IS9_EEEEjNS1_19radix_merge_compareILb0ELb0EjNS0_19identity_decomposerEEEEE10hipError_tT0_T1_T2_jT3_P12ihipStream_tbPNSt15iterator_traitsISN_E10value_typeEPNST_ISO_E10value_typeEPSP_NS1_7vsmem_tEENKUlT_SN_SO_SP_E_clIPjSG_PS9_SI_EESM_S12_SN_SO_SP_EUlS12_E1_NS1_11comp_targetILNS1_3genE9ELNS1_11target_archE1100ELNS1_3gpuE3ELNS1_3repE0EEENS1_36merge_oddeven_config_static_selectorELNS0_4arch9wavefront6targetE0EEEvSO_,comdat
.Lfunc_end47:
	.size	_ZN7rocprim17ROCPRIM_400000_NS6detail17trampoline_kernelINS0_14default_configENS1_38merge_sort_block_merge_config_selectorIjN6thrust23THRUST_200600_302600_NS5tupleIffNS6_9null_typeES8_S8_S8_S8_S8_S8_S8_EEEEZZNS1_27merge_sort_block_merge_implIS3_NS6_6detail15normal_iteratorINS6_10device_ptrIjEEEENSD_INSE_IS9_EEEEjNS1_19radix_merge_compareILb0ELb0EjNS0_19identity_decomposerEEEEE10hipError_tT0_T1_T2_jT3_P12ihipStream_tbPNSt15iterator_traitsISN_E10value_typeEPNST_ISO_E10value_typeEPSP_NS1_7vsmem_tEENKUlT_SN_SO_SP_E_clIPjSG_PS9_SI_EESM_S12_SN_SO_SP_EUlS12_E1_NS1_11comp_targetILNS1_3genE9ELNS1_11target_archE1100ELNS1_3gpuE3ELNS1_3repE0EEENS1_36merge_oddeven_config_static_selectorELNS0_4arch9wavefront6targetE0EEEvSO_, .Lfunc_end47-_ZN7rocprim17ROCPRIM_400000_NS6detail17trampoline_kernelINS0_14default_configENS1_38merge_sort_block_merge_config_selectorIjN6thrust23THRUST_200600_302600_NS5tupleIffNS6_9null_typeES8_S8_S8_S8_S8_S8_S8_EEEEZZNS1_27merge_sort_block_merge_implIS3_NS6_6detail15normal_iteratorINS6_10device_ptrIjEEEENSD_INSE_IS9_EEEEjNS1_19radix_merge_compareILb0ELb0EjNS0_19identity_decomposerEEEEE10hipError_tT0_T1_T2_jT3_P12ihipStream_tbPNSt15iterator_traitsISN_E10value_typeEPNST_ISO_E10value_typeEPSP_NS1_7vsmem_tEENKUlT_SN_SO_SP_E_clIPjSG_PS9_SI_EESM_S12_SN_SO_SP_EUlS12_E1_NS1_11comp_targetILNS1_3genE9ELNS1_11target_archE1100ELNS1_3gpuE3ELNS1_3repE0EEENS1_36merge_oddeven_config_static_selectorELNS0_4arch9wavefront6targetE0EEEvSO_
                                        ; -- End function
	.set _ZN7rocprim17ROCPRIM_400000_NS6detail17trampoline_kernelINS0_14default_configENS1_38merge_sort_block_merge_config_selectorIjN6thrust23THRUST_200600_302600_NS5tupleIffNS6_9null_typeES8_S8_S8_S8_S8_S8_S8_EEEEZZNS1_27merge_sort_block_merge_implIS3_NS6_6detail15normal_iteratorINS6_10device_ptrIjEEEENSD_INSE_IS9_EEEEjNS1_19radix_merge_compareILb0ELb0EjNS0_19identity_decomposerEEEEE10hipError_tT0_T1_T2_jT3_P12ihipStream_tbPNSt15iterator_traitsISN_E10value_typeEPNST_ISO_E10value_typeEPSP_NS1_7vsmem_tEENKUlT_SN_SO_SP_E_clIPjSG_PS9_SI_EESM_S12_SN_SO_SP_EUlS12_E1_NS1_11comp_targetILNS1_3genE9ELNS1_11target_archE1100ELNS1_3gpuE3ELNS1_3repE0EEENS1_36merge_oddeven_config_static_selectorELNS0_4arch9wavefront6targetE0EEEvSO_.num_vgpr, 0
	.set _ZN7rocprim17ROCPRIM_400000_NS6detail17trampoline_kernelINS0_14default_configENS1_38merge_sort_block_merge_config_selectorIjN6thrust23THRUST_200600_302600_NS5tupleIffNS6_9null_typeES8_S8_S8_S8_S8_S8_S8_EEEEZZNS1_27merge_sort_block_merge_implIS3_NS6_6detail15normal_iteratorINS6_10device_ptrIjEEEENSD_INSE_IS9_EEEEjNS1_19radix_merge_compareILb0ELb0EjNS0_19identity_decomposerEEEEE10hipError_tT0_T1_T2_jT3_P12ihipStream_tbPNSt15iterator_traitsISN_E10value_typeEPNST_ISO_E10value_typeEPSP_NS1_7vsmem_tEENKUlT_SN_SO_SP_E_clIPjSG_PS9_SI_EESM_S12_SN_SO_SP_EUlS12_E1_NS1_11comp_targetILNS1_3genE9ELNS1_11target_archE1100ELNS1_3gpuE3ELNS1_3repE0EEENS1_36merge_oddeven_config_static_selectorELNS0_4arch9wavefront6targetE0EEEvSO_.num_agpr, 0
	.set _ZN7rocprim17ROCPRIM_400000_NS6detail17trampoline_kernelINS0_14default_configENS1_38merge_sort_block_merge_config_selectorIjN6thrust23THRUST_200600_302600_NS5tupleIffNS6_9null_typeES8_S8_S8_S8_S8_S8_S8_EEEEZZNS1_27merge_sort_block_merge_implIS3_NS6_6detail15normal_iteratorINS6_10device_ptrIjEEEENSD_INSE_IS9_EEEEjNS1_19radix_merge_compareILb0ELb0EjNS0_19identity_decomposerEEEEE10hipError_tT0_T1_T2_jT3_P12ihipStream_tbPNSt15iterator_traitsISN_E10value_typeEPNST_ISO_E10value_typeEPSP_NS1_7vsmem_tEENKUlT_SN_SO_SP_E_clIPjSG_PS9_SI_EESM_S12_SN_SO_SP_EUlS12_E1_NS1_11comp_targetILNS1_3genE9ELNS1_11target_archE1100ELNS1_3gpuE3ELNS1_3repE0EEENS1_36merge_oddeven_config_static_selectorELNS0_4arch9wavefront6targetE0EEEvSO_.numbered_sgpr, 0
	.set _ZN7rocprim17ROCPRIM_400000_NS6detail17trampoline_kernelINS0_14default_configENS1_38merge_sort_block_merge_config_selectorIjN6thrust23THRUST_200600_302600_NS5tupleIffNS6_9null_typeES8_S8_S8_S8_S8_S8_S8_EEEEZZNS1_27merge_sort_block_merge_implIS3_NS6_6detail15normal_iteratorINS6_10device_ptrIjEEEENSD_INSE_IS9_EEEEjNS1_19radix_merge_compareILb0ELb0EjNS0_19identity_decomposerEEEEE10hipError_tT0_T1_T2_jT3_P12ihipStream_tbPNSt15iterator_traitsISN_E10value_typeEPNST_ISO_E10value_typeEPSP_NS1_7vsmem_tEENKUlT_SN_SO_SP_E_clIPjSG_PS9_SI_EESM_S12_SN_SO_SP_EUlS12_E1_NS1_11comp_targetILNS1_3genE9ELNS1_11target_archE1100ELNS1_3gpuE3ELNS1_3repE0EEENS1_36merge_oddeven_config_static_selectorELNS0_4arch9wavefront6targetE0EEEvSO_.num_named_barrier, 0
	.set _ZN7rocprim17ROCPRIM_400000_NS6detail17trampoline_kernelINS0_14default_configENS1_38merge_sort_block_merge_config_selectorIjN6thrust23THRUST_200600_302600_NS5tupleIffNS6_9null_typeES8_S8_S8_S8_S8_S8_S8_EEEEZZNS1_27merge_sort_block_merge_implIS3_NS6_6detail15normal_iteratorINS6_10device_ptrIjEEEENSD_INSE_IS9_EEEEjNS1_19radix_merge_compareILb0ELb0EjNS0_19identity_decomposerEEEEE10hipError_tT0_T1_T2_jT3_P12ihipStream_tbPNSt15iterator_traitsISN_E10value_typeEPNST_ISO_E10value_typeEPSP_NS1_7vsmem_tEENKUlT_SN_SO_SP_E_clIPjSG_PS9_SI_EESM_S12_SN_SO_SP_EUlS12_E1_NS1_11comp_targetILNS1_3genE9ELNS1_11target_archE1100ELNS1_3gpuE3ELNS1_3repE0EEENS1_36merge_oddeven_config_static_selectorELNS0_4arch9wavefront6targetE0EEEvSO_.private_seg_size, 0
	.set _ZN7rocprim17ROCPRIM_400000_NS6detail17trampoline_kernelINS0_14default_configENS1_38merge_sort_block_merge_config_selectorIjN6thrust23THRUST_200600_302600_NS5tupleIffNS6_9null_typeES8_S8_S8_S8_S8_S8_S8_EEEEZZNS1_27merge_sort_block_merge_implIS3_NS6_6detail15normal_iteratorINS6_10device_ptrIjEEEENSD_INSE_IS9_EEEEjNS1_19radix_merge_compareILb0ELb0EjNS0_19identity_decomposerEEEEE10hipError_tT0_T1_T2_jT3_P12ihipStream_tbPNSt15iterator_traitsISN_E10value_typeEPNST_ISO_E10value_typeEPSP_NS1_7vsmem_tEENKUlT_SN_SO_SP_E_clIPjSG_PS9_SI_EESM_S12_SN_SO_SP_EUlS12_E1_NS1_11comp_targetILNS1_3genE9ELNS1_11target_archE1100ELNS1_3gpuE3ELNS1_3repE0EEENS1_36merge_oddeven_config_static_selectorELNS0_4arch9wavefront6targetE0EEEvSO_.uses_vcc, 0
	.set _ZN7rocprim17ROCPRIM_400000_NS6detail17trampoline_kernelINS0_14default_configENS1_38merge_sort_block_merge_config_selectorIjN6thrust23THRUST_200600_302600_NS5tupleIffNS6_9null_typeES8_S8_S8_S8_S8_S8_S8_EEEEZZNS1_27merge_sort_block_merge_implIS3_NS6_6detail15normal_iteratorINS6_10device_ptrIjEEEENSD_INSE_IS9_EEEEjNS1_19radix_merge_compareILb0ELb0EjNS0_19identity_decomposerEEEEE10hipError_tT0_T1_T2_jT3_P12ihipStream_tbPNSt15iterator_traitsISN_E10value_typeEPNST_ISO_E10value_typeEPSP_NS1_7vsmem_tEENKUlT_SN_SO_SP_E_clIPjSG_PS9_SI_EESM_S12_SN_SO_SP_EUlS12_E1_NS1_11comp_targetILNS1_3genE9ELNS1_11target_archE1100ELNS1_3gpuE3ELNS1_3repE0EEENS1_36merge_oddeven_config_static_selectorELNS0_4arch9wavefront6targetE0EEEvSO_.uses_flat_scratch, 0
	.set _ZN7rocprim17ROCPRIM_400000_NS6detail17trampoline_kernelINS0_14default_configENS1_38merge_sort_block_merge_config_selectorIjN6thrust23THRUST_200600_302600_NS5tupleIffNS6_9null_typeES8_S8_S8_S8_S8_S8_S8_EEEEZZNS1_27merge_sort_block_merge_implIS3_NS6_6detail15normal_iteratorINS6_10device_ptrIjEEEENSD_INSE_IS9_EEEEjNS1_19radix_merge_compareILb0ELb0EjNS0_19identity_decomposerEEEEE10hipError_tT0_T1_T2_jT3_P12ihipStream_tbPNSt15iterator_traitsISN_E10value_typeEPNST_ISO_E10value_typeEPSP_NS1_7vsmem_tEENKUlT_SN_SO_SP_E_clIPjSG_PS9_SI_EESM_S12_SN_SO_SP_EUlS12_E1_NS1_11comp_targetILNS1_3genE9ELNS1_11target_archE1100ELNS1_3gpuE3ELNS1_3repE0EEENS1_36merge_oddeven_config_static_selectorELNS0_4arch9wavefront6targetE0EEEvSO_.has_dyn_sized_stack, 0
	.set _ZN7rocprim17ROCPRIM_400000_NS6detail17trampoline_kernelINS0_14default_configENS1_38merge_sort_block_merge_config_selectorIjN6thrust23THRUST_200600_302600_NS5tupleIffNS6_9null_typeES8_S8_S8_S8_S8_S8_S8_EEEEZZNS1_27merge_sort_block_merge_implIS3_NS6_6detail15normal_iteratorINS6_10device_ptrIjEEEENSD_INSE_IS9_EEEEjNS1_19radix_merge_compareILb0ELb0EjNS0_19identity_decomposerEEEEE10hipError_tT0_T1_T2_jT3_P12ihipStream_tbPNSt15iterator_traitsISN_E10value_typeEPNST_ISO_E10value_typeEPSP_NS1_7vsmem_tEENKUlT_SN_SO_SP_E_clIPjSG_PS9_SI_EESM_S12_SN_SO_SP_EUlS12_E1_NS1_11comp_targetILNS1_3genE9ELNS1_11target_archE1100ELNS1_3gpuE3ELNS1_3repE0EEENS1_36merge_oddeven_config_static_selectorELNS0_4arch9wavefront6targetE0EEEvSO_.has_recursion, 0
	.set _ZN7rocprim17ROCPRIM_400000_NS6detail17trampoline_kernelINS0_14default_configENS1_38merge_sort_block_merge_config_selectorIjN6thrust23THRUST_200600_302600_NS5tupleIffNS6_9null_typeES8_S8_S8_S8_S8_S8_S8_EEEEZZNS1_27merge_sort_block_merge_implIS3_NS6_6detail15normal_iteratorINS6_10device_ptrIjEEEENSD_INSE_IS9_EEEEjNS1_19radix_merge_compareILb0ELb0EjNS0_19identity_decomposerEEEEE10hipError_tT0_T1_T2_jT3_P12ihipStream_tbPNSt15iterator_traitsISN_E10value_typeEPNST_ISO_E10value_typeEPSP_NS1_7vsmem_tEENKUlT_SN_SO_SP_E_clIPjSG_PS9_SI_EESM_S12_SN_SO_SP_EUlS12_E1_NS1_11comp_targetILNS1_3genE9ELNS1_11target_archE1100ELNS1_3gpuE3ELNS1_3repE0EEENS1_36merge_oddeven_config_static_selectorELNS0_4arch9wavefront6targetE0EEEvSO_.has_indirect_call, 0
	.section	.AMDGPU.csdata,"",@progbits
; Kernel info:
; codeLenInByte = 0
; TotalNumSgprs: 0
; NumVgprs: 0
; ScratchSize: 0
; MemoryBound: 0
; FloatMode: 240
; IeeeMode: 1
; LDSByteSize: 0 bytes/workgroup (compile time only)
; SGPRBlocks: 0
; VGPRBlocks: 0
; NumSGPRsForWavesPerEU: 1
; NumVGPRsForWavesPerEU: 1
; Occupancy: 16
; WaveLimiterHint : 0
; COMPUTE_PGM_RSRC2:SCRATCH_EN: 0
; COMPUTE_PGM_RSRC2:USER_SGPR: 6
; COMPUTE_PGM_RSRC2:TRAP_HANDLER: 0
; COMPUTE_PGM_RSRC2:TGID_X_EN: 1
; COMPUTE_PGM_RSRC2:TGID_Y_EN: 0
; COMPUTE_PGM_RSRC2:TGID_Z_EN: 0
; COMPUTE_PGM_RSRC2:TIDIG_COMP_CNT: 0
	.section	.text._ZN7rocprim17ROCPRIM_400000_NS6detail17trampoline_kernelINS0_14default_configENS1_38merge_sort_block_merge_config_selectorIjN6thrust23THRUST_200600_302600_NS5tupleIffNS6_9null_typeES8_S8_S8_S8_S8_S8_S8_EEEEZZNS1_27merge_sort_block_merge_implIS3_NS6_6detail15normal_iteratorINS6_10device_ptrIjEEEENSD_INSE_IS9_EEEEjNS1_19radix_merge_compareILb0ELb0EjNS0_19identity_decomposerEEEEE10hipError_tT0_T1_T2_jT3_P12ihipStream_tbPNSt15iterator_traitsISN_E10value_typeEPNST_ISO_E10value_typeEPSP_NS1_7vsmem_tEENKUlT_SN_SO_SP_E_clIPjSG_PS9_SI_EESM_S12_SN_SO_SP_EUlS12_E1_NS1_11comp_targetILNS1_3genE8ELNS1_11target_archE1030ELNS1_3gpuE2ELNS1_3repE0EEENS1_36merge_oddeven_config_static_selectorELNS0_4arch9wavefront6targetE0EEEvSO_,"axG",@progbits,_ZN7rocprim17ROCPRIM_400000_NS6detail17trampoline_kernelINS0_14default_configENS1_38merge_sort_block_merge_config_selectorIjN6thrust23THRUST_200600_302600_NS5tupleIffNS6_9null_typeES8_S8_S8_S8_S8_S8_S8_EEEEZZNS1_27merge_sort_block_merge_implIS3_NS6_6detail15normal_iteratorINS6_10device_ptrIjEEEENSD_INSE_IS9_EEEEjNS1_19radix_merge_compareILb0ELb0EjNS0_19identity_decomposerEEEEE10hipError_tT0_T1_T2_jT3_P12ihipStream_tbPNSt15iterator_traitsISN_E10value_typeEPNST_ISO_E10value_typeEPSP_NS1_7vsmem_tEENKUlT_SN_SO_SP_E_clIPjSG_PS9_SI_EESM_S12_SN_SO_SP_EUlS12_E1_NS1_11comp_targetILNS1_3genE8ELNS1_11target_archE1030ELNS1_3gpuE2ELNS1_3repE0EEENS1_36merge_oddeven_config_static_selectorELNS0_4arch9wavefront6targetE0EEEvSO_,comdat
	.protected	_ZN7rocprim17ROCPRIM_400000_NS6detail17trampoline_kernelINS0_14default_configENS1_38merge_sort_block_merge_config_selectorIjN6thrust23THRUST_200600_302600_NS5tupleIffNS6_9null_typeES8_S8_S8_S8_S8_S8_S8_EEEEZZNS1_27merge_sort_block_merge_implIS3_NS6_6detail15normal_iteratorINS6_10device_ptrIjEEEENSD_INSE_IS9_EEEEjNS1_19radix_merge_compareILb0ELb0EjNS0_19identity_decomposerEEEEE10hipError_tT0_T1_T2_jT3_P12ihipStream_tbPNSt15iterator_traitsISN_E10value_typeEPNST_ISO_E10value_typeEPSP_NS1_7vsmem_tEENKUlT_SN_SO_SP_E_clIPjSG_PS9_SI_EESM_S12_SN_SO_SP_EUlS12_E1_NS1_11comp_targetILNS1_3genE8ELNS1_11target_archE1030ELNS1_3gpuE2ELNS1_3repE0EEENS1_36merge_oddeven_config_static_selectorELNS0_4arch9wavefront6targetE0EEEvSO_ ; -- Begin function _ZN7rocprim17ROCPRIM_400000_NS6detail17trampoline_kernelINS0_14default_configENS1_38merge_sort_block_merge_config_selectorIjN6thrust23THRUST_200600_302600_NS5tupleIffNS6_9null_typeES8_S8_S8_S8_S8_S8_S8_EEEEZZNS1_27merge_sort_block_merge_implIS3_NS6_6detail15normal_iteratorINS6_10device_ptrIjEEEENSD_INSE_IS9_EEEEjNS1_19radix_merge_compareILb0ELb0EjNS0_19identity_decomposerEEEEE10hipError_tT0_T1_T2_jT3_P12ihipStream_tbPNSt15iterator_traitsISN_E10value_typeEPNST_ISO_E10value_typeEPSP_NS1_7vsmem_tEENKUlT_SN_SO_SP_E_clIPjSG_PS9_SI_EESM_S12_SN_SO_SP_EUlS12_E1_NS1_11comp_targetILNS1_3genE8ELNS1_11target_archE1030ELNS1_3gpuE2ELNS1_3repE0EEENS1_36merge_oddeven_config_static_selectorELNS0_4arch9wavefront6targetE0EEEvSO_
	.globl	_ZN7rocprim17ROCPRIM_400000_NS6detail17trampoline_kernelINS0_14default_configENS1_38merge_sort_block_merge_config_selectorIjN6thrust23THRUST_200600_302600_NS5tupleIffNS6_9null_typeES8_S8_S8_S8_S8_S8_S8_EEEEZZNS1_27merge_sort_block_merge_implIS3_NS6_6detail15normal_iteratorINS6_10device_ptrIjEEEENSD_INSE_IS9_EEEEjNS1_19radix_merge_compareILb0ELb0EjNS0_19identity_decomposerEEEEE10hipError_tT0_T1_T2_jT3_P12ihipStream_tbPNSt15iterator_traitsISN_E10value_typeEPNST_ISO_E10value_typeEPSP_NS1_7vsmem_tEENKUlT_SN_SO_SP_E_clIPjSG_PS9_SI_EESM_S12_SN_SO_SP_EUlS12_E1_NS1_11comp_targetILNS1_3genE8ELNS1_11target_archE1030ELNS1_3gpuE2ELNS1_3repE0EEENS1_36merge_oddeven_config_static_selectorELNS0_4arch9wavefront6targetE0EEEvSO_
	.p2align	8
	.type	_ZN7rocprim17ROCPRIM_400000_NS6detail17trampoline_kernelINS0_14default_configENS1_38merge_sort_block_merge_config_selectorIjN6thrust23THRUST_200600_302600_NS5tupleIffNS6_9null_typeES8_S8_S8_S8_S8_S8_S8_EEEEZZNS1_27merge_sort_block_merge_implIS3_NS6_6detail15normal_iteratorINS6_10device_ptrIjEEEENSD_INSE_IS9_EEEEjNS1_19radix_merge_compareILb0ELb0EjNS0_19identity_decomposerEEEEE10hipError_tT0_T1_T2_jT3_P12ihipStream_tbPNSt15iterator_traitsISN_E10value_typeEPNST_ISO_E10value_typeEPSP_NS1_7vsmem_tEENKUlT_SN_SO_SP_E_clIPjSG_PS9_SI_EESM_S12_SN_SO_SP_EUlS12_E1_NS1_11comp_targetILNS1_3genE8ELNS1_11target_archE1030ELNS1_3gpuE2ELNS1_3repE0EEENS1_36merge_oddeven_config_static_selectorELNS0_4arch9wavefront6targetE0EEEvSO_,@function
_ZN7rocprim17ROCPRIM_400000_NS6detail17trampoline_kernelINS0_14default_configENS1_38merge_sort_block_merge_config_selectorIjN6thrust23THRUST_200600_302600_NS5tupleIffNS6_9null_typeES8_S8_S8_S8_S8_S8_S8_EEEEZZNS1_27merge_sort_block_merge_implIS3_NS6_6detail15normal_iteratorINS6_10device_ptrIjEEEENSD_INSE_IS9_EEEEjNS1_19radix_merge_compareILb0ELb0EjNS0_19identity_decomposerEEEEE10hipError_tT0_T1_T2_jT3_P12ihipStream_tbPNSt15iterator_traitsISN_E10value_typeEPNST_ISO_E10value_typeEPSP_NS1_7vsmem_tEENKUlT_SN_SO_SP_E_clIPjSG_PS9_SI_EESM_S12_SN_SO_SP_EUlS12_E1_NS1_11comp_targetILNS1_3genE8ELNS1_11target_archE1030ELNS1_3gpuE2ELNS1_3repE0EEENS1_36merge_oddeven_config_static_selectorELNS0_4arch9wavefront6targetE0EEEvSO_: ; @_ZN7rocprim17ROCPRIM_400000_NS6detail17trampoline_kernelINS0_14default_configENS1_38merge_sort_block_merge_config_selectorIjN6thrust23THRUST_200600_302600_NS5tupleIffNS6_9null_typeES8_S8_S8_S8_S8_S8_S8_EEEEZZNS1_27merge_sort_block_merge_implIS3_NS6_6detail15normal_iteratorINS6_10device_ptrIjEEEENSD_INSE_IS9_EEEEjNS1_19radix_merge_compareILb0ELb0EjNS0_19identity_decomposerEEEEE10hipError_tT0_T1_T2_jT3_P12ihipStream_tbPNSt15iterator_traitsISN_E10value_typeEPNST_ISO_E10value_typeEPSP_NS1_7vsmem_tEENKUlT_SN_SO_SP_E_clIPjSG_PS9_SI_EESM_S12_SN_SO_SP_EUlS12_E1_NS1_11comp_targetILNS1_3genE8ELNS1_11target_archE1030ELNS1_3gpuE2ELNS1_3repE0EEENS1_36merge_oddeven_config_static_selectorELNS0_4arch9wavefront6targetE0EEEvSO_
; %bb.0:
	s_load_dword s7, s[4:5], 0x20
	s_lshl_b32 s2, s6, 8
	s_waitcnt lgkmcnt(0)
	s_lshr_b32 s0, s7, 8
	s_cmp_eq_u32 s6, s0
	s_cselect_b32 s16, -1, 0
	s_cmp_lg_u32 s6, s0
	s_cselect_b32 s0, -1, 0
	s_sub_i32 s1, s7, s2
	v_cmp_gt_u32_e64 s1, s1, v0
	s_or_b32 s0, s0, s1
	s_and_saveexec_b32 s3, s0
	s_cbranch_execz .LBB48_24
; %bb.1:
	s_load_dwordx8 s[8:15], s[4:5], 0x0
	s_mov_b32 s3, 0
	v_lshlrev_b32_e32 v1, 2, v0
	s_lshl_b64 s[18:19], s[2:3], 2
	v_lshlrev_b32_e32 v2, 3, v0
	s_load_dword s4, s[4:5], 0x24
	v_add_nc_u32_e32 v3, s2, v0
	s_waitcnt lgkmcnt(0)
	s_add_u32 s18, s8, s18
	s_addc_u32 s19, s9, s19
	s_lshl_b64 s[20:21], s[2:3], 3
	s_mov_b32 s2, -1
	s_add_u32 s12, s12, s20
	s_addc_u32 s13, s13, s21
	global_load_dword v5, v1, s[18:19]
	global_load_dwordx2 v[1:2], v2, s[12:13]
	s_lshr_b32 s0, s4, 8
	s_sub_i32 s3, 0, s0
	s_and_b32 s3, s6, s3
	s_and_b32 s0, s3, s0
	s_lshl_b32 s5, s3, 8
	s_sub_i32 s3, 0, s4
	s_cmp_eq_u32 s0, 0
	s_cselect_b32 s0, -1, 0
	s_and_b32 s6, s0, exec_lo
	s_cselect_b32 s3, s4, s3
	s_add_i32 s3, s3, s5
	s_cmp_gt_u32 s7, s3
	s_cbranch_scc1 .LBB48_9
; %bb.2:
	s_and_b32 vcc_lo, exec_lo, s16
	s_cbranch_vccz .LBB48_6
; %bb.3:
	s_mov_b32 s2, exec_lo
	v_cmpx_gt_u32_e64 s7, v3
	s_cbranch_execz .LBB48_5
; %bb.4:
	v_mov_b32_e32 v4, 0
	v_lshlrev_b64 v[6:7], 2, v[3:4]
	v_lshlrev_b64 v[8:9], 3, v[3:4]
	v_add_co_u32 v6, vcc_lo, s10, v6
	v_add_co_ci_u32_e64 v7, null, s11, v7, vcc_lo
	v_add_co_u32 v8, vcc_lo, s14, v8
	v_add_co_ci_u32_e64 v9, null, s15, v9, vcc_lo
	s_waitcnt vmcnt(1)
	global_store_dword v[6:7], v5, off
	s_waitcnt vmcnt(0)
	global_store_dwordx2 v[8:9], v[1:2], off
.LBB48_5:
	s_or_b32 exec_lo, exec_lo, s2
	s_mov_b32 s2, 0
.LBB48_6:
	s_andn2_b32 vcc_lo, exec_lo, s2
	s_cbranch_vccnz .LBB48_8
; %bb.7:
	v_mov_b32_e32 v4, 0
	v_lshlrev_b64 v[6:7], 2, v[3:4]
	v_lshlrev_b64 v[8:9], 3, v[3:4]
	v_add_co_u32 v6, vcc_lo, s10, v6
	v_add_co_ci_u32_e64 v7, null, s11, v7, vcc_lo
	v_add_co_u32 v8, vcc_lo, s14, v8
	v_add_co_ci_u32_e64 v9, null, s15, v9, vcc_lo
	s_waitcnt vmcnt(1)
	global_store_dword v[6:7], v5, off
	s_waitcnt vmcnt(0)
	global_store_dwordx2 v[8:9], v[1:2], off
.LBB48_8:
	s_mov_b32 s2, 0
.LBB48_9:
	s_andn2_b32 vcc_lo, exec_lo, s2
	s_cbranch_vccnz .LBB48_24
; %bb.10:
	s_min_u32 s2, s3, s7
	s_and_b32 vcc_lo, exec_lo, s16
	s_add_i32 s6, s5, s2
	s_min_u32 s5, s5, s2
	v_subrev_nc_u32_e32 v0, s6, v3
	s_add_i32 s4, s2, s4
	s_min_u32 s4, s4, s7
	v_add_nc_u32_e32 v0, s5, v0
	s_mov_b32 s5, -1
	s_cbranch_vccz .LBB48_18
; %bb.11:
	s_and_saveexec_b32 s5, s1
	s_cbranch_execz .LBB48_17
; %bb.12:
	v_mov_b32_e32 v6, s2
	s_cmp_ge_u32 s3, s4
	s_cbranch_scc1 .LBB48_16
; %bb.13:
	v_mov_b32_e32 v7, s4
	v_mov_b32_e32 v6, s2
	;; [unrolled: 1-line block ×3, first 2 shown]
	s_mov_b32 s1, 0
	.p2align	6
.LBB48_14:                              ; =>This Inner Loop Header: Depth=1
	v_add_nc_u32_e32 v3, v6, v7
	v_lshrrev_b32_e32 v3, 1, v3
	v_lshlrev_b64 v[8:9], 2, v[3:4]
	v_add_co_u32 v8, vcc_lo, s8, v8
	v_add_co_ci_u32_e64 v9, null, s9, v9, vcc_lo
	global_load_dword v8, v[8:9], off
	s_waitcnt vmcnt(0)
	v_cmp_gt_u32_e32 vcc_lo, v5, v8
	v_cndmask_b32_e64 v9, 0, 1, vcc_lo
	v_cmp_le_u32_e32 vcc_lo, v8, v5
	v_cndmask_b32_e64 v8, 0, 1, vcc_lo
	v_cndmask_b32_e64 v8, v8, v9, s0
	v_add_nc_u32_e32 v9, 1, v3
	v_and_b32_e32 v8, 1, v8
	v_cmp_eq_u32_e32 vcc_lo, 1, v8
	v_cndmask_b32_e32 v7, v3, v7, vcc_lo
	v_cndmask_b32_e32 v6, v6, v9, vcc_lo
	v_cmp_ge_u32_e32 vcc_lo, v6, v7
	s_or_b32 s1, vcc_lo, s1
	s_andn2_b32 exec_lo, exec_lo, s1
	s_cbranch_execnz .LBB48_14
; %bb.15:
	s_or_b32 exec_lo, exec_lo, s1
.LBB48_16:
	v_add_nc_u32_e32 v3, v6, v0
	v_mov_b32_e32 v4, 0
	v_lshlrev_b64 v[6:7], 2, v[3:4]
	v_lshlrev_b64 v[3:4], 3, v[3:4]
	v_add_co_u32 v6, vcc_lo, s10, v6
	v_add_co_ci_u32_e64 v7, null, s11, v7, vcc_lo
	v_add_co_u32 v3, vcc_lo, s14, v3
	v_add_co_ci_u32_e64 v4, null, s15, v4, vcc_lo
	s_waitcnt vmcnt(1)
	global_store_dword v[6:7], v5, off
	s_waitcnt vmcnt(0)
	global_store_dwordx2 v[3:4], v[1:2], off
.LBB48_17:
	s_or_b32 exec_lo, exec_lo, s5
	s_mov_b32 s5, 0
.LBB48_18:
	s_andn2_b32 vcc_lo, exec_lo, s5
	s_cbranch_vccnz .LBB48_24
; %bb.19:
	v_mov_b32_e32 v6, s2
	s_cmp_ge_u32 s3, s4
	s_cbranch_scc1 .LBB48_23
; %bb.20:
	v_mov_b32_e32 v7, s4
	v_mov_b32_e32 v6, s2
	;; [unrolled: 1-line block ×3, first 2 shown]
	s_mov_b32 s1, 0
	.p2align	6
.LBB48_21:                              ; =>This Inner Loop Header: Depth=1
	v_add_nc_u32_e32 v3, v6, v7
	v_lshrrev_b32_e32 v3, 1, v3
	v_lshlrev_b64 v[8:9], 2, v[3:4]
	v_add_co_u32 v8, vcc_lo, s8, v8
	v_add_co_ci_u32_e64 v9, null, s9, v9, vcc_lo
	global_load_dword v8, v[8:9], off
	s_waitcnt vmcnt(0)
	v_cmp_gt_u32_e32 vcc_lo, v5, v8
	v_cndmask_b32_e64 v9, 0, 1, vcc_lo
	v_cmp_le_u32_e32 vcc_lo, v8, v5
	v_cndmask_b32_e64 v8, 0, 1, vcc_lo
	v_cndmask_b32_e64 v8, v8, v9, s0
	v_add_nc_u32_e32 v9, 1, v3
	v_and_b32_e32 v8, 1, v8
	v_cmp_eq_u32_e32 vcc_lo, 1, v8
	v_cndmask_b32_e32 v7, v3, v7, vcc_lo
	v_cndmask_b32_e32 v6, v6, v9, vcc_lo
	v_cmp_ge_u32_e32 vcc_lo, v6, v7
	s_or_b32 s1, vcc_lo, s1
	s_andn2_b32 exec_lo, exec_lo, s1
	s_cbranch_execnz .LBB48_21
; %bb.22:
	s_or_b32 exec_lo, exec_lo, s1
.LBB48_23:
	v_add_nc_u32_e32 v3, v6, v0
	v_mov_b32_e32 v4, 0
	v_lshlrev_b64 v[6:7], 2, v[3:4]
	v_lshlrev_b64 v[3:4], 3, v[3:4]
	v_add_co_u32 v6, vcc_lo, s10, v6
	v_add_co_ci_u32_e64 v7, null, s11, v7, vcc_lo
	v_add_co_u32 v3, vcc_lo, s14, v3
	v_add_co_ci_u32_e64 v4, null, s15, v4, vcc_lo
	s_waitcnt vmcnt(1)
	global_store_dword v[6:7], v5, off
	s_waitcnt vmcnt(0)
	global_store_dwordx2 v[3:4], v[1:2], off
.LBB48_24:
	s_endpgm
	.section	.rodata,"a",@progbits
	.p2align	6, 0x0
	.amdhsa_kernel _ZN7rocprim17ROCPRIM_400000_NS6detail17trampoline_kernelINS0_14default_configENS1_38merge_sort_block_merge_config_selectorIjN6thrust23THRUST_200600_302600_NS5tupleIffNS6_9null_typeES8_S8_S8_S8_S8_S8_S8_EEEEZZNS1_27merge_sort_block_merge_implIS3_NS6_6detail15normal_iteratorINS6_10device_ptrIjEEEENSD_INSE_IS9_EEEEjNS1_19radix_merge_compareILb0ELb0EjNS0_19identity_decomposerEEEEE10hipError_tT0_T1_T2_jT3_P12ihipStream_tbPNSt15iterator_traitsISN_E10value_typeEPNST_ISO_E10value_typeEPSP_NS1_7vsmem_tEENKUlT_SN_SO_SP_E_clIPjSG_PS9_SI_EESM_S12_SN_SO_SP_EUlS12_E1_NS1_11comp_targetILNS1_3genE8ELNS1_11target_archE1030ELNS1_3gpuE2ELNS1_3repE0EEENS1_36merge_oddeven_config_static_selectorELNS0_4arch9wavefront6targetE0EEEvSO_
		.amdhsa_group_segment_fixed_size 0
		.amdhsa_private_segment_fixed_size 0
		.amdhsa_kernarg_size 48
		.amdhsa_user_sgpr_count 6
		.amdhsa_user_sgpr_private_segment_buffer 1
		.amdhsa_user_sgpr_dispatch_ptr 0
		.amdhsa_user_sgpr_queue_ptr 0
		.amdhsa_user_sgpr_kernarg_segment_ptr 1
		.amdhsa_user_sgpr_dispatch_id 0
		.amdhsa_user_sgpr_flat_scratch_init 0
		.amdhsa_user_sgpr_private_segment_size 0
		.amdhsa_wavefront_size32 1
		.amdhsa_uses_dynamic_stack 0
		.amdhsa_system_sgpr_private_segment_wavefront_offset 0
		.amdhsa_system_sgpr_workgroup_id_x 1
		.amdhsa_system_sgpr_workgroup_id_y 0
		.amdhsa_system_sgpr_workgroup_id_z 0
		.amdhsa_system_sgpr_workgroup_info 0
		.amdhsa_system_vgpr_workitem_id 0
		.amdhsa_next_free_vgpr 10
		.amdhsa_next_free_sgpr 22
		.amdhsa_reserve_vcc 1
		.amdhsa_reserve_flat_scratch 0
		.amdhsa_float_round_mode_32 0
		.amdhsa_float_round_mode_16_64 0
		.amdhsa_float_denorm_mode_32 3
		.amdhsa_float_denorm_mode_16_64 3
		.amdhsa_dx10_clamp 1
		.amdhsa_ieee_mode 1
		.amdhsa_fp16_overflow 0
		.amdhsa_workgroup_processor_mode 1
		.amdhsa_memory_ordered 1
		.amdhsa_forward_progress 1
		.amdhsa_shared_vgpr_count 0
		.amdhsa_exception_fp_ieee_invalid_op 0
		.amdhsa_exception_fp_denorm_src 0
		.amdhsa_exception_fp_ieee_div_zero 0
		.amdhsa_exception_fp_ieee_overflow 0
		.amdhsa_exception_fp_ieee_underflow 0
		.amdhsa_exception_fp_ieee_inexact 0
		.amdhsa_exception_int_div_zero 0
	.end_amdhsa_kernel
	.section	.text._ZN7rocprim17ROCPRIM_400000_NS6detail17trampoline_kernelINS0_14default_configENS1_38merge_sort_block_merge_config_selectorIjN6thrust23THRUST_200600_302600_NS5tupleIffNS6_9null_typeES8_S8_S8_S8_S8_S8_S8_EEEEZZNS1_27merge_sort_block_merge_implIS3_NS6_6detail15normal_iteratorINS6_10device_ptrIjEEEENSD_INSE_IS9_EEEEjNS1_19radix_merge_compareILb0ELb0EjNS0_19identity_decomposerEEEEE10hipError_tT0_T1_T2_jT3_P12ihipStream_tbPNSt15iterator_traitsISN_E10value_typeEPNST_ISO_E10value_typeEPSP_NS1_7vsmem_tEENKUlT_SN_SO_SP_E_clIPjSG_PS9_SI_EESM_S12_SN_SO_SP_EUlS12_E1_NS1_11comp_targetILNS1_3genE8ELNS1_11target_archE1030ELNS1_3gpuE2ELNS1_3repE0EEENS1_36merge_oddeven_config_static_selectorELNS0_4arch9wavefront6targetE0EEEvSO_,"axG",@progbits,_ZN7rocprim17ROCPRIM_400000_NS6detail17trampoline_kernelINS0_14default_configENS1_38merge_sort_block_merge_config_selectorIjN6thrust23THRUST_200600_302600_NS5tupleIffNS6_9null_typeES8_S8_S8_S8_S8_S8_S8_EEEEZZNS1_27merge_sort_block_merge_implIS3_NS6_6detail15normal_iteratorINS6_10device_ptrIjEEEENSD_INSE_IS9_EEEEjNS1_19radix_merge_compareILb0ELb0EjNS0_19identity_decomposerEEEEE10hipError_tT0_T1_T2_jT3_P12ihipStream_tbPNSt15iterator_traitsISN_E10value_typeEPNST_ISO_E10value_typeEPSP_NS1_7vsmem_tEENKUlT_SN_SO_SP_E_clIPjSG_PS9_SI_EESM_S12_SN_SO_SP_EUlS12_E1_NS1_11comp_targetILNS1_3genE8ELNS1_11target_archE1030ELNS1_3gpuE2ELNS1_3repE0EEENS1_36merge_oddeven_config_static_selectorELNS0_4arch9wavefront6targetE0EEEvSO_,comdat
.Lfunc_end48:
	.size	_ZN7rocprim17ROCPRIM_400000_NS6detail17trampoline_kernelINS0_14default_configENS1_38merge_sort_block_merge_config_selectorIjN6thrust23THRUST_200600_302600_NS5tupleIffNS6_9null_typeES8_S8_S8_S8_S8_S8_S8_EEEEZZNS1_27merge_sort_block_merge_implIS3_NS6_6detail15normal_iteratorINS6_10device_ptrIjEEEENSD_INSE_IS9_EEEEjNS1_19radix_merge_compareILb0ELb0EjNS0_19identity_decomposerEEEEE10hipError_tT0_T1_T2_jT3_P12ihipStream_tbPNSt15iterator_traitsISN_E10value_typeEPNST_ISO_E10value_typeEPSP_NS1_7vsmem_tEENKUlT_SN_SO_SP_E_clIPjSG_PS9_SI_EESM_S12_SN_SO_SP_EUlS12_E1_NS1_11comp_targetILNS1_3genE8ELNS1_11target_archE1030ELNS1_3gpuE2ELNS1_3repE0EEENS1_36merge_oddeven_config_static_selectorELNS0_4arch9wavefront6targetE0EEEvSO_, .Lfunc_end48-_ZN7rocprim17ROCPRIM_400000_NS6detail17trampoline_kernelINS0_14default_configENS1_38merge_sort_block_merge_config_selectorIjN6thrust23THRUST_200600_302600_NS5tupleIffNS6_9null_typeES8_S8_S8_S8_S8_S8_S8_EEEEZZNS1_27merge_sort_block_merge_implIS3_NS6_6detail15normal_iteratorINS6_10device_ptrIjEEEENSD_INSE_IS9_EEEEjNS1_19radix_merge_compareILb0ELb0EjNS0_19identity_decomposerEEEEE10hipError_tT0_T1_T2_jT3_P12ihipStream_tbPNSt15iterator_traitsISN_E10value_typeEPNST_ISO_E10value_typeEPSP_NS1_7vsmem_tEENKUlT_SN_SO_SP_E_clIPjSG_PS9_SI_EESM_S12_SN_SO_SP_EUlS12_E1_NS1_11comp_targetILNS1_3genE8ELNS1_11target_archE1030ELNS1_3gpuE2ELNS1_3repE0EEENS1_36merge_oddeven_config_static_selectorELNS0_4arch9wavefront6targetE0EEEvSO_
                                        ; -- End function
	.set _ZN7rocprim17ROCPRIM_400000_NS6detail17trampoline_kernelINS0_14default_configENS1_38merge_sort_block_merge_config_selectorIjN6thrust23THRUST_200600_302600_NS5tupleIffNS6_9null_typeES8_S8_S8_S8_S8_S8_S8_EEEEZZNS1_27merge_sort_block_merge_implIS3_NS6_6detail15normal_iteratorINS6_10device_ptrIjEEEENSD_INSE_IS9_EEEEjNS1_19radix_merge_compareILb0ELb0EjNS0_19identity_decomposerEEEEE10hipError_tT0_T1_T2_jT3_P12ihipStream_tbPNSt15iterator_traitsISN_E10value_typeEPNST_ISO_E10value_typeEPSP_NS1_7vsmem_tEENKUlT_SN_SO_SP_E_clIPjSG_PS9_SI_EESM_S12_SN_SO_SP_EUlS12_E1_NS1_11comp_targetILNS1_3genE8ELNS1_11target_archE1030ELNS1_3gpuE2ELNS1_3repE0EEENS1_36merge_oddeven_config_static_selectorELNS0_4arch9wavefront6targetE0EEEvSO_.num_vgpr, 10
	.set _ZN7rocprim17ROCPRIM_400000_NS6detail17trampoline_kernelINS0_14default_configENS1_38merge_sort_block_merge_config_selectorIjN6thrust23THRUST_200600_302600_NS5tupleIffNS6_9null_typeES8_S8_S8_S8_S8_S8_S8_EEEEZZNS1_27merge_sort_block_merge_implIS3_NS6_6detail15normal_iteratorINS6_10device_ptrIjEEEENSD_INSE_IS9_EEEEjNS1_19radix_merge_compareILb0ELb0EjNS0_19identity_decomposerEEEEE10hipError_tT0_T1_T2_jT3_P12ihipStream_tbPNSt15iterator_traitsISN_E10value_typeEPNST_ISO_E10value_typeEPSP_NS1_7vsmem_tEENKUlT_SN_SO_SP_E_clIPjSG_PS9_SI_EESM_S12_SN_SO_SP_EUlS12_E1_NS1_11comp_targetILNS1_3genE8ELNS1_11target_archE1030ELNS1_3gpuE2ELNS1_3repE0EEENS1_36merge_oddeven_config_static_selectorELNS0_4arch9wavefront6targetE0EEEvSO_.num_agpr, 0
	.set _ZN7rocprim17ROCPRIM_400000_NS6detail17trampoline_kernelINS0_14default_configENS1_38merge_sort_block_merge_config_selectorIjN6thrust23THRUST_200600_302600_NS5tupleIffNS6_9null_typeES8_S8_S8_S8_S8_S8_S8_EEEEZZNS1_27merge_sort_block_merge_implIS3_NS6_6detail15normal_iteratorINS6_10device_ptrIjEEEENSD_INSE_IS9_EEEEjNS1_19radix_merge_compareILb0ELb0EjNS0_19identity_decomposerEEEEE10hipError_tT0_T1_T2_jT3_P12ihipStream_tbPNSt15iterator_traitsISN_E10value_typeEPNST_ISO_E10value_typeEPSP_NS1_7vsmem_tEENKUlT_SN_SO_SP_E_clIPjSG_PS9_SI_EESM_S12_SN_SO_SP_EUlS12_E1_NS1_11comp_targetILNS1_3genE8ELNS1_11target_archE1030ELNS1_3gpuE2ELNS1_3repE0EEENS1_36merge_oddeven_config_static_selectorELNS0_4arch9wavefront6targetE0EEEvSO_.numbered_sgpr, 22
	.set _ZN7rocprim17ROCPRIM_400000_NS6detail17trampoline_kernelINS0_14default_configENS1_38merge_sort_block_merge_config_selectorIjN6thrust23THRUST_200600_302600_NS5tupleIffNS6_9null_typeES8_S8_S8_S8_S8_S8_S8_EEEEZZNS1_27merge_sort_block_merge_implIS3_NS6_6detail15normal_iteratorINS6_10device_ptrIjEEEENSD_INSE_IS9_EEEEjNS1_19radix_merge_compareILb0ELb0EjNS0_19identity_decomposerEEEEE10hipError_tT0_T1_T2_jT3_P12ihipStream_tbPNSt15iterator_traitsISN_E10value_typeEPNST_ISO_E10value_typeEPSP_NS1_7vsmem_tEENKUlT_SN_SO_SP_E_clIPjSG_PS9_SI_EESM_S12_SN_SO_SP_EUlS12_E1_NS1_11comp_targetILNS1_3genE8ELNS1_11target_archE1030ELNS1_3gpuE2ELNS1_3repE0EEENS1_36merge_oddeven_config_static_selectorELNS0_4arch9wavefront6targetE0EEEvSO_.num_named_barrier, 0
	.set _ZN7rocprim17ROCPRIM_400000_NS6detail17trampoline_kernelINS0_14default_configENS1_38merge_sort_block_merge_config_selectorIjN6thrust23THRUST_200600_302600_NS5tupleIffNS6_9null_typeES8_S8_S8_S8_S8_S8_S8_EEEEZZNS1_27merge_sort_block_merge_implIS3_NS6_6detail15normal_iteratorINS6_10device_ptrIjEEEENSD_INSE_IS9_EEEEjNS1_19radix_merge_compareILb0ELb0EjNS0_19identity_decomposerEEEEE10hipError_tT0_T1_T2_jT3_P12ihipStream_tbPNSt15iterator_traitsISN_E10value_typeEPNST_ISO_E10value_typeEPSP_NS1_7vsmem_tEENKUlT_SN_SO_SP_E_clIPjSG_PS9_SI_EESM_S12_SN_SO_SP_EUlS12_E1_NS1_11comp_targetILNS1_3genE8ELNS1_11target_archE1030ELNS1_3gpuE2ELNS1_3repE0EEENS1_36merge_oddeven_config_static_selectorELNS0_4arch9wavefront6targetE0EEEvSO_.private_seg_size, 0
	.set _ZN7rocprim17ROCPRIM_400000_NS6detail17trampoline_kernelINS0_14default_configENS1_38merge_sort_block_merge_config_selectorIjN6thrust23THRUST_200600_302600_NS5tupleIffNS6_9null_typeES8_S8_S8_S8_S8_S8_S8_EEEEZZNS1_27merge_sort_block_merge_implIS3_NS6_6detail15normal_iteratorINS6_10device_ptrIjEEEENSD_INSE_IS9_EEEEjNS1_19radix_merge_compareILb0ELb0EjNS0_19identity_decomposerEEEEE10hipError_tT0_T1_T2_jT3_P12ihipStream_tbPNSt15iterator_traitsISN_E10value_typeEPNST_ISO_E10value_typeEPSP_NS1_7vsmem_tEENKUlT_SN_SO_SP_E_clIPjSG_PS9_SI_EESM_S12_SN_SO_SP_EUlS12_E1_NS1_11comp_targetILNS1_3genE8ELNS1_11target_archE1030ELNS1_3gpuE2ELNS1_3repE0EEENS1_36merge_oddeven_config_static_selectorELNS0_4arch9wavefront6targetE0EEEvSO_.uses_vcc, 1
	.set _ZN7rocprim17ROCPRIM_400000_NS6detail17trampoline_kernelINS0_14default_configENS1_38merge_sort_block_merge_config_selectorIjN6thrust23THRUST_200600_302600_NS5tupleIffNS6_9null_typeES8_S8_S8_S8_S8_S8_S8_EEEEZZNS1_27merge_sort_block_merge_implIS3_NS6_6detail15normal_iteratorINS6_10device_ptrIjEEEENSD_INSE_IS9_EEEEjNS1_19radix_merge_compareILb0ELb0EjNS0_19identity_decomposerEEEEE10hipError_tT0_T1_T2_jT3_P12ihipStream_tbPNSt15iterator_traitsISN_E10value_typeEPNST_ISO_E10value_typeEPSP_NS1_7vsmem_tEENKUlT_SN_SO_SP_E_clIPjSG_PS9_SI_EESM_S12_SN_SO_SP_EUlS12_E1_NS1_11comp_targetILNS1_3genE8ELNS1_11target_archE1030ELNS1_3gpuE2ELNS1_3repE0EEENS1_36merge_oddeven_config_static_selectorELNS0_4arch9wavefront6targetE0EEEvSO_.uses_flat_scratch, 0
	.set _ZN7rocprim17ROCPRIM_400000_NS6detail17trampoline_kernelINS0_14default_configENS1_38merge_sort_block_merge_config_selectorIjN6thrust23THRUST_200600_302600_NS5tupleIffNS6_9null_typeES8_S8_S8_S8_S8_S8_S8_EEEEZZNS1_27merge_sort_block_merge_implIS3_NS6_6detail15normal_iteratorINS6_10device_ptrIjEEEENSD_INSE_IS9_EEEEjNS1_19radix_merge_compareILb0ELb0EjNS0_19identity_decomposerEEEEE10hipError_tT0_T1_T2_jT3_P12ihipStream_tbPNSt15iterator_traitsISN_E10value_typeEPNST_ISO_E10value_typeEPSP_NS1_7vsmem_tEENKUlT_SN_SO_SP_E_clIPjSG_PS9_SI_EESM_S12_SN_SO_SP_EUlS12_E1_NS1_11comp_targetILNS1_3genE8ELNS1_11target_archE1030ELNS1_3gpuE2ELNS1_3repE0EEENS1_36merge_oddeven_config_static_selectorELNS0_4arch9wavefront6targetE0EEEvSO_.has_dyn_sized_stack, 0
	.set _ZN7rocprim17ROCPRIM_400000_NS6detail17trampoline_kernelINS0_14default_configENS1_38merge_sort_block_merge_config_selectorIjN6thrust23THRUST_200600_302600_NS5tupleIffNS6_9null_typeES8_S8_S8_S8_S8_S8_S8_EEEEZZNS1_27merge_sort_block_merge_implIS3_NS6_6detail15normal_iteratorINS6_10device_ptrIjEEEENSD_INSE_IS9_EEEEjNS1_19radix_merge_compareILb0ELb0EjNS0_19identity_decomposerEEEEE10hipError_tT0_T1_T2_jT3_P12ihipStream_tbPNSt15iterator_traitsISN_E10value_typeEPNST_ISO_E10value_typeEPSP_NS1_7vsmem_tEENKUlT_SN_SO_SP_E_clIPjSG_PS9_SI_EESM_S12_SN_SO_SP_EUlS12_E1_NS1_11comp_targetILNS1_3genE8ELNS1_11target_archE1030ELNS1_3gpuE2ELNS1_3repE0EEENS1_36merge_oddeven_config_static_selectorELNS0_4arch9wavefront6targetE0EEEvSO_.has_recursion, 0
	.set _ZN7rocprim17ROCPRIM_400000_NS6detail17trampoline_kernelINS0_14default_configENS1_38merge_sort_block_merge_config_selectorIjN6thrust23THRUST_200600_302600_NS5tupleIffNS6_9null_typeES8_S8_S8_S8_S8_S8_S8_EEEEZZNS1_27merge_sort_block_merge_implIS3_NS6_6detail15normal_iteratorINS6_10device_ptrIjEEEENSD_INSE_IS9_EEEEjNS1_19radix_merge_compareILb0ELb0EjNS0_19identity_decomposerEEEEE10hipError_tT0_T1_T2_jT3_P12ihipStream_tbPNSt15iterator_traitsISN_E10value_typeEPNST_ISO_E10value_typeEPSP_NS1_7vsmem_tEENKUlT_SN_SO_SP_E_clIPjSG_PS9_SI_EESM_S12_SN_SO_SP_EUlS12_E1_NS1_11comp_targetILNS1_3genE8ELNS1_11target_archE1030ELNS1_3gpuE2ELNS1_3repE0EEENS1_36merge_oddeven_config_static_selectorELNS0_4arch9wavefront6targetE0EEEvSO_.has_indirect_call, 0
	.section	.AMDGPU.csdata,"",@progbits
; Kernel info:
; codeLenInByte = 968
; TotalNumSgprs: 24
; NumVgprs: 10
; ScratchSize: 0
; MemoryBound: 0
; FloatMode: 240
; IeeeMode: 1
; LDSByteSize: 0 bytes/workgroup (compile time only)
; SGPRBlocks: 0
; VGPRBlocks: 1
; NumSGPRsForWavesPerEU: 24
; NumVGPRsForWavesPerEU: 10
; Occupancy: 16
; WaveLimiterHint : 0
; COMPUTE_PGM_RSRC2:SCRATCH_EN: 0
; COMPUTE_PGM_RSRC2:USER_SGPR: 6
; COMPUTE_PGM_RSRC2:TRAP_HANDLER: 0
; COMPUTE_PGM_RSRC2:TGID_X_EN: 1
; COMPUTE_PGM_RSRC2:TGID_Y_EN: 0
; COMPUTE_PGM_RSRC2:TGID_Z_EN: 0
; COMPUTE_PGM_RSRC2:TIDIG_COMP_CNT: 0
	.section	.text._ZN7rocprim17ROCPRIM_400000_NS6detail17trampoline_kernelINS0_14default_configENS1_38merge_sort_block_merge_config_selectorIjN6thrust23THRUST_200600_302600_NS5tupleIffNS6_9null_typeES8_S8_S8_S8_S8_S8_S8_EEEEZZNS1_27merge_sort_block_merge_implIS3_NS6_6detail15normal_iteratorINS6_10device_ptrIjEEEENSD_INSE_IS9_EEEEjNS1_19radix_merge_compareILb0ELb0EjNS0_19identity_decomposerEEEEE10hipError_tT0_T1_T2_jT3_P12ihipStream_tbPNSt15iterator_traitsISN_E10value_typeEPNST_ISO_E10value_typeEPSP_NS1_7vsmem_tEENKUlT_SN_SO_SP_E_clISG_PjSI_PS9_EESM_S12_SN_SO_SP_EUlS12_E_NS1_11comp_targetILNS1_3genE0ELNS1_11target_archE4294967295ELNS1_3gpuE0ELNS1_3repE0EEENS1_48merge_mergepath_partition_config_static_selectorELNS0_4arch9wavefront6targetE0EEEvSO_,"axG",@progbits,_ZN7rocprim17ROCPRIM_400000_NS6detail17trampoline_kernelINS0_14default_configENS1_38merge_sort_block_merge_config_selectorIjN6thrust23THRUST_200600_302600_NS5tupleIffNS6_9null_typeES8_S8_S8_S8_S8_S8_S8_EEEEZZNS1_27merge_sort_block_merge_implIS3_NS6_6detail15normal_iteratorINS6_10device_ptrIjEEEENSD_INSE_IS9_EEEEjNS1_19radix_merge_compareILb0ELb0EjNS0_19identity_decomposerEEEEE10hipError_tT0_T1_T2_jT3_P12ihipStream_tbPNSt15iterator_traitsISN_E10value_typeEPNST_ISO_E10value_typeEPSP_NS1_7vsmem_tEENKUlT_SN_SO_SP_E_clISG_PjSI_PS9_EESM_S12_SN_SO_SP_EUlS12_E_NS1_11comp_targetILNS1_3genE0ELNS1_11target_archE4294967295ELNS1_3gpuE0ELNS1_3repE0EEENS1_48merge_mergepath_partition_config_static_selectorELNS0_4arch9wavefront6targetE0EEEvSO_,comdat
	.protected	_ZN7rocprim17ROCPRIM_400000_NS6detail17trampoline_kernelINS0_14default_configENS1_38merge_sort_block_merge_config_selectorIjN6thrust23THRUST_200600_302600_NS5tupleIffNS6_9null_typeES8_S8_S8_S8_S8_S8_S8_EEEEZZNS1_27merge_sort_block_merge_implIS3_NS6_6detail15normal_iteratorINS6_10device_ptrIjEEEENSD_INSE_IS9_EEEEjNS1_19radix_merge_compareILb0ELb0EjNS0_19identity_decomposerEEEEE10hipError_tT0_T1_T2_jT3_P12ihipStream_tbPNSt15iterator_traitsISN_E10value_typeEPNST_ISO_E10value_typeEPSP_NS1_7vsmem_tEENKUlT_SN_SO_SP_E_clISG_PjSI_PS9_EESM_S12_SN_SO_SP_EUlS12_E_NS1_11comp_targetILNS1_3genE0ELNS1_11target_archE4294967295ELNS1_3gpuE0ELNS1_3repE0EEENS1_48merge_mergepath_partition_config_static_selectorELNS0_4arch9wavefront6targetE0EEEvSO_ ; -- Begin function _ZN7rocprim17ROCPRIM_400000_NS6detail17trampoline_kernelINS0_14default_configENS1_38merge_sort_block_merge_config_selectorIjN6thrust23THRUST_200600_302600_NS5tupleIffNS6_9null_typeES8_S8_S8_S8_S8_S8_S8_EEEEZZNS1_27merge_sort_block_merge_implIS3_NS6_6detail15normal_iteratorINS6_10device_ptrIjEEEENSD_INSE_IS9_EEEEjNS1_19radix_merge_compareILb0ELb0EjNS0_19identity_decomposerEEEEE10hipError_tT0_T1_T2_jT3_P12ihipStream_tbPNSt15iterator_traitsISN_E10value_typeEPNST_ISO_E10value_typeEPSP_NS1_7vsmem_tEENKUlT_SN_SO_SP_E_clISG_PjSI_PS9_EESM_S12_SN_SO_SP_EUlS12_E_NS1_11comp_targetILNS1_3genE0ELNS1_11target_archE4294967295ELNS1_3gpuE0ELNS1_3repE0EEENS1_48merge_mergepath_partition_config_static_selectorELNS0_4arch9wavefront6targetE0EEEvSO_
	.globl	_ZN7rocprim17ROCPRIM_400000_NS6detail17trampoline_kernelINS0_14default_configENS1_38merge_sort_block_merge_config_selectorIjN6thrust23THRUST_200600_302600_NS5tupleIffNS6_9null_typeES8_S8_S8_S8_S8_S8_S8_EEEEZZNS1_27merge_sort_block_merge_implIS3_NS6_6detail15normal_iteratorINS6_10device_ptrIjEEEENSD_INSE_IS9_EEEEjNS1_19radix_merge_compareILb0ELb0EjNS0_19identity_decomposerEEEEE10hipError_tT0_T1_T2_jT3_P12ihipStream_tbPNSt15iterator_traitsISN_E10value_typeEPNST_ISO_E10value_typeEPSP_NS1_7vsmem_tEENKUlT_SN_SO_SP_E_clISG_PjSI_PS9_EESM_S12_SN_SO_SP_EUlS12_E_NS1_11comp_targetILNS1_3genE0ELNS1_11target_archE4294967295ELNS1_3gpuE0ELNS1_3repE0EEENS1_48merge_mergepath_partition_config_static_selectorELNS0_4arch9wavefront6targetE0EEEvSO_
	.p2align	8
	.type	_ZN7rocprim17ROCPRIM_400000_NS6detail17trampoline_kernelINS0_14default_configENS1_38merge_sort_block_merge_config_selectorIjN6thrust23THRUST_200600_302600_NS5tupleIffNS6_9null_typeES8_S8_S8_S8_S8_S8_S8_EEEEZZNS1_27merge_sort_block_merge_implIS3_NS6_6detail15normal_iteratorINS6_10device_ptrIjEEEENSD_INSE_IS9_EEEEjNS1_19radix_merge_compareILb0ELb0EjNS0_19identity_decomposerEEEEE10hipError_tT0_T1_T2_jT3_P12ihipStream_tbPNSt15iterator_traitsISN_E10value_typeEPNST_ISO_E10value_typeEPSP_NS1_7vsmem_tEENKUlT_SN_SO_SP_E_clISG_PjSI_PS9_EESM_S12_SN_SO_SP_EUlS12_E_NS1_11comp_targetILNS1_3genE0ELNS1_11target_archE4294967295ELNS1_3gpuE0ELNS1_3repE0EEENS1_48merge_mergepath_partition_config_static_selectorELNS0_4arch9wavefront6targetE0EEEvSO_,@function
_ZN7rocprim17ROCPRIM_400000_NS6detail17trampoline_kernelINS0_14default_configENS1_38merge_sort_block_merge_config_selectorIjN6thrust23THRUST_200600_302600_NS5tupleIffNS6_9null_typeES8_S8_S8_S8_S8_S8_S8_EEEEZZNS1_27merge_sort_block_merge_implIS3_NS6_6detail15normal_iteratorINS6_10device_ptrIjEEEENSD_INSE_IS9_EEEEjNS1_19radix_merge_compareILb0ELb0EjNS0_19identity_decomposerEEEEE10hipError_tT0_T1_T2_jT3_P12ihipStream_tbPNSt15iterator_traitsISN_E10value_typeEPNST_ISO_E10value_typeEPSP_NS1_7vsmem_tEENKUlT_SN_SO_SP_E_clISG_PjSI_PS9_EESM_S12_SN_SO_SP_EUlS12_E_NS1_11comp_targetILNS1_3genE0ELNS1_11target_archE4294967295ELNS1_3gpuE0ELNS1_3repE0EEENS1_48merge_mergepath_partition_config_static_selectorELNS0_4arch9wavefront6targetE0EEEvSO_: ; @_ZN7rocprim17ROCPRIM_400000_NS6detail17trampoline_kernelINS0_14default_configENS1_38merge_sort_block_merge_config_selectorIjN6thrust23THRUST_200600_302600_NS5tupleIffNS6_9null_typeES8_S8_S8_S8_S8_S8_S8_EEEEZZNS1_27merge_sort_block_merge_implIS3_NS6_6detail15normal_iteratorINS6_10device_ptrIjEEEENSD_INSE_IS9_EEEEjNS1_19radix_merge_compareILb0ELb0EjNS0_19identity_decomposerEEEEE10hipError_tT0_T1_T2_jT3_P12ihipStream_tbPNSt15iterator_traitsISN_E10value_typeEPNST_ISO_E10value_typeEPSP_NS1_7vsmem_tEENKUlT_SN_SO_SP_E_clISG_PjSI_PS9_EESM_S12_SN_SO_SP_EUlS12_E_NS1_11comp_targetILNS1_3genE0ELNS1_11target_archE4294967295ELNS1_3gpuE0ELNS1_3repE0EEENS1_48merge_mergepath_partition_config_static_selectorELNS0_4arch9wavefront6targetE0EEEvSO_
; %bb.0:
	.section	.rodata,"a",@progbits
	.p2align	6, 0x0
	.amdhsa_kernel _ZN7rocprim17ROCPRIM_400000_NS6detail17trampoline_kernelINS0_14default_configENS1_38merge_sort_block_merge_config_selectorIjN6thrust23THRUST_200600_302600_NS5tupleIffNS6_9null_typeES8_S8_S8_S8_S8_S8_S8_EEEEZZNS1_27merge_sort_block_merge_implIS3_NS6_6detail15normal_iteratorINS6_10device_ptrIjEEEENSD_INSE_IS9_EEEEjNS1_19radix_merge_compareILb0ELb0EjNS0_19identity_decomposerEEEEE10hipError_tT0_T1_T2_jT3_P12ihipStream_tbPNSt15iterator_traitsISN_E10value_typeEPNST_ISO_E10value_typeEPSP_NS1_7vsmem_tEENKUlT_SN_SO_SP_E_clISG_PjSI_PS9_EESM_S12_SN_SO_SP_EUlS12_E_NS1_11comp_targetILNS1_3genE0ELNS1_11target_archE4294967295ELNS1_3gpuE0ELNS1_3repE0EEENS1_48merge_mergepath_partition_config_static_selectorELNS0_4arch9wavefront6targetE0EEEvSO_
		.amdhsa_group_segment_fixed_size 0
		.amdhsa_private_segment_fixed_size 0
		.amdhsa_kernarg_size 40
		.amdhsa_user_sgpr_count 6
		.amdhsa_user_sgpr_private_segment_buffer 1
		.amdhsa_user_sgpr_dispatch_ptr 0
		.amdhsa_user_sgpr_queue_ptr 0
		.amdhsa_user_sgpr_kernarg_segment_ptr 1
		.amdhsa_user_sgpr_dispatch_id 0
		.amdhsa_user_sgpr_flat_scratch_init 0
		.amdhsa_user_sgpr_private_segment_size 0
		.amdhsa_wavefront_size32 1
		.amdhsa_uses_dynamic_stack 0
		.amdhsa_system_sgpr_private_segment_wavefront_offset 0
		.amdhsa_system_sgpr_workgroup_id_x 1
		.amdhsa_system_sgpr_workgroup_id_y 0
		.amdhsa_system_sgpr_workgroup_id_z 0
		.amdhsa_system_sgpr_workgroup_info 0
		.amdhsa_system_vgpr_workitem_id 0
		.amdhsa_next_free_vgpr 1
		.amdhsa_next_free_sgpr 1
		.amdhsa_reserve_vcc 0
		.amdhsa_reserve_flat_scratch 0
		.amdhsa_float_round_mode_32 0
		.amdhsa_float_round_mode_16_64 0
		.amdhsa_float_denorm_mode_32 3
		.amdhsa_float_denorm_mode_16_64 3
		.amdhsa_dx10_clamp 1
		.amdhsa_ieee_mode 1
		.amdhsa_fp16_overflow 0
		.amdhsa_workgroup_processor_mode 1
		.amdhsa_memory_ordered 1
		.amdhsa_forward_progress 1
		.amdhsa_shared_vgpr_count 0
		.amdhsa_exception_fp_ieee_invalid_op 0
		.amdhsa_exception_fp_denorm_src 0
		.amdhsa_exception_fp_ieee_div_zero 0
		.amdhsa_exception_fp_ieee_overflow 0
		.amdhsa_exception_fp_ieee_underflow 0
		.amdhsa_exception_fp_ieee_inexact 0
		.amdhsa_exception_int_div_zero 0
	.end_amdhsa_kernel
	.section	.text._ZN7rocprim17ROCPRIM_400000_NS6detail17trampoline_kernelINS0_14default_configENS1_38merge_sort_block_merge_config_selectorIjN6thrust23THRUST_200600_302600_NS5tupleIffNS6_9null_typeES8_S8_S8_S8_S8_S8_S8_EEEEZZNS1_27merge_sort_block_merge_implIS3_NS6_6detail15normal_iteratorINS6_10device_ptrIjEEEENSD_INSE_IS9_EEEEjNS1_19radix_merge_compareILb0ELb0EjNS0_19identity_decomposerEEEEE10hipError_tT0_T1_T2_jT3_P12ihipStream_tbPNSt15iterator_traitsISN_E10value_typeEPNST_ISO_E10value_typeEPSP_NS1_7vsmem_tEENKUlT_SN_SO_SP_E_clISG_PjSI_PS9_EESM_S12_SN_SO_SP_EUlS12_E_NS1_11comp_targetILNS1_3genE0ELNS1_11target_archE4294967295ELNS1_3gpuE0ELNS1_3repE0EEENS1_48merge_mergepath_partition_config_static_selectorELNS0_4arch9wavefront6targetE0EEEvSO_,"axG",@progbits,_ZN7rocprim17ROCPRIM_400000_NS6detail17trampoline_kernelINS0_14default_configENS1_38merge_sort_block_merge_config_selectorIjN6thrust23THRUST_200600_302600_NS5tupleIffNS6_9null_typeES8_S8_S8_S8_S8_S8_S8_EEEEZZNS1_27merge_sort_block_merge_implIS3_NS6_6detail15normal_iteratorINS6_10device_ptrIjEEEENSD_INSE_IS9_EEEEjNS1_19radix_merge_compareILb0ELb0EjNS0_19identity_decomposerEEEEE10hipError_tT0_T1_T2_jT3_P12ihipStream_tbPNSt15iterator_traitsISN_E10value_typeEPNST_ISO_E10value_typeEPSP_NS1_7vsmem_tEENKUlT_SN_SO_SP_E_clISG_PjSI_PS9_EESM_S12_SN_SO_SP_EUlS12_E_NS1_11comp_targetILNS1_3genE0ELNS1_11target_archE4294967295ELNS1_3gpuE0ELNS1_3repE0EEENS1_48merge_mergepath_partition_config_static_selectorELNS0_4arch9wavefront6targetE0EEEvSO_,comdat
.Lfunc_end49:
	.size	_ZN7rocprim17ROCPRIM_400000_NS6detail17trampoline_kernelINS0_14default_configENS1_38merge_sort_block_merge_config_selectorIjN6thrust23THRUST_200600_302600_NS5tupleIffNS6_9null_typeES8_S8_S8_S8_S8_S8_S8_EEEEZZNS1_27merge_sort_block_merge_implIS3_NS6_6detail15normal_iteratorINS6_10device_ptrIjEEEENSD_INSE_IS9_EEEEjNS1_19radix_merge_compareILb0ELb0EjNS0_19identity_decomposerEEEEE10hipError_tT0_T1_T2_jT3_P12ihipStream_tbPNSt15iterator_traitsISN_E10value_typeEPNST_ISO_E10value_typeEPSP_NS1_7vsmem_tEENKUlT_SN_SO_SP_E_clISG_PjSI_PS9_EESM_S12_SN_SO_SP_EUlS12_E_NS1_11comp_targetILNS1_3genE0ELNS1_11target_archE4294967295ELNS1_3gpuE0ELNS1_3repE0EEENS1_48merge_mergepath_partition_config_static_selectorELNS0_4arch9wavefront6targetE0EEEvSO_, .Lfunc_end49-_ZN7rocprim17ROCPRIM_400000_NS6detail17trampoline_kernelINS0_14default_configENS1_38merge_sort_block_merge_config_selectorIjN6thrust23THRUST_200600_302600_NS5tupleIffNS6_9null_typeES8_S8_S8_S8_S8_S8_S8_EEEEZZNS1_27merge_sort_block_merge_implIS3_NS6_6detail15normal_iteratorINS6_10device_ptrIjEEEENSD_INSE_IS9_EEEEjNS1_19radix_merge_compareILb0ELb0EjNS0_19identity_decomposerEEEEE10hipError_tT0_T1_T2_jT3_P12ihipStream_tbPNSt15iterator_traitsISN_E10value_typeEPNST_ISO_E10value_typeEPSP_NS1_7vsmem_tEENKUlT_SN_SO_SP_E_clISG_PjSI_PS9_EESM_S12_SN_SO_SP_EUlS12_E_NS1_11comp_targetILNS1_3genE0ELNS1_11target_archE4294967295ELNS1_3gpuE0ELNS1_3repE0EEENS1_48merge_mergepath_partition_config_static_selectorELNS0_4arch9wavefront6targetE0EEEvSO_
                                        ; -- End function
	.set _ZN7rocprim17ROCPRIM_400000_NS6detail17trampoline_kernelINS0_14default_configENS1_38merge_sort_block_merge_config_selectorIjN6thrust23THRUST_200600_302600_NS5tupleIffNS6_9null_typeES8_S8_S8_S8_S8_S8_S8_EEEEZZNS1_27merge_sort_block_merge_implIS3_NS6_6detail15normal_iteratorINS6_10device_ptrIjEEEENSD_INSE_IS9_EEEEjNS1_19radix_merge_compareILb0ELb0EjNS0_19identity_decomposerEEEEE10hipError_tT0_T1_T2_jT3_P12ihipStream_tbPNSt15iterator_traitsISN_E10value_typeEPNST_ISO_E10value_typeEPSP_NS1_7vsmem_tEENKUlT_SN_SO_SP_E_clISG_PjSI_PS9_EESM_S12_SN_SO_SP_EUlS12_E_NS1_11comp_targetILNS1_3genE0ELNS1_11target_archE4294967295ELNS1_3gpuE0ELNS1_3repE0EEENS1_48merge_mergepath_partition_config_static_selectorELNS0_4arch9wavefront6targetE0EEEvSO_.num_vgpr, 0
	.set _ZN7rocprim17ROCPRIM_400000_NS6detail17trampoline_kernelINS0_14default_configENS1_38merge_sort_block_merge_config_selectorIjN6thrust23THRUST_200600_302600_NS5tupleIffNS6_9null_typeES8_S8_S8_S8_S8_S8_S8_EEEEZZNS1_27merge_sort_block_merge_implIS3_NS6_6detail15normal_iteratorINS6_10device_ptrIjEEEENSD_INSE_IS9_EEEEjNS1_19radix_merge_compareILb0ELb0EjNS0_19identity_decomposerEEEEE10hipError_tT0_T1_T2_jT3_P12ihipStream_tbPNSt15iterator_traitsISN_E10value_typeEPNST_ISO_E10value_typeEPSP_NS1_7vsmem_tEENKUlT_SN_SO_SP_E_clISG_PjSI_PS9_EESM_S12_SN_SO_SP_EUlS12_E_NS1_11comp_targetILNS1_3genE0ELNS1_11target_archE4294967295ELNS1_3gpuE0ELNS1_3repE0EEENS1_48merge_mergepath_partition_config_static_selectorELNS0_4arch9wavefront6targetE0EEEvSO_.num_agpr, 0
	.set _ZN7rocprim17ROCPRIM_400000_NS6detail17trampoline_kernelINS0_14default_configENS1_38merge_sort_block_merge_config_selectorIjN6thrust23THRUST_200600_302600_NS5tupleIffNS6_9null_typeES8_S8_S8_S8_S8_S8_S8_EEEEZZNS1_27merge_sort_block_merge_implIS3_NS6_6detail15normal_iteratorINS6_10device_ptrIjEEEENSD_INSE_IS9_EEEEjNS1_19radix_merge_compareILb0ELb0EjNS0_19identity_decomposerEEEEE10hipError_tT0_T1_T2_jT3_P12ihipStream_tbPNSt15iterator_traitsISN_E10value_typeEPNST_ISO_E10value_typeEPSP_NS1_7vsmem_tEENKUlT_SN_SO_SP_E_clISG_PjSI_PS9_EESM_S12_SN_SO_SP_EUlS12_E_NS1_11comp_targetILNS1_3genE0ELNS1_11target_archE4294967295ELNS1_3gpuE0ELNS1_3repE0EEENS1_48merge_mergepath_partition_config_static_selectorELNS0_4arch9wavefront6targetE0EEEvSO_.numbered_sgpr, 0
	.set _ZN7rocprim17ROCPRIM_400000_NS6detail17trampoline_kernelINS0_14default_configENS1_38merge_sort_block_merge_config_selectorIjN6thrust23THRUST_200600_302600_NS5tupleIffNS6_9null_typeES8_S8_S8_S8_S8_S8_S8_EEEEZZNS1_27merge_sort_block_merge_implIS3_NS6_6detail15normal_iteratorINS6_10device_ptrIjEEEENSD_INSE_IS9_EEEEjNS1_19radix_merge_compareILb0ELb0EjNS0_19identity_decomposerEEEEE10hipError_tT0_T1_T2_jT3_P12ihipStream_tbPNSt15iterator_traitsISN_E10value_typeEPNST_ISO_E10value_typeEPSP_NS1_7vsmem_tEENKUlT_SN_SO_SP_E_clISG_PjSI_PS9_EESM_S12_SN_SO_SP_EUlS12_E_NS1_11comp_targetILNS1_3genE0ELNS1_11target_archE4294967295ELNS1_3gpuE0ELNS1_3repE0EEENS1_48merge_mergepath_partition_config_static_selectorELNS0_4arch9wavefront6targetE0EEEvSO_.num_named_barrier, 0
	.set _ZN7rocprim17ROCPRIM_400000_NS6detail17trampoline_kernelINS0_14default_configENS1_38merge_sort_block_merge_config_selectorIjN6thrust23THRUST_200600_302600_NS5tupleIffNS6_9null_typeES8_S8_S8_S8_S8_S8_S8_EEEEZZNS1_27merge_sort_block_merge_implIS3_NS6_6detail15normal_iteratorINS6_10device_ptrIjEEEENSD_INSE_IS9_EEEEjNS1_19radix_merge_compareILb0ELb0EjNS0_19identity_decomposerEEEEE10hipError_tT0_T1_T2_jT3_P12ihipStream_tbPNSt15iterator_traitsISN_E10value_typeEPNST_ISO_E10value_typeEPSP_NS1_7vsmem_tEENKUlT_SN_SO_SP_E_clISG_PjSI_PS9_EESM_S12_SN_SO_SP_EUlS12_E_NS1_11comp_targetILNS1_3genE0ELNS1_11target_archE4294967295ELNS1_3gpuE0ELNS1_3repE0EEENS1_48merge_mergepath_partition_config_static_selectorELNS0_4arch9wavefront6targetE0EEEvSO_.private_seg_size, 0
	.set _ZN7rocprim17ROCPRIM_400000_NS6detail17trampoline_kernelINS0_14default_configENS1_38merge_sort_block_merge_config_selectorIjN6thrust23THRUST_200600_302600_NS5tupleIffNS6_9null_typeES8_S8_S8_S8_S8_S8_S8_EEEEZZNS1_27merge_sort_block_merge_implIS3_NS6_6detail15normal_iteratorINS6_10device_ptrIjEEEENSD_INSE_IS9_EEEEjNS1_19radix_merge_compareILb0ELb0EjNS0_19identity_decomposerEEEEE10hipError_tT0_T1_T2_jT3_P12ihipStream_tbPNSt15iterator_traitsISN_E10value_typeEPNST_ISO_E10value_typeEPSP_NS1_7vsmem_tEENKUlT_SN_SO_SP_E_clISG_PjSI_PS9_EESM_S12_SN_SO_SP_EUlS12_E_NS1_11comp_targetILNS1_3genE0ELNS1_11target_archE4294967295ELNS1_3gpuE0ELNS1_3repE0EEENS1_48merge_mergepath_partition_config_static_selectorELNS0_4arch9wavefront6targetE0EEEvSO_.uses_vcc, 0
	.set _ZN7rocprim17ROCPRIM_400000_NS6detail17trampoline_kernelINS0_14default_configENS1_38merge_sort_block_merge_config_selectorIjN6thrust23THRUST_200600_302600_NS5tupleIffNS6_9null_typeES8_S8_S8_S8_S8_S8_S8_EEEEZZNS1_27merge_sort_block_merge_implIS3_NS6_6detail15normal_iteratorINS6_10device_ptrIjEEEENSD_INSE_IS9_EEEEjNS1_19radix_merge_compareILb0ELb0EjNS0_19identity_decomposerEEEEE10hipError_tT0_T1_T2_jT3_P12ihipStream_tbPNSt15iterator_traitsISN_E10value_typeEPNST_ISO_E10value_typeEPSP_NS1_7vsmem_tEENKUlT_SN_SO_SP_E_clISG_PjSI_PS9_EESM_S12_SN_SO_SP_EUlS12_E_NS1_11comp_targetILNS1_3genE0ELNS1_11target_archE4294967295ELNS1_3gpuE0ELNS1_3repE0EEENS1_48merge_mergepath_partition_config_static_selectorELNS0_4arch9wavefront6targetE0EEEvSO_.uses_flat_scratch, 0
	.set _ZN7rocprim17ROCPRIM_400000_NS6detail17trampoline_kernelINS0_14default_configENS1_38merge_sort_block_merge_config_selectorIjN6thrust23THRUST_200600_302600_NS5tupleIffNS6_9null_typeES8_S8_S8_S8_S8_S8_S8_EEEEZZNS1_27merge_sort_block_merge_implIS3_NS6_6detail15normal_iteratorINS6_10device_ptrIjEEEENSD_INSE_IS9_EEEEjNS1_19radix_merge_compareILb0ELb0EjNS0_19identity_decomposerEEEEE10hipError_tT0_T1_T2_jT3_P12ihipStream_tbPNSt15iterator_traitsISN_E10value_typeEPNST_ISO_E10value_typeEPSP_NS1_7vsmem_tEENKUlT_SN_SO_SP_E_clISG_PjSI_PS9_EESM_S12_SN_SO_SP_EUlS12_E_NS1_11comp_targetILNS1_3genE0ELNS1_11target_archE4294967295ELNS1_3gpuE0ELNS1_3repE0EEENS1_48merge_mergepath_partition_config_static_selectorELNS0_4arch9wavefront6targetE0EEEvSO_.has_dyn_sized_stack, 0
	.set _ZN7rocprim17ROCPRIM_400000_NS6detail17trampoline_kernelINS0_14default_configENS1_38merge_sort_block_merge_config_selectorIjN6thrust23THRUST_200600_302600_NS5tupleIffNS6_9null_typeES8_S8_S8_S8_S8_S8_S8_EEEEZZNS1_27merge_sort_block_merge_implIS3_NS6_6detail15normal_iteratorINS6_10device_ptrIjEEEENSD_INSE_IS9_EEEEjNS1_19radix_merge_compareILb0ELb0EjNS0_19identity_decomposerEEEEE10hipError_tT0_T1_T2_jT3_P12ihipStream_tbPNSt15iterator_traitsISN_E10value_typeEPNST_ISO_E10value_typeEPSP_NS1_7vsmem_tEENKUlT_SN_SO_SP_E_clISG_PjSI_PS9_EESM_S12_SN_SO_SP_EUlS12_E_NS1_11comp_targetILNS1_3genE0ELNS1_11target_archE4294967295ELNS1_3gpuE0ELNS1_3repE0EEENS1_48merge_mergepath_partition_config_static_selectorELNS0_4arch9wavefront6targetE0EEEvSO_.has_recursion, 0
	.set _ZN7rocprim17ROCPRIM_400000_NS6detail17trampoline_kernelINS0_14default_configENS1_38merge_sort_block_merge_config_selectorIjN6thrust23THRUST_200600_302600_NS5tupleIffNS6_9null_typeES8_S8_S8_S8_S8_S8_S8_EEEEZZNS1_27merge_sort_block_merge_implIS3_NS6_6detail15normal_iteratorINS6_10device_ptrIjEEEENSD_INSE_IS9_EEEEjNS1_19radix_merge_compareILb0ELb0EjNS0_19identity_decomposerEEEEE10hipError_tT0_T1_T2_jT3_P12ihipStream_tbPNSt15iterator_traitsISN_E10value_typeEPNST_ISO_E10value_typeEPSP_NS1_7vsmem_tEENKUlT_SN_SO_SP_E_clISG_PjSI_PS9_EESM_S12_SN_SO_SP_EUlS12_E_NS1_11comp_targetILNS1_3genE0ELNS1_11target_archE4294967295ELNS1_3gpuE0ELNS1_3repE0EEENS1_48merge_mergepath_partition_config_static_selectorELNS0_4arch9wavefront6targetE0EEEvSO_.has_indirect_call, 0
	.section	.AMDGPU.csdata,"",@progbits
; Kernel info:
; codeLenInByte = 0
; TotalNumSgprs: 0
; NumVgprs: 0
; ScratchSize: 0
; MemoryBound: 0
; FloatMode: 240
; IeeeMode: 1
; LDSByteSize: 0 bytes/workgroup (compile time only)
; SGPRBlocks: 0
; VGPRBlocks: 0
; NumSGPRsForWavesPerEU: 1
; NumVGPRsForWavesPerEU: 1
; Occupancy: 16
; WaveLimiterHint : 0
; COMPUTE_PGM_RSRC2:SCRATCH_EN: 0
; COMPUTE_PGM_RSRC2:USER_SGPR: 6
; COMPUTE_PGM_RSRC2:TRAP_HANDLER: 0
; COMPUTE_PGM_RSRC2:TGID_X_EN: 1
; COMPUTE_PGM_RSRC2:TGID_Y_EN: 0
; COMPUTE_PGM_RSRC2:TGID_Z_EN: 0
; COMPUTE_PGM_RSRC2:TIDIG_COMP_CNT: 0
	.section	.text._ZN7rocprim17ROCPRIM_400000_NS6detail17trampoline_kernelINS0_14default_configENS1_38merge_sort_block_merge_config_selectorIjN6thrust23THRUST_200600_302600_NS5tupleIffNS6_9null_typeES8_S8_S8_S8_S8_S8_S8_EEEEZZNS1_27merge_sort_block_merge_implIS3_NS6_6detail15normal_iteratorINS6_10device_ptrIjEEEENSD_INSE_IS9_EEEEjNS1_19radix_merge_compareILb0ELb0EjNS0_19identity_decomposerEEEEE10hipError_tT0_T1_T2_jT3_P12ihipStream_tbPNSt15iterator_traitsISN_E10value_typeEPNST_ISO_E10value_typeEPSP_NS1_7vsmem_tEENKUlT_SN_SO_SP_E_clISG_PjSI_PS9_EESM_S12_SN_SO_SP_EUlS12_E_NS1_11comp_targetILNS1_3genE10ELNS1_11target_archE1201ELNS1_3gpuE5ELNS1_3repE0EEENS1_48merge_mergepath_partition_config_static_selectorELNS0_4arch9wavefront6targetE0EEEvSO_,"axG",@progbits,_ZN7rocprim17ROCPRIM_400000_NS6detail17trampoline_kernelINS0_14default_configENS1_38merge_sort_block_merge_config_selectorIjN6thrust23THRUST_200600_302600_NS5tupleIffNS6_9null_typeES8_S8_S8_S8_S8_S8_S8_EEEEZZNS1_27merge_sort_block_merge_implIS3_NS6_6detail15normal_iteratorINS6_10device_ptrIjEEEENSD_INSE_IS9_EEEEjNS1_19radix_merge_compareILb0ELb0EjNS0_19identity_decomposerEEEEE10hipError_tT0_T1_T2_jT3_P12ihipStream_tbPNSt15iterator_traitsISN_E10value_typeEPNST_ISO_E10value_typeEPSP_NS1_7vsmem_tEENKUlT_SN_SO_SP_E_clISG_PjSI_PS9_EESM_S12_SN_SO_SP_EUlS12_E_NS1_11comp_targetILNS1_3genE10ELNS1_11target_archE1201ELNS1_3gpuE5ELNS1_3repE0EEENS1_48merge_mergepath_partition_config_static_selectorELNS0_4arch9wavefront6targetE0EEEvSO_,comdat
	.protected	_ZN7rocprim17ROCPRIM_400000_NS6detail17trampoline_kernelINS0_14default_configENS1_38merge_sort_block_merge_config_selectorIjN6thrust23THRUST_200600_302600_NS5tupleIffNS6_9null_typeES8_S8_S8_S8_S8_S8_S8_EEEEZZNS1_27merge_sort_block_merge_implIS3_NS6_6detail15normal_iteratorINS6_10device_ptrIjEEEENSD_INSE_IS9_EEEEjNS1_19radix_merge_compareILb0ELb0EjNS0_19identity_decomposerEEEEE10hipError_tT0_T1_T2_jT3_P12ihipStream_tbPNSt15iterator_traitsISN_E10value_typeEPNST_ISO_E10value_typeEPSP_NS1_7vsmem_tEENKUlT_SN_SO_SP_E_clISG_PjSI_PS9_EESM_S12_SN_SO_SP_EUlS12_E_NS1_11comp_targetILNS1_3genE10ELNS1_11target_archE1201ELNS1_3gpuE5ELNS1_3repE0EEENS1_48merge_mergepath_partition_config_static_selectorELNS0_4arch9wavefront6targetE0EEEvSO_ ; -- Begin function _ZN7rocprim17ROCPRIM_400000_NS6detail17trampoline_kernelINS0_14default_configENS1_38merge_sort_block_merge_config_selectorIjN6thrust23THRUST_200600_302600_NS5tupleIffNS6_9null_typeES8_S8_S8_S8_S8_S8_S8_EEEEZZNS1_27merge_sort_block_merge_implIS3_NS6_6detail15normal_iteratorINS6_10device_ptrIjEEEENSD_INSE_IS9_EEEEjNS1_19radix_merge_compareILb0ELb0EjNS0_19identity_decomposerEEEEE10hipError_tT0_T1_T2_jT3_P12ihipStream_tbPNSt15iterator_traitsISN_E10value_typeEPNST_ISO_E10value_typeEPSP_NS1_7vsmem_tEENKUlT_SN_SO_SP_E_clISG_PjSI_PS9_EESM_S12_SN_SO_SP_EUlS12_E_NS1_11comp_targetILNS1_3genE10ELNS1_11target_archE1201ELNS1_3gpuE5ELNS1_3repE0EEENS1_48merge_mergepath_partition_config_static_selectorELNS0_4arch9wavefront6targetE0EEEvSO_
	.globl	_ZN7rocprim17ROCPRIM_400000_NS6detail17trampoline_kernelINS0_14default_configENS1_38merge_sort_block_merge_config_selectorIjN6thrust23THRUST_200600_302600_NS5tupleIffNS6_9null_typeES8_S8_S8_S8_S8_S8_S8_EEEEZZNS1_27merge_sort_block_merge_implIS3_NS6_6detail15normal_iteratorINS6_10device_ptrIjEEEENSD_INSE_IS9_EEEEjNS1_19radix_merge_compareILb0ELb0EjNS0_19identity_decomposerEEEEE10hipError_tT0_T1_T2_jT3_P12ihipStream_tbPNSt15iterator_traitsISN_E10value_typeEPNST_ISO_E10value_typeEPSP_NS1_7vsmem_tEENKUlT_SN_SO_SP_E_clISG_PjSI_PS9_EESM_S12_SN_SO_SP_EUlS12_E_NS1_11comp_targetILNS1_3genE10ELNS1_11target_archE1201ELNS1_3gpuE5ELNS1_3repE0EEENS1_48merge_mergepath_partition_config_static_selectorELNS0_4arch9wavefront6targetE0EEEvSO_
	.p2align	8
	.type	_ZN7rocprim17ROCPRIM_400000_NS6detail17trampoline_kernelINS0_14default_configENS1_38merge_sort_block_merge_config_selectorIjN6thrust23THRUST_200600_302600_NS5tupleIffNS6_9null_typeES8_S8_S8_S8_S8_S8_S8_EEEEZZNS1_27merge_sort_block_merge_implIS3_NS6_6detail15normal_iteratorINS6_10device_ptrIjEEEENSD_INSE_IS9_EEEEjNS1_19radix_merge_compareILb0ELb0EjNS0_19identity_decomposerEEEEE10hipError_tT0_T1_T2_jT3_P12ihipStream_tbPNSt15iterator_traitsISN_E10value_typeEPNST_ISO_E10value_typeEPSP_NS1_7vsmem_tEENKUlT_SN_SO_SP_E_clISG_PjSI_PS9_EESM_S12_SN_SO_SP_EUlS12_E_NS1_11comp_targetILNS1_3genE10ELNS1_11target_archE1201ELNS1_3gpuE5ELNS1_3repE0EEENS1_48merge_mergepath_partition_config_static_selectorELNS0_4arch9wavefront6targetE0EEEvSO_,@function
_ZN7rocprim17ROCPRIM_400000_NS6detail17trampoline_kernelINS0_14default_configENS1_38merge_sort_block_merge_config_selectorIjN6thrust23THRUST_200600_302600_NS5tupleIffNS6_9null_typeES8_S8_S8_S8_S8_S8_S8_EEEEZZNS1_27merge_sort_block_merge_implIS3_NS6_6detail15normal_iteratorINS6_10device_ptrIjEEEENSD_INSE_IS9_EEEEjNS1_19radix_merge_compareILb0ELb0EjNS0_19identity_decomposerEEEEE10hipError_tT0_T1_T2_jT3_P12ihipStream_tbPNSt15iterator_traitsISN_E10value_typeEPNST_ISO_E10value_typeEPSP_NS1_7vsmem_tEENKUlT_SN_SO_SP_E_clISG_PjSI_PS9_EESM_S12_SN_SO_SP_EUlS12_E_NS1_11comp_targetILNS1_3genE10ELNS1_11target_archE1201ELNS1_3gpuE5ELNS1_3repE0EEENS1_48merge_mergepath_partition_config_static_selectorELNS0_4arch9wavefront6targetE0EEEvSO_: ; @_ZN7rocprim17ROCPRIM_400000_NS6detail17trampoline_kernelINS0_14default_configENS1_38merge_sort_block_merge_config_selectorIjN6thrust23THRUST_200600_302600_NS5tupleIffNS6_9null_typeES8_S8_S8_S8_S8_S8_S8_EEEEZZNS1_27merge_sort_block_merge_implIS3_NS6_6detail15normal_iteratorINS6_10device_ptrIjEEEENSD_INSE_IS9_EEEEjNS1_19radix_merge_compareILb0ELb0EjNS0_19identity_decomposerEEEEE10hipError_tT0_T1_T2_jT3_P12ihipStream_tbPNSt15iterator_traitsISN_E10value_typeEPNST_ISO_E10value_typeEPSP_NS1_7vsmem_tEENKUlT_SN_SO_SP_E_clISG_PjSI_PS9_EESM_S12_SN_SO_SP_EUlS12_E_NS1_11comp_targetILNS1_3genE10ELNS1_11target_archE1201ELNS1_3gpuE5ELNS1_3repE0EEENS1_48merge_mergepath_partition_config_static_selectorELNS0_4arch9wavefront6targetE0EEEvSO_
; %bb.0:
	.section	.rodata,"a",@progbits
	.p2align	6, 0x0
	.amdhsa_kernel _ZN7rocprim17ROCPRIM_400000_NS6detail17trampoline_kernelINS0_14default_configENS1_38merge_sort_block_merge_config_selectorIjN6thrust23THRUST_200600_302600_NS5tupleIffNS6_9null_typeES8_S8_S8_S8_S8_S8_S8_EEEEZZNS1_27merge_sort_block_merge_implIS3_NS6_6detail15normal_iteratorINS6_10device_ptrIjEEEENSD_INSE_IS9_EEEEjNS1_19radix_merge_compareILb0ELb0EjNS0_19identity_decomposerEEEEE10hipError_tT0_T1_T2_jT3_P12ihipStream_tbPNSt15iterator_traitsISN_E10value_typeEPNST_ISO_E10value_typeEPSP_NS1_7vsmem_tEENKUlT_SN_SO_SP_E_clISG_PjSI_PS9_EESM_S12_SN_SO_SP_EUlS12_E_NS1_11comp_targetILNS1_3genE10ELNS1_11target_archE1201ELNS1_3gpuE5ELNS1_3repE0EEENS1_48merge_mergepath_partition_config_static_selectorELNS0_4arch9wavefront6targetE0EEEvSO_
		.amdhsa_group_segment_fixed_size 0
		.amdhsa_private_segment_fixed_size 0
		.amdhsa_kernarg_size 40
		.amdhsa_user_sgpr_count 6
		.amdhsa_user_sgpr_private_segment_buffer 1
		.amdhsa_user_sgpr_dispatch_ptr 0
		.amdhsa_user_sgpr_queue_ptr 0
		.amdhsa_user_sgpr_kernarg_segment_ptr 1
		.amdhsa_user_sgpr_dispatch_id 0
		.amdhsa_user_sgpr_flat_scratch_init 0
		.amdhsa_user_sgpr_private_segment_size 0
		.amdhsa_wavefront_size32 1
		.amdhsa_uses_dynamic_stack 0
		.amdhsa_system_sgpr_private_segment_wavefront_offset 0
		.amdhsa_system_sgpr_workgroup_id_x 1
		.amdhsa_system_sgpr_workgroup_id_y 0
		.amdhsa_system_sgpr_workgroup_id_z 0
		.amdhsa_system_sgpr_workgroup_info 0
		.amdhsa_system_vgpr_workitem_id 0
		.amdhsa_next_free_vgpr 1
		.amdhsa_next_free_sgpr 1
		.amdhsa_reserve_vcc 0
		.amdhsa_reserve_flat_scratch 0
		.amdhsa_float_round_mode_32 0
		.amdhsa_float_round_mode_16_64 0
		.amdhsa_float_denorm_mode_32 3
		.amdhsa_float_denorm_mode_16_64 3
		.amdhsa_dx10_clamp 1
		.amdhsa_ieee_mode 1
		.amdhsa_fp16_overflow 0
		.amdhsa_workgroup_processor_mode 1
		.amdhsa_memory_ordered 1
		.amdhsa_forward_progress 1
		.amdhsa_shared_vgpr_count 0
		.amdhsa_exception_fp_ieee_invalid_op 0
		.amdhsa_exception_fp_denorm_src 0
		.amdhsa_exception_fp_ieee_div_zero 0
		.amdhsa_exception_fp_ieee_overflow 0
		.amdhsa_exception_fp_ieee_underflow 0
		.amdhsa_exception_fp_ieee_inexact 0
		.amdhsa_exception_int_div_zero 0
	.end_amdhsa_kernel
	.section	.text._ZN7rocprim17ROCPRIM_400000_NS6detail17trampoline_kernelINS0_14default_configENS1_38merge_sort_block_merge_config_selectorIjN6thrust23THRUST_200600_302600_NS5tupleIffNS6_9null_typeES8_S8_S8_S8_S8_S8_S8_EEEEZZNS1_27merge_sort_block_merge_implIS3_NS6_6detail15normal_iteratorINS6_10device_ptrIjEEEENSD_INSE_IS9_EEEEjNS1_19radix_merge_compareILb0ELb0EjNS0_19identity_decomposerEEEEE10hipError_tT0_T1_T2_jT3_P12ihipStream_tbPNSt15iterator_traitsISN_E10value_typeEPNST_ISO_E10value_typeEPSP_NS1_7vsmem_tEENKUlT_SN_SO_SP_E_clISG_PjSI_PS9_EESM_S12_SN_SO_SP_EUlS12_E_NS1_11comp_targetILNS1_3genE10ELNS1_11target_archE1201ELNS1_3gpuE5ELNS1_3repE0EEENS1_48merge_mergepath_partition_config_static_selectorELNS0_4arch9wavefront6targetE0EEEvSO_,"axG",@progbits,_ZN7rocprim17ROCPRIM_400000_NS6detail17trampoline_kernelINS0_14default_configENS1_38merge_sort_block_merge_config_selectorIjN6thrust23THRUST_200600_302600_NS5tupleIffNS6_9null_typeES8_S8_S8_S8_S8_S8_S8_EEEEZZNS1_27merge_sort_block_merge_implIS3_NS6_6detail15normal_iteratorINS6_10device_ptrIjEEEENSD_INSE_IS9_EEEEjNS1_19radix_merge_compareILb0ELb0EjNS0_19identity_decomposerEEEEE10hipError_tT0_T1_T2_jT3_P12ihipStream_tbPNSt15iterator_traitsISN_E10value_typeEPNST_ISO_E10value_typeEPSP_NS1_7vsmem_tEENKUlT_SN_SO_SP_E_clISG_PjSI_PS9_EESM_S12_SN_SO_SP_EUlS12_E_NS1_11comp_targetILNS1_3genE10ELNS1_11target_archE1201ELNS1_3gpuE5ELNS1_3repE0EEENS1_48merge_mergepath_partition_config_static_selectorELNS0_4arch9wavefront6targetE0EEEvSO_,comdat
.Lfunc_end50:
	.size	_ZN7rocprim17ROCPRIM_400000_NS6detail17trampoline_kernelINS0_14default_configENS1_38merge_sort_block_merge_config_selectorIjN6thrust23THRUST_200600_302600_NS5tupleIffNS6_9null_typeES8_S8_S8_S8_S8_S8_S8_EEEEZZNS1_27merge_sort_block_merge_implIS3_NS6_6detail15normal_iteratorINS6_10device_ptrIjEEEENSD_INSE_IS9_EEEEjNS1_19radix_merge_compareILb0ELb0EjNS0_19identity_decomposerEEEEE10hipError_tT0_T1_T2_jT3_P12ihipStream_tbPNSt15iterator_traitsISN_E10value_typeEPNST_ISO_E10value_typeEPSP_NS1_7vsmem_tEENKUlT_SN_SO_SP_E_clISG_PjSI_PS9_EESM_S12_SN_SO_SP_EUlS12_E_NS1_11comp_targetILNS1_3genE10ELNS1_11target_archE1201ELNS1_3gpuE5ELNS1_3repE0EEENS1_48merge_mergepath_partition_config_static_selectorELNS0_4arch9wavefront6targetE0EEEvSO_, .Lfunc_end50-_ZN7rocprim17ROCPRIM_400000_NS6detail17trampoline_kernelINS0_14default_configENS1_38merge_sort_block_merge_config_selectorIjN6thrust23THRUST_200600_302600_NS5tupleIffNS6_9null_typeES8_S8_S8_S8_S8_S8_S8_EEEEZZNS1_27merge_sort_block_merge_implIS3_NS6_6detail15normal_iteratorINS6_10device_ptrIjEEEENSD_INSE_IS9_EEEEjNS1_19radix_merge_compareILb0ELb0EjNS0_19identity_decomposerEEEEE10hipError_tT0_T1_T2_jT3_P12ihipStream_tbPNSt15iterator_traitsISN_E10value_typeEPNST_ISO_E10value_typeEPSP_NS1_7vsmem_tEENKUlT_SN_SO_SP_E_clISG_PjSI_PS9_EESM_S12_SN_SO_SP_EUlS12_E_NS1_11comp_targetILNS1_3genE10ELNS1_11target_archE1201ELNS1_3gpuE5ELNS1_3repE0EEENS1_48merge_mergepath_partition_config_static_selectorELNS0_4arch9wavefront6targetE0EEEvSO_
                                        ; -- End function
	.set _ZN7rocprim17ROCPRIM_400000_NS6detail17trampoline_kernelINS0_14default_configENS1_38merge_sort_block_merge_config_selectorIjN6thrust23THRUST_200600_302600_NS5tupleIffNS6_9null_typeES8_S8_S8_S8_S8_S8_S8_EEEEZZNS1_27merge_sort_block_merge_implIS3_NS6_6detail15normal_iteratorINS6_10device_ptrIjEEEENSD_INSE_IS9_EEEEjNS1_19radix_merge_compareILb0ELb0EjNS0_19identity_decomposerEEEEE10hipError_tT0_T1_T2_jT3_P12ihipStream_tbPNSt15iterator_traitsISN_E10value_typeEPNST_ISO_E10value_typeEPSP_NS1_7vsmem_tEENKUlT_SN_SO_SP_E_clISG_PjSI_PS9_EESM_S12_SN_SO_SP_EUlS12_E_NS1_11comp_targetILNS1_3genE10ELNS1_11target_archE1201ELNS1_3gpuE5ELNS1_3repE0EEENS1_48merge_mergepath_partition_config_static_selectorELNS0_4arch9wavefront6targetE0EEEvSO_.num_vgpr, 0
	.set _ZN7rocprim17ROCPRIM_400000_NS6detail17trampoline_kernelINS0_14default_configENS1_38merge_sort_block_merge_config_selectorIjN6thrust23THRUST_200600_302600_NS5tupleIffNS6_9null_typeES8_S8_S8_S8_S8_S8_S8_EEEEZZNS1_27merge_sort_block_merge_implIS3_NS6_6detail15normal_iteratorINS6_10device_ptrIjEEEENSD_INSE_IS9_EEEEjNS1_19radix_merge_compareILb0ELb0EjNS0_19identity_decomposerEEEEE10hipError_tT0_T1_T2_jT3_P12ihipStream_tbPNSt15iterator_traitsISN_E10value_typeEPNST_ISO_E10value_typeEPSP_NS1_7vsmem_tEENKUlT_SN_SO_SP_E_clISG_PjSI_PS9_EESM_S12_SN_SO_SP_EUlS12_E_NS1_11comp_targetILNS1_3genE10ELNS1_11target_archE1201ELNS1_3gpuE5ELNS1_3repE0EEENS1_48merge_mergepath_partition_config_static_selectorELNS0_4arch9wavefront6targetE0EEEvSO_.num_agpr, 0
	.set _ZN7rocprim17ROCPRIM_400000_NS6detail17trampoline_kernelINS0_14default_configENS1_38merge_sort_block_merge_config_selectorIjN6thrust23THRUST_200600_302600_NS5tupleIffNS6_9null_typeES8_S8_S8_S8_S8_S8_S8_EEEEZZNS1_27merge_sort_block_merge_implIS3_NS6_6detail15normal_iteratorINS6_10device_ptrIjEEEENSD_INSE_IS9_EEEEjNS1_19radix_merge_compareILb0ELb0EjNS0_19identity_decomposerEEEEE10hipError_tT0_T1_T2_jT3_P12ihipStream_tbPNSt15iterator_traitsISN_E10value_typeEPNST_ISO_E10value_typeEPSP_NS1_7vsmem_tEENKUlT_SN_SO_SP_E_clISG_PjSI_PS9_EESM_S12_SN_SO_SP_EUlS12_E_NS1_11comp_targetILNS1_3genE10ELNS1_11target_archE1201ELNS1_3gpuE5ELNS1_3repE0EEENS1_48merge_mergepath_partition_config_static_selectorELNS0_4arch9wavefront6targetE0EEEvSO_.numbered_sgpr, 0
	.set _ZN7rocprim17ROCPRIM_400000_NS6detail17trampoline_kernelINS0_14default_configENS1_38merge_sort_block_merge_config_selectorIjN6thrust23THRUST_200600_302600_NS5tupleIffNS6_9null_typeES8_S8_S8_S8_S8_S8_S8_EEEEZZNS1_27merge_sort_block_merge_implIS3_NS6_6detail15normal_iteratorINS6_10device_ptrIjEEEENSD_INSE_IS9_EEEEjNS1_19radix_merge_compareILb0ELb0EjNS0_19identity_decomposerEEEEE10hipError_tT0_T1_T2_jT3_P12ihipStream_tbPNSt15iterator_traitsISN_E10value_typeEPNST_ISO_E10value_typeEPSP_NS1_7vsmem_tEENKUlT_SN_SO_SP_E_clISG_PjSI_PS9_EESM_S12_SN_SO_SP_EUlS12_E_NS1_11comp_targetILNS1_3genE10ELNS1_11target_archE1201ELNS1_3gpuE5ELNS1_3repE0EEENS1_48merge_mergepath_partition_config_static_selectorELNS0_4arch9wavefront6targetE0EEEvSO_.num_named_barrier, 0
	.set _ZN7rocprim17ROCPRIM_400000_NS6detail17trampoline_kernelINS0_14default_configENS1_38merge_sort_block_merge_config_selectorIjN6thrust23THRUST_200600_302600_NS5tupleIffNS6_9null_typeES8_S8_S8_S8_S8_S8_S8_EEEEZZNS1_27merge_sort_block_merge_implIS3_NS6_6detail15normal_iteratorINS6_10device_ptrIjEEEENSD_INSE_IS9_EEEEjNS1_19radix_merge_compareILb0ELb0EjNS0_19identity_decomposerEEEEE10hipError_tT0_T1_T2_jT3_P12ihipStream_tbPNSt15iterator_traitsISN_E10value_typeEPNST_ISO_E10value_typeEPSP_NS1_7vsmem_tEENKUlT_SN_SO_SP_E_clISG_PjSI_PS9_EESM_S12_SN_SO_SP_EUlS12_E_NS1_11comp_targetILNS1_3genE10ELNS1_11target_archE1201ELNS1_3gpuE5ELNS1_3repE0EEENS1_48merge_mergepath_partition_config_static_selectorELNS0_4arch9wavefront6targetE0EEEvSO_.private_seg_size, 0
	.set _ZN7rocprim17ROCPRIM_400000_NS6detail17trampoline_kernelINS0_14default_configENS1_38merge_sort_block_merge_config_selectorIjN6thrust23THRUST_200600_302600_NS5tupleIffNS6_9null_typeES8_S8_S8_S8_S8_S8_S8_EEEEZZNS1_27merge_sort_block_merge_implIS3_NS6_6detail15normal_iteratorINS6_10device_ptrIjEEEENSD_INSE_IS9_EEEEjNS1_19radix_merge_compareILb0ELb0EjNS0_19identity_decomposerEEEEE10hipError_tT0_T1_T2_jT3_P12ihipStream_tbPNSt15iterator_traitsISN_E10value_typeEPNST_ISO_E10value_typeEPSP_NS1_7vsmem_tEENKUlT_SN_SO_SP_E_clISG_PjSI_PS9_EESM_S12_SN_SO_SP_EUlS12_E_NS1_11comp_targetILNS1_3genE10ELNS1_11target_archE1201ELNS1_3gpuE5ELNS1_3repE0EEENS1_48merge_mergepath_partition_config_static_selectorELNS0_4arch9wavefront6targetE0EEEvSO_.uses_vcc, 0
	.set _ZN7rocprim17ROCPRIM_400000_NS6detail17trampoline_kernelINS0_14default_configENS1_38merge_sort_block_merge_config_selectorIjN6thrust23THRUST_200600_302600_NS5tupleIffNS6_9null_typeES8_S8_S8_S8_S8_S8_S8_EEEEZZNS1_27merge_sort_block_merge_implIS3_NS6_6detail15normal_iteratorINS6_10device_ptrIjEEEENSD_INSE_IS9_EEEEjNS1_19radix_merge_compareILb0ELb0EjNS0_19identity_decomposerEEEEE10hipError_tT0_T1_T2_jT3_P12ihipStream_tbPNSt15iterator_traitsISN_E10value_typeEPNST_ISO_E10value_typeEPSP_NS1_7vsmem_tEENKUlT_SN_SO_SP_E_clISG_PjSI_PS9_EESM_S12_SN_SO_SP_EUlS12_E_NS1_11comp_targetILNS1_3genE10ELNS1_11target_archE1201ELNS1_3gpuE5ELNS1_3repE0EEENS1_48merge_mergepath_partition_config_static_selectorELNS0_4arch9wavefront6targetE0EEEvSO_.uses_flat_scratch, 0
	.set _ZN7rocprim17ROCPRIM_400000_NS6detail17trampoline_kernelINS0_14default_configENS1_38merge_sort_block_merge_config_selectorIjN6thrust23THRUST_200600_302600_NS5tupleIffNS6_9null_typeES8_S8_S8_S8_S8_S8_S8_EEEEZZNS1_27merge_sort_block_merge_implIS3_NS6_6detail15normal_iteratorINS6_10device_ptrIjEEEENSD_INSE_IS9_EEEEjNS1_19radix_merge_compareILb0ELb0EjNS0_19identity_decomposerEEEEE10hipError_tT0_T1_T2_jT3_P12ihipStream_tbPNSt15iterator_traitsISN_E10value_typeEPNST_ISO_E10value_typeEPSP_NS1_7vsmem_tEENKUlT_SN_SO_SP_E_clISG_PjSI_PS9_EESM_S12_SN_SO_SP_EUlS12_E_NS1_11comp_targetILNS1_3genE10ELNS1_11target_archE1201ELNS1_3gpuE5ELNS1_3repE0EEENS1_48merge_mergepath_partition_config_static_selectorELNS0_4arch9wavefront6targetE0EEEvSO_.has_dyn_sized_stack, 0
	.set _ZN7rocprim17ROCPRIM_400000_NS6detail17trampoline_kernelINS0_14default_configENS1_38merge_sort_block_merge_config_selectorIjN6thrust23THRUST_200600_302600_NS5tupleIffNS6_9null_typeES8_S8_S8_S8_S8_S8_S8_EEEEZZNS1_27merge_sort_block_merge_implIS3_NS6_6detail15normal_iteratorINS6_10device_ptrIjEEEENSD_INSE_IS9_EEEEjNS1_19radix_merge_compareILb0ELb0EjNS0_19identity_decomposerEEEEE10hipError_tT0_T1_T2_jT3_P12ihipStream_tbPNSt15iterator_traitsISN_E10value_typeEPNST_ISO_E10value_typeEPSP_NS1_7vsmem_tEENKUlT_SN_SO_SP_E_clISG_PjSI_PS9_EESM_S12_SN_SO_SP_EUlS12_E_NS1_11comp_targetILNS1_3genE10ELNS1_11target_archE1201ELNS1_3gpuE5ELNS1_3repE0EEENS1_48merge_mergepath_partition_config_static_selectorELNS0_4arch9wavefront6targetE0EEEvSO_.has_recursion, 0
	.set _ZN7rocprim17ROCPRIM_400000_NS6detail17trampoline_kernelINS0_14default_configENS1_38merge_sort_block_merge_config_selectorIjN6thrust23THRUST_200600_302600_NS5tupleIffNS6_9null_typeES8_S8_S8_S8_S8_S8_S8_EEEEZZNS1_27merge_sort_block_merge_implIS3_NS6_6detail15normal_iteratorINS6_10device_ptrIjEEEENSD_INSE_IS9_EEEEjNS1_19radix_merge_compareILb0ELb0EjNS0_19identity_decomposerEEEEE10hipError_tT0_T1_T2_jT3_P12ihipStream_tbPNSt15iterator_traitsISN_E10value_typeEPNST_ISO_E10value_typeEPSP_NS1_7vsmem_tEENKUlT_SN_SO_SP_E_clISG_PjSI_PS9_EESM_S12_SN_SO_SP_EUlS12_E_NS1_11comp_targetILNS1_3genE10ELNS1_11target_archE1201ELNS1_3gpuE5ELNS1_3repE0EEENS1_48merge_mergepath_partition_config_static_selectorELNS0_4arch9wavefront6targetE0EEEvSO_.has_indirect_call, 0
	.section	.AMDGPU.csdata,"",@progbits
; Kernel info:
; codeLenInByte = 0
; TotalNumSgprs: 0
; NumVgprs: 0
; ScratchSize: 0
; MemoryBound: 0
; FloatMode: 240
; IeeeMode: 1
; LDSByteSize: 0 bytes/workgroup (compile time only)
; SGPRBlocks: 0
; VGPRBlocks: 0
; NumSGPRsForWavesPerEU: 1
; NumVGPRsForWavesPerEU: 1
; Occupancy: 16
; WaveLimiterHint : 0
; COMPUTE_PGM_RSRC2:SCRATCH_EN: 0
; COMPUTE_PGM_RSRC2:USER_SGPR: 6
; COMPUTE_PGM_RSRC2:TRAP_HANDLER: 0
; COMPUTE_PGM_RSRC2:TGID_X_EN: 1
; COMPUTE_PGM_RSRC2:TGID_Y_EN: 0
; COMPUTE_PGM_RSRC2:TGID_Z_EN: 0
; COMPUTE_PGM_RSRC2:TIDIG_COMP_CNT: 0
	.section	.text._ZN7rocprim17ROCPRIM_400000_NS6detail17trampoline_kernelINS0_14default_configENS1_38merge_sort_block_merge_config_selectorIjN6thrust23THRUST_200600_302600_NS5tupleIffNS6_9null_typeES8_S8_S8_S8_S8_S8_S8_EEEEZZNS1_27merge_sort_block_merge_implIS3_NS6_6detail15normal_iteratorINS6_10device_ptrIjEEEENSD_INSE_IS9_EEEEjNS1_19radix_merge_compareILb0ELb0EjNS0_19identity_decomposerEEEEE10hipError_tT0_T1_T2_jT3_P12ihipStream_tbPNSt15iterator_traitsISN_E10value_typeEPNST_ISO_E10value_typeEPSP_NS1_7vsmem_tEENKUlT_SN_SO_SP_E_clISG_PjSI_PS9_EESM_S12_SN_SO_SP_EUlS12_E_NS1_11comp_targetILNS1_3genE5ELNS1_11target_archE942ELNS1_3gpuE9ELNS1_3repE0EEENS1_48merge_mergepath_partition_config_static_selectorELNS0_4arch9wavefront6targetE0EEEvSO_,"axG",@progbits,_ZN7rocprim17ROCPRIM_400000_NS6detail17trampoline_kernelINS0_14default_configENS1_38merge_sort_block_merge_config_selectorIjN6thrust23THRUST_200600_302600_NS5tupleIffNS6_9null_typeES8_S8_S8_S8_S8_S8_S8_EEEEZZNS1_27merge_sort_block_merge_implIS3_NS6_6detail15normal_iteratorINS6_10device_ptrIjEEEENSD_INSE_IS9_EEEEjNS1_19radix_merge_compareILb0ELb0EjNS0_19identity_decomposerEEEEE10hipError_tT0_T1_T2_jT3_P12ihipStream_tbPNSt15iterator_traitsISN_E10value_typeEPNST_ISO_E10value_typeEPSP_NS1_7vsmem_tEENKUlT_SN_SO_SP_E_clISG_PjSI_PS9_EESM_S12_SN_SO_SP_EUlS12_E_NS1_11comp_targetILNS1_3genE5ELNS1_11target_archE942ELNS1_3gpuE9ELNS1_3repE0EEENS1_48merge_mergepath_partition_config_static_selectorELNS0_4arch9wavefront6targetE0EEEvSO_,comdat
	.protected	_ZN7rocprim17ROCPRIM_400000_NS6detail17trampoline_kernelINS0_14default_configENS1_38merge_sort_block_merge_config_selectorIjN6thrust23THRUST_200600_302600_NS5tupleIffNS6_9null_typeES8_S8_S8_S8_S8_S8_S8_EEEEZZNS1_27merge_sort_block_merge_implIS3_NS6_6detail15normal_iteratorINS6_10device_ptrIjEEEENSD_INSE_IS9_EEEEjNS1_19radix_merge_compareILb0ELb0EjNS0_19identity_decomposerEEEEE10hipError_tT0_T1_T2_jT3_P12ihipStream_tbPNSt15iterator_traitsISN_E10value_typeEPNST_ISO_E10value_typeEPSP_NS1_7vsmem_tEENKUlT_SN_SO_SP_E_clISG_PjSI_PS9_EESM_S12_SN_SO_SP_EUlS12_E_NS1_11comp_targetILNS1_3genE5ELNS1_11target_archE942ELNS1_3gpuE9ELNS1_3repE0EEENS1_48merge_mergepath_partition_config_static_selectorELNS0_4arch9wavefront6targetE0EEEvSO_ ; -- Begin function _ZN7rocprim17ROCPRIM_400000_NS6detail17trampoline_kernelINS0_14default_configENS1_38merge_sort_block_merge_config_selectorIjN6thrust23THRUST_200600_302600_NS5tupleIffNS6_9null_typeES8_S8_S8_S8_S8_S8_S8_EEEEZZNS1_27merge_sort_block_merge_implIS3_NS6_6detail15normal_iteratorINS6_10device_ptrIjEEEENSD_INSE_IS9_EEEEjNS1_19radix_merge_compareILb0ELb0EjNS0_19identity_decomposerEEEEE10hipError_tT0_T1_T2_jT3_P12ihipStream_tbPNSt15iterator_traitsISN_E10value_typeEPNST_ISO_E10value_typeEPSP_NS1_7vsmem_tEENKUlT_SN_SO_SP_E_clISG_PjSI_PS9_EESM_S12_SN_SO_SP_EUlS12_E_NS1_11comp_targetILNS1_3genE5ELNS1_11target_archE942ELNS1_3gpuE9ELNS1_3repE0EEENS1_48merge_mergepath_partition_config_static_selectorELNS0_4arch9wavefront6targetE0EEEvSO_
	.globl	_ZN7rocprim17ROCPRIM_400000_NS6detail17trampoline_kernelINS0_14default_configENS1_38merge_sort_block_merge_config_selectorIjN6thrust23THRUST_200600_302600_NS5tupleIffNS6_9null_typeES8_S8_S8_S8_S8_S8_S8_EEEEZZNS1_27merge_sort_block_merge_implIS3_NS6_6detail15normal_iteratorINS6_10device_ptrIjEEEENSD_INSE_IS9_EEEEjNS1_19radix_merge_compareILb0ELb0EjNS0_19identity_decomposerEEEEE10hipError_tT0_T1_T2_jT3_P12ihipStream_tbPNSt15iterator_traitsISN_E10value_typeEPNST_ISO_E10value_typeEPSP_NS1_7vsmem_tEENKUlT_SN_SO_SP_E_clISG_PjSI_PS9_EESM_S12_SN_SO_SP_EUlS12_E_NS1_11comp_targetILNS1_3genE5ELNS1_11target_archE942ELNS1_3gpuE9ELNS1_3repE0EEENS1_48merge_mergepath_partition_config_static_selectorELNS0_4arch9wavefront6targetE0EEEvSO_
	.p2align	8
	.type	_ZN7rocprim17ROCPRIM_400000_NS6detail17trampoline_kernelINS0_14default_configENS1_38merge_sort_block_merge_config_selectorIjN6thrust23THRUST_200600_302600_NS5tupleIffNS6_9null_typeES8_S8_S8_S8_S8_S8_S8_EEEEZZNS1_27merge_sort_block_merge_implIS3_NS6_6detail15normal_iteratorINS6_10device_ptrIjEEEENSD_INSE_IS9_EEEEjNS1_19radix_merge_compareILb0ELb0EjNS0_19identity_decomposerEEEEE10hipError_tT0_T1_T2_jT3_P12ihipStream_tbPNSt15iterator_traitsISN_E10value_typeEPNST_ISO_E10value_typeEPSP_NS1_7vsmem_tEENKUlT_SN_SO_SP_E_clISG_PjSI_PS9_EESM_S12_SN_SO_SP_EUlS12_E_NS1_11comp_targetILNS1_3genE5ELNS1_11target_archE942ELNS1_3gpuE9ELNS1_3repE0EEENS1_48merge_mergepath_partition_config_static_selectorELNS0_4arch9wavefront6targetE0EEEvSO_,@function
_ZN7rocprim17ROCPRIM_400000_NS6detail17trampoline_kernelINS0_14default_configENS1_38merge_sort_block_merge_config_selectorIjN6thrust23THRUST_200600_302600_NS5tupleIffNS6_9null_typeES8_S8_S8_S8_S8_S8_S8_EEEEZZNS1_27merge_sort_block_merge_implIS3_NS6_6detail15normal_iteratorINS6_10device_ptrIjEEEENSD_INSE_IS9_EEEEjNS1_19radix_merge_compareILb0ELb0EjNS0_19identity_decomposerEEEEE10hipError_tT0_T1_T2_jT3_P12ihipStream_tbPNSt15iterator_traitsISN_E10value_typeEPNST_ISO_E10value_typeEPSP_NS1_7vsmem_tEENKUlT_SN_SO_SP_E_clISG_PjSI_PS9_EESM_S12_SN_SO_SP_EUlS12_E_NS1_11comp_targetILNS1_3genE5ELNS1_11target_archE942ELNS1_3gpuE9ELNS1_3repE0EEENS1_48merge_mergepath_partition_config_static_selectorELNS0_4arch9wavefront6targetE0EEEvSO_: ; @_ZN7rocprim17ROCPRIM_400000_NS6detail17trampoline_kernelINS0_14default_configENS1_38merge_sort_block_merge_config_selectorIjN6thrust23THRUST_200600_302600_NS5tupleIffNS6_9null_typeES8_S8_S8_S8_S8_S8_S8_EEEEZZNS1_27merge_sort_block_merge_implIS3_NS6_6detail15normal_iteratorINS6_10device_ptrIjEEEENSD_INSE_IS9_EEEEjNS1_19radix_merge_compareILb0ELb0EjNS0_19identity_decomposerEEEEE10hipError_tT0_T1_T2_jT3_P12ihipStream_tbPNSt15iterator_traitsISN_E10value_typeEPNST_ISO_E10value_typeEPSP_NS1_7vsmem_tEENKUlT_SN_SO_SP_E_clISG_PjSI_PS9_EESM_S12_SN_SO_SP_EUlS12_E_NS1_11comp_targetILNS1_3genE5ELNS1_11target_archE942ELNS1_3gpuE9ELNS1_3repE0EEENS1_48merge_mergepath_partition_config_static_selectorELNS0_4arch9wavefront6targetE0EEEvSO_
; %bb.0:
	.section	.rodata,"a",@progbits
	.p2align	6, 0x0
	.amdhsa_kernel _ZN7rocprim17ROCPRIM_400000_NS6detail17trampoline_kernelINS0_14default_configENS1_38merge_sort_block_merge_config_selectorIjN6thrust23THRUST_200600_302600_NS5tupleIffNS6_9null_typeES8_S8_S8_S8_S8_S8_S8_EEEEZZNS1_27merge_sort_block_merge_implIS3_NS6_6detail15normal_iteratorINS6_10device_ptrIjEEEENSD_INSE_IS9_EEEEjNS1_19radix_merge_compareILb0ELb0EjNS0_19identity_decomposerEEEEE10hipError_tT0_T1_T2_jT3_P12ihipStream_tbPNSt15iterator_traitsISN_E10value_typeEPNST_ISO_E10value_typeEPSP_NS1_7vsmem_tEENKUlT_SN_SO_SP_E_clISG_PjSI_PS9_EESM_S12_SN_SO_SP_EUlS12_E_NS1_11comp_targetILNS1_3genE5ELNS1_11target_archE942ELNS1_3gpuE9ELNS1_3repE0EEENS1_48merge_mergepath_partition_config_static_selectorELNS0_4arch9wavefront6targetE0EEEvSO_
		.amdhsa_group_segment_fixed_size 0
		.amdhsa_private_segment_fixed_size 0
		.amdhsa_kernarg_size 40
		.amdhsa_user_sgpr_count 6
		.amdhsa_user_sgpr_private_segment_buffer 1
		.amdhsa_user_sgpr_dispatch_ptr 0
		.amdhsa_user_sgpr_queue_ptr 0
		.amdhsa_user_sgpr_kernarg_segment_ptr 1
		.amdhsa_user_sgpr_dispatch_id 0
		.amdhsa_user_sgpr_flat_scratch_init 0
		.amdhsa_user_sgpr_private_segment_size 0
		.amdhsa_wavefront_size32 1
		.amdhsa_uses_dynamic_stack 0
		.amdhsa_system_sgpr_private_segment_wavefront_offset 0
		.amdhsa_system_sgpr_workgroup_id_x 1
		.amdhsa_system_sgpr_workgroup_id_y 0
		.amdhsa_system_sgpr_workgroup_id_z 0
		.amdhsa_system_sgpr_workgroup_info 0
		.amdhsa_system_vgpr_workitem_id 0
		.amdhsa_next_free_vgpr 1
		.amdhsa_next_free_sgpr 1
		.amdhsa_reserve_vcc 0
		.amdhsa_reserve_flat_scratch 0
		.amdhsa_float_round_mode_32 0
		.amdhsa_float_round_mode_16_64 0
		.amdhsa_float_denorm_mode_32 3
		.amdhsa_float_denorm_mode_16_64 3
		.amdhsa_dx10_clamp 1
		.amdhsa_ieee_mode 1
		.amdhsa_fp16_overflow 0
		.amdhsa_workgroup_processor_mode 1
		.amdhsa_memory_ordered 1
		.amdhsa_forward_progress 1
		.amdhsa_shared_vgpr_count 0
		.amdhsa_exception_fp_ieee_invalid_op 0
		.amdhsa_exception_fp_denorm_src 0
		.amdhsa_exception_fp_ieee_div_zero 0
		.amdhsa_exception_fp_ieee_overflow 0
		.amdhsa_exception_fp_ieee_underflow 0
		.amdhsa_exception_fp_ieee_inexact 0
		.amdhsa_exception_int_div_zero 0
	.end_amdhsa_kernel
	.section	.text._ZN7rocprim17ROCPRIM_400000_NS6detail17trampoline_kernelINS0_14default_configENS1_38merge_sort_block_merge_config_selectorIjN6thrust23THRUST_200600_302600_NS5tupleIffNS6_9null_typeES8_S8_S8_S8_S8_S8_S8_EEEEZZNS1_27merge_sort_block_merge_implIS3_NS6_6detail15normal_iteratorINS6_10device_ptrIjEEEENSD_INSE_IS9_EEEEjNS1_19radix_merge_compareILb0ELb0EjNS0_19identity_decomposerEEEEE10hipError_tT0_T1_T2_jT3_P12ihipStream_tbPNSt15iterator_traitsISN_E10value_typeEPNST_ISO_E10value_typeEPSP_NS1_7vsmem_tEENKUlT_SN_SO_SP_E_clISG_PjSI_PS9_EESM_S12_SN_SO_SP_EUlS12_E_NS1_11comp_targetILNS1_3genE5ELNS1_11target_archE942ELNS1_3gpuE9ELNS1_3repE0EEENS1_48merge_mergepath_partition_config_static_selectorELNS0_4arch9wavefront6targetE0EEEvSO_,"axG",@progbits,_ZN7rocprim17ROCPRIM_400000_NS6detail17trampoline_kernelINS0_14default_configENS1_38merge_sort_block_merge_config_selectorIjN6thrust23THRUST_200600_302600_NS5tupleIffNS6_9null_typeES8_S8_S8_S8_S8_S8_S8_EEEEZZNS1_27merge_sort_block_merge_implIS3_NS6_6detail15normal_iteratorINS6_10device_ptrIjEEEENSD_INSE_IS9_EEEEjNS1_19radix_merge_compareILb0ELb0EjNS0_19identity_decomposerEEEEE10hipError_tT0_T1_T2_jT3_P12ihipStream_tbPNSt15iterator_traitsISN_E10value_typeEPNST_ISO_E10value_typeEPSP_NS1_7vsmem_tEENKUlT_SN_SO_SP_E_clISG_PjSI_PS9_EESM_S12_SN_SO_SP_EUlS12_E_NS1_11comp_targetILNS1_3genE5ELNS1_11target_archE942ELNS1_3gpuE9ELNS1_3repE0EEENS1_48merge_mergepath_partition_config_static_selectorELNS0_4arch9wavefront6targetE0EEEvSO_,comdat
.Lfunc_end51:
	.size	_ZN7rocprim17ROCPRIM_400000_NS6detail17trampoline_kernelINS0_14default_configENS1_38merge_sort_block_merge_config_selectorIjN6thrust23THRUST_200600_302600_NS5tupleIffNS6_9null_typeES8_S8_S8_S8_S8_S8_S8_EEEEZZNS1_27merge_sort_block_merge_implIS3_NS6_6detail15normal_iteratorINS6_10device_ptrIjEEEENSD_INSE_IS9_EEEEjNS1_19radix_merge_compareILb0ELb0EjNS0_19identity_decomposerEEEEE10hipError_tT0_T1_T2_jT3_P12ihipStream_tbPNSt15iterator_traitsISN_E10value_typeEPNST_ISO_E10value_typeEPSP_NS1_7vsmem_tEENKUlT_SN_SO_SP_E_clISG_PjSI_PS9_EESM_S12_SN_SO_SP_EUlS12_E_NS1_11comp_targetILNS1_3genE5ELNS1_11target_archE942ELNS1_3gpuE9ELNS1_3repE0EEENS1_48merge_mergepath_partition_config_static_selectorELNS0_4arch9wavefront6targetE0EEEvSO_, .Lfunc_end51-_ZN7rocprim17ROCPRIM_400000_NS6detail17trampoline_kernelINS0_14default_configENS1_38merge_sort_block_merge_config_selectorIjN6thrust23THRUST_200600_302600_NS5tupleIffNS6_9null_typeES8_S8_S8_S8_S8_S8_S8_EEEEZZNS1_27merge_sort_block_merge_implIS3_NS6_6detail15normal_iteratorINS6_10device_ptrIjEEEENSD_INSE_IS9_EEEEjNS1_19radix_merge_compareILb0ELb0EjNS0_19identity_decomposerEEEEE10hipError_tT0_T1_T2_jT3_P12ihipStream_tbPNSt15iterator_traitsISN_E10value_typeEPNST_ISO_E10value_typeEPSP_NS1_7vsmem_tEENKUlT_SN_SO_SP_E_clISG_PjSI_PS9_EESM_S12_SN_SO_SP_EUlS12_E_NS1_11comp_targetILNS1_3genE5ELNS1_11target_archE942ELNS1_3gpuE9ELNS1_3repE0EEENS1_48merge_mergepath_partition_config_static_selectorELNS0_4arch9wavefront6targetE0EEEvSO_
                                        ; -- End function
	.set _ZN7rocprim17ROCPRIM_400000_NS6detail17trampoline_kernelINS0_14default_configENS1_38merge_sort_block_merge_config_selectorIjN6thrust23THRUST_200600_302600_NS5tupleIffNS6_9null_typeES8_S8_S8_S8_S8_S8_S8_EEEEZZNS1_27merge_sort_block_merge_implIS3_NS6_6detail15normal_iteratorINS6_10device_ptrIjEEEENSD_INSE_IS9_EEEEjNS1_19radix_merge_compareILb0ELb0EjNS0_19identity_decomposerEEEEE10hipError_tT0_T1_T2_jT3_P12ihipStream_tbPNSt15iterator_traitsISN_E10value_typeEPNST_ISO_E10value_typeEPSP_NS1_7vsmem_tEENKUlT_SN_SO_SP_E_clISG_PjSI_PS9_EESM_S12_SN_SO_SP_EUlS12_E_NS1_11comp_targetILNS1_3genE5ELNS1_11target_archE942ELNS1_3gpuE9ELNS1_3repE0EEENS1_48merge_mergepath_partition_config_static_selectorELNS0_4arch9wavefront6targetE0EEEvSO_.num_vgpr, 0
	.set _ZN7rocprim17ROCPRIM_400000_NS6detail17trampoline_kernelINS0_14default_configENS1_38merge_sort_block_merge_config_selectorIjN6thrust23THRUST_200600_302600_NS5tupleIffNS6_9null_typeES8_S8_S8_S8_S8_S8_S8_EEEEZZNS1_27merge_sort_block_merge_implIS3_NS6_6detail15normal_iteratorINS6_10device_ptrIjEEEENSD_INSE_IS9_EEEEjNS1_19radix_merge_compareILb0ELb0EjNS0_19identity_decomposerEEEEE10hipError_tT0_T1_T2_jT3_P12ihipStream_tbPNSt15iterator_traitsISN_E10value_typeEPNST_ISO_E10value_typeEPSP_NS1_7vsmem_tEENKUlT_SN_SO_SP_E_clISG_PjSI_PS9_EESM_S12_SN_SO_SP_EUlS12_E_NS1_11comp_targetILNS1_3genE5ELNS1_11target_archE942ELNS1_3gpuE9ELNS1_3repE0EEENS1_48merge_mergepath_partition_config_static_selectorELNS0_4arch9wavefront6targetE0EEEvSO_.num_agpr, 0
	.set _ZN7rocprim17ROCPRIM_400000_NS6detail17trampoline_kernelINS0_14default_configENS1_38merge_sort_block_merge_config_selectorIjN6thrust23THRUST_200600_302600_NS5tupleIffNS6_9null_typeES8_S8_S8_S8_S8_S8_S8_EEEEZZNS1_27merge_sort_block_merge_implIS3_NS6_6detail15normal_iteratorINS6_10device_ptrIjEEEENSD_INSE_IS9_EEEEjNS1_19radix_merge_compareILb0ELb0EjNS0_19identity_decomposerEEEEE10hipError_tT0_T1_T2_jT3_P12ihipStream_tbPNSt15iterator_traitsISN_E10value_typeEPNST_ISO_E10value_typeEPSP_NS1_7vsmem_tEENKUlT_SN_SO_SP_E_clISG_PjSI_PS9_EESM_S12_SN_SO_SP_EUlS12_E_NS1_11comp_targetILNS1_3genE5ELNS1_11target_archE942ELNS1_3gpuE9ELNS1_3repE0EEENS1_48merge_mergepath_partition_config_static_selectorELNS0_4arch9wavefront6targetE0EEEvSO_.numbered_sgpr, 0
	.set _ZN7rocprim17ROCPRIM_400000_NS6detail17trampoline_kernelINS0_14default_configENS1_38merge_sort_block_merge_config_selectorIjN6thrust23THRUST_200600_302600_NS5tupleIffNS6_9null_typeES8_S8_S8_S8_S8_S8_S8_EEEEZZNS1_27merge_sort_block_merge_implIS3_NS6_6detail15normal_iteratorINS6_10device_ptrIjEEEENSD_INSE_IS9_EEEEjNS1_19radix_merge_compareILb0ELb0EjNS0_19identity_decomposerEEEEE10hipError_tT0_T1_T2_jT3_P12ihipStream_tbPNSt15iterator_traitsISN_E10value_typeEPNST_ISO_E10value_typeEPSP_NS1_7vsmem_tEENKUlT_SN_SO_SP_E_clISG_PjSI_PS9_EESM_S12_SN_SO_SP_EUlS12_E_NS1_11comp_targetILNS1_3genE5ELNS1_11target_archE942ELNS1_3gpuE9ELNS1_3repE0EEENS1_48merge_mergepath_partition_config_static_selectorELNS0_4arch9wavefront6targetE0EEEvSO_.num_named_barrier, 0
	.set _ZN7rocprim17ROCPRIM_400000_NS6detail17trampoline_kernelINS0_14default_configENS1_38merge_sort_block_merge_config_selectorIjN6thrust23THRUST_200600_302600_NS5tupleIffNS6_9null_typeES8_S8_S8_S8_S8_S8_S8_EEEEZZNS1_27merge_sort_block_merge_implIS3_NS6_6detail15normal_iteratorINS6_10device_ptrIjEEEENSD_INSE_IS9_EEEEjNS1_19radix_merge_compareILb0ELb0EjNS0_19identity_decomposerEEEEE10hipError_tT0_T1_T2_jT3_P12ihipStream_tbPNSt15iterator_traitsISN_E10value_typeEPNST_ISO_E10value_typeEPSP_NS1_7vsmem_tEENKUlT_SN_SO_SP_E_clISG_PjSI_PS9_EESM_S12_SN_SO_SP_EUlS12_E_NS1_11comp_targetILNS1_3genE5ELNS1_11target_archE942ELNS1_3gpuE9ELNS1_3repE0EEENS1_48merge_mergepath_partition_config_static_selectorELNS0_4arch9wavefront6targetE0EEEvSO_.private_seg_size, 0
	.set _ZN7rocprim17ROCPRIM_400000_NS6detail17trampoline_kernelINS0_14default_configENS1_38merge_sort_block_merge_config_selectorIjN6thrust23THRUST_200600_302600_NS5tupleIffNS6_9null_typeES8_S8_S8_S8_S8_S8_S8_EEEEZZNS1_27merge_sort_block_merge_implIS3_NS6_6detail15normal_iteratorINS6_10device_ptrIjEEEENSD_INSE_IS9_EEEEjNS1_19radix_merge_compareILb0ELb0EjNS0_19identity_decomposerEEEEE10hipError_tT0_T1_T2_jT3_P12ihipStream_tbPNSt15iterator_traitsISN_E10value_typeEPNST_ISO_E10value_typeEPSP_NS1_7vsmem_tEENKUlT_SN_SO_SP_E_clISG_PjSI_PS9_EESM_S12_SN_SO_SP_EUlS12_E_NS1_11comp_targetILNS1_3genE5ELNS1_11target_archE942ELNS1_3gpuE9ELNS1_3repE0EEENS1_48merge_mergepath_partition_config_static_selectorELNS0_4arch9wavefront6targetE0EEEvSO_.uses_vcc, 0
	.set _ZN7rocprim17ROCPRIM_400000_NS6detail17trampoline_kernelINS0_14default_configENS1_38merge_sort_block_merge_config_selectorIjN6thrust23THRUST_200600_302600_NS5tupleIffNS6_9null_typeES8_S8_S8_S8_S8_S8_S8_EEEEZZNS1_27merge_sort_block_merge_implIS3_NS6_6detail15normal_iteratorINS6_10device_ptrIjEEEENSD_INSE_IS9_EEEEjNS1_19radix_merge_compareILb0ELb0EjNS0_19identity_decomposerEEEEE10hipError_tT0_T1_T2_jT3_P12ihipStream_tbPNSt15iterator_traitsISN_E10value_typeEPNST_ISO_E10value_typeEPSP_NS1_7vsmem_tEENKUlT_SN_SO_SP_E_clISG_PjSI_PS9_EESM_S12_SN_SO_SP_EUlS12_E_NS1_11comp_targetILNS1_3genE5ELNS1_11target_archE942ELNS1_3gpuE9ELNS1_3repE0EEENS1_48merge_mergepath_partition_config_static_selectorELNS0_4arch9wavefront6targetE0EEEvSO_.uses_flat_scratch, 0
	.set _ZN7rocprim17ROCPRIM_400000_NS6detail17trampoline_kernelINS0_14default_configENS1_38merge_sort_block_merge_config_selectorIjN6thrust23THRUST_200600_302600_NS5tupleIffNS6_9null_typeES8_S8_S8_S8_S8_S8_S8_EEEEZZNS1_27merge_sort_block_merge_implIS3_NS6_6detail15normal_iteratorINS6_10device_ptrIjEEEENSD_INSE_IS9_EEEEjNS1_19radix_merge_compareILb0ELb0EjNS0_19identity_decomposerEEEEE10hipError_tT0_T1_T2_jT3_P12ihipStream_tbPNSt15iterator_traitsISN_E10value_typeEPNST_ISO_E10value_typeEPSP_NS1_7vsmem_tEENKUlT_SN_SO_SP_E_clISG_PjSI_PS9_EESM_S12_SN_SO_SP_EUlS12_E_NS1_11comp_targetILNS1_3genE5ELNS1_11target_archE942ELNS1_3gpuE9ELNS1_3repE0EEENS1_48merge_mergepath_partition_config_static_selectorELNS0_4arch9wavefront6targetE0EEEvSO_.has_dyn_sized_stack, 0
	.set _ZN7rocprim17ROCPRIM_400000_NS6detail17trampoline_kernelINS0_14default_configENS1_38merge_sort_block_merge_config_selectorIjN6thrust23THRUST_200600_302600_NS5tupleIffNS6_9null_typeES8_S8_S8_S8_S8_S8_S8_EEEEZZNS1_27merge_sort_block_merge_implIS3_NS6_6detail15normal_iteratorINS6_10device_ptrIjEEEENSD_INSE_IS9_EEEEjNS1_19radix_merge_compareILb0ELb0EjNS0_19identity_decomposerEEEEE10hipError_tT0_T1_T2_jT3_P12ihipStream_tbPNSt15iterator_traitsISN_E10value_typeEPNST_ISO_E10value_typeEPSP_NS1_7vsmem_tEENKUlT_SN_SO_SP_E_clISG_PjSI_PS9_EESM_S12_SN_SO_SP_EUlS12_E_NS1_11comp_targetILNS1_3genE5ELNS1_11target_archE942ELNS1_3gpuE9ELNS1_3repE0EEENS1_48merge_mergepath_partition_config_static_selectorELNS0_4arch9wavefront6targetE0EEEvSO_.has_recursion, 0
	.set _ZN7rocprim17ROCPRIM_400000_NS6detail17trampoline_kernelINS0_14default_configENS1_38merge_sort_block_merge_config_selectorIjN6thrust23THRUST_200600_302600_NS5tupleIffNS6_9null_typeES8_S8_S8_S8_S8_S8_S8_EEEEZZNS1_27merge_sort_block_merge_implIS3_NS6_6detail15normal_iteratorINS6_10device_ptrIjEEEENSD_INSE_IS9_EEEEjNS1_19radix_merge_compareILb0ELb0EjNS0_19identity_decomposerEEEEE10hipError_tT0_T1_T2_jT3_P12ihipStream_tbPNSt15iterator_traitsISN_E10value_typeEPNST_ISO_E10value_typeEPSP_NS1_7vsmem_tEENKUlT_SN_SO_SP_E_clISG_PjSI_PS9_EESM_S12_SN_SO_SP_EUlS12_E_NS1_11comp_targetILNS1_3genE5ELNS1_11target_archE942ELNS1_3gpuE9ELNS1_3repE0EEENS1_48merge_mergepath_partition_config_static_selectorELNS0_4arch9wavefront6targetE0EEEvSO_.has_indirect_call, 0
	.section	.AMDGPU.csdata,"",@progbits
; Kernel info:
; codeLenInByte = 0
; TotalNumSgprs: 0
; NumVgprs: 0
; ScratchSize: 0
; MemoryBound: 0
; FloatMode: 240
; IeeeMode: 1
; LDSByteSize: 0 bytes/workgroup (compile time only)
; SGPRBlocks: 0
; VGPRBlocks: 0
; NumSGPRsForWavesPerEU: 1
; NumVGPRsForWavesPerEU: 1
; Occupancy: 16
; WaveLimiterHint : 0
; COMPUTE_PGM_RSRC2:SCRATCH_EN: 0
; COMPUTE_PGM_RSRC2:USER_SGPR: 6
; COMPUTE_PGM_RSRC2:TRAP_HANDLER: 0
; COMPUTE_PGM_RSRC2:TGID_X_EN: 1
; COMPUTE_PGM_RSRC2:TGID_Y_EN: 0
; COMPUTE_PGM_RSRC2:TGID_Z_EN: 0
; COMPUTE_PGM_RSRC2:TIDIG_COMP_CNT: 0
	.section	.text._ZN7rocprim17ROCPRIM_400000_NS6detail17trampoline_kernelINS0_14default_configENS1_38merge_sort_block_merge_config_selectorIjN6thrust23THRUST_200600_302600_NS5tupleIffNS6_9null_typeES8_S8_S8_S8_S8_S8_S8_EEEEZZNS1_27merge_sort_block_merge_implIS3_NS6_6detail15normal_iteratorINS6_10device_ptrIjEEEENSD_INSE_IS9_EEEEjNS1_19radix_merge_compareILb0ELb0EjNS0_19identity_decomposerEEEEE10hipError_tT0_T1_T2_jT3_P12ihipStream_tbPNSt15iterator_traitsISN_E10value_typeEPNST_ISO_E10value_typeEPSP_NS1_7vsmem_tEENKUlT_SN_SO_SP_E_clISG_PjSI_PS9_EESM_S12_SN_SO_SP_EUlS12_E_NS1_11comp_targetILNS1_3genE4ELNS1_11target_archE910ELNS1_3gpuE8ELNS1_3repE0EEENS1_48merge_mergepath_partition_config_static_selectorELNS0_4arch9wavefront6targetE0EEEvSO_,"axG",@progbits,_ZN7rocprim17ROCPRIM_400000_NS6detail17trampoline_kernelINS0_14default_configENS1_38merge_sort_block_merge_config_selectorIjN6thrust23THRUST_200600_302600_NS5tupleIffNS6_9null_typeES8_S8_S8_S8_S8_S8_S8_EEEEZZNS1_27merge_sort_block_merge_implIS3_NS6_6detail15normal_iteratorINS6_10device_ptrIjEEEENSD_INSE_IS9_EEEEjNS1_19radix_merge_compareILb0ELb0EjNS0_19identity_decomposerEEEEE10hipError_tT0_T1_T2_jT3_P12ihipStream_tbPNSt15iterator_traitsISN_E10value_typeEPNST_ISO_E10value_typeEPSP_NS1_7vsmem_tEENKUlT_SN_SO_SP_E_clISG_PjSI_PS9_EESM_S12_SN_SO_SP_EUlS12_E_NS1_11comp_targetILNS1_3genE4ELNS1_11target_archE910ELNS1_3gpuE8ELNS1_3repE0EEENS1_48merge_mergepath_partition_config_static_selectorELNS0_4arch9wavefront6targetE0EEEvSO_,comdat
	.protected	_ZN7rocprim17ROCPRIM_400000_NS6detail17trampoline_kernelINS0_14default_configENS1_38merge_sort_block_merge_config_selectorIjN6thrust23THRUST_200600_302600_NS5tupleIffNS6_9null_typeES8_S8_S8_S8_S8_S8_S8_EEEEZZNS1_27merge_sort_block_merge_implIS3_NS6_6detail15normal_iteratorINS6_10device_ptrIjEEEENSD_INSE_IS9_EEEEjNS1_19radix_merge_compareILb0ELb0EjNS0_19identity_decomposerEEEEE10hipError_tT0_T1_T2_jT3_P12ihipStream_tbPNSt15iterator_traitsISN_E10value_typeEPNST_ISO_E10value_typeEPSP_NS1_7vsmem_tEENKUlT_SN_SO_SP_E_clISG_PjSI_PS9_EESM_S12_SN_SO_SP_EUlS12_E_NS1_11comp_targetILNS1_3genE4ELNS1_11target_archE910ELNS1_3gpuE8ELNS1_3repE0EEENS1_48merge_mergepath_partition_config_static_selectorELNS0_4arch9wavefront6targetE0EEEvSO_ ; -- Begin function _ZN7rocprim17ROCPRIM_400000_NS6detail17trampoline_kernelINS0_14default_configENS1_38merge_sort_block_merge_config_selectorIjN6thrust23THRUST_200600_302600_NS5tupleIffNS6_9null_typeES8_S8_S8_S8_S8_S8_S8_EEEEZZNS1_27merge_sort_block_merge_implIS3_NS6_6detail15normal_iteratorINS6_10device_ptrIjEEEENSD_INSE_IS9_EEEEjNS1_19radix_merge_compareILb0ELb0EjNS0_19identity_decomposerEEEEE10hipError_tT0_T1_T2_jT3_P12ihipStream_tbPNSt15iterator_traitsISN_E10value_typeEPNST_ISO_E10value_typeEPSP_NS1_7vsmem_tEENKUlT_SN_SO_SP_E_clISG_PjSI_PS9_EESM_S12_SN_SO_SP_EUlS12_E_NS1_11comp_targetILNS1_3genE4ELNS1_11target_archE910ELNS1_3gpuE8ELNS1_3repE0EEENS1_48merge_mergepath_partition_config_static_selectorELNS0_4arch9wavefront6targetE0EEEvSO_
	.globl	_ZN7rocprim17ROCPRIM_400000_NS6detail17trampoline_kernelINS0_14default_configENS1_38merge_sort_block_merge_config_selectorIjN6thrust23THRUST_200600_302600_NS5tupleIffNS6_9null_typeES8_S8_S8_S8_S8_S8_S8_EEEEZZNS1_27merge_sort_block_merge_implIS3_NS6_6detail15normal_iteratorINS6_10device_ptrIjEEEENSD_INSE_IS9_EEEEjNS1_19radix_merge_compareILb0ELb0EjNS0_19identity_decomposerEEEEE10hipError_tT0_T1_T2_jT3_P12ihipStream_tbPNSt15iterator_traitsISN_E10value_typeEPNST_ISO_E10value_typeEPSP_NS1_7vsmem_tEENKUlT_SN_SO_SP_E_clISG_PjSI_PS9_EESM_S12_SN_SO_SP_EUlS12_E_NS1_11comp_targetILNS1_3genE4ELNS1_11target_archE910ELNS1_3gpuE8ELNS1_3repE0EEENS1_48merge_mergepath_partition_config_static_selectorELNS0_4arch9wavefront6targetE0EEEvSO_
	.p2align	8
	.type	_ZN7rocprim17ROCPRIM_400000_NS6detail17trampoline_kernelINS0_14default_configENS1_38merge_sort_block_merge_config_selectorIjN6thrust23THRUST_200600_302600_NS5tupleIffNS6_9null_typeES8_S8_S8_S8_S8_S8_S8_EEEEZZNS1_27merge_sort_block_merge_implIS3_NS6_6detail15normal_iteratorINS6_10device_ptrIjEEEENSD_INSE_IS9_EEEEjNS1_19radix_merge_compareILb0ELb0EjNS0_19identity_decomposerEEEEE10hipError_tT0_T1_T2_jT3_P12ihipStream_tbPNSt15iterator_traitsISN_E10value_typeEPNST_ISO_E10value_typeEPSP_NS1_7vsmem_tEENKUlT_SN_SO_SP_E_clISG_PjSI_PS9_EESM_S12_SN_SO_SP_EUlS12_E_NS1_11comp_targetILNS1_3genE4ELNS1_11target_archE910ELNS1_3gpuE8ELNS1_3repE0EEENS1_48merge_mergepath_partition_config_static_selectorELNS0_4arch9wavefront6targetE0EEEvSO_,@function
_ZN7rocprim17ROCPRIM_400000_NS6detail17trampoline_kernelINS0_14default_configENS1_38merge_sort_block_merge_config_selectorIjN6thrust23THRUST_200600_302600_NS5tupleIffNS6_9null_typeES8_S8_S8_S8_S8_S8_S8_EEEEZZNS1_27merge_sort_block_merge_implIS3_NS6_6detail15normal_iteratorINS6_10device_ptrIjEEEENSD_INSE_IS9_EEEEjNS1_19radix_merge_compareILb0ELb0EjNS0_19identity_decomposerEEEEE10hipError_tT0_T1_T2_jT3_P12ihipStream_tbPNSt15iterator_traitsISN_E10value_typeEPNST_ISO_E10value_typeEPSP_NS1_7vsmem_tEENKUlT_SN_SO_SP_E_clISG_PjSI_PS9_EESM_S12_SN_SO_SP_EUlS12_E_NS1_11comp_targetILNS1_3genE4ELNS1_11target_archE910ELNS1_3gpuE8ELNS1_3repE0EEENS1_48merge_mergepath_partition_config_static_selectorELNS0_4arch9wavefront6targetE0EEEvSO_: ; @_ZN7rocprim17ROCPRIM_400000_NS6detail17trampoline_kernelINS0_14default_configENS1_38merge_sort_block_merge_config_selectorIjN6thrust23THRUST_200600_302600_NS5tupleIffNS6_9null_typeES8_S8_S8_S8_S8_S8_S8_EEEEZZNS1_27merge_sort_block_merge_implIS3_NS6_6detail15normal_iteratorINS6_10device_ptrIjEEEENSD_INSE_IS9_EEEEjNS1_19radix_merge_compareILb0ELb0EjNS0_19identity_decomposerEEEEE10hipError_tT0_T1_T2_jT3_P12ihipStream_tbPNSt15iterator_traitsISN_E10value_typeEPNST_ISO_E10value_typeEPSP_NS1_7vsmem_tEENKUlT_SN_SO_SP_E_clISG_PjSI_PS9_EESM_S12_SN_SO_SP_EUlS12_E_NS1_11comp_targetILNS1_3genE4ELNS1_11target_archE910ELNS1_3gpuE8ELNS1_3repE0EEENS1_48merge_mergepath_partition_config_static_selectorELNS0_4arch9wavefront6targetE0EEEvSO_
; %bb.0:
	.section	.rodata,"a",@progbits
	.p2align	6, 0x0
	.amdhsa_kernel _ZN7rocprim17ROCPRIM_400000_NS6detail17trampoline_kernelINS0_14default_configENS1_38merge_sort_block_merge_config_selectorIjN6thrust23THRUST_200600_302600_NS5tupleIffNS6_9null_typeES8_S8_S8_S8_S8_S8_S8_EEEEZZNS1_27merge_sort_block_merge_implIS3_NS6_6detail15normal_iteratorINS6_10device_ptrIjEEEENSD_INSE_IS9_EEEEjNS1_19radix_merge_compareILb0ELb0EjNS0_19identity_decomposerEEEEE10hipError_tT0_T1_T2_jT3_P12ihipStream_tbPNSt15iterator_traitsISN_E10value_typeEPNST_ISO_E10value_typeEPSP_NS1_7vsmem_tEENKUlT_SN_SO_SP_E_clISG_PjSI_PS9_EESM_S12_SN_SO_SP_EUlS12_E_NS1_11comp_targetILNS1_3genE4ELNS1_11target_archE910ELNS1_3gpuE8ELNS1_3repE0EEENS1_48merge_mergepath_partition_config_static_selectorELNS0_4arch9wavefront6targetE0EEEvSO_
		.amdhsa_group_segment_fixed_size 0
		.amdhsa_private_segment_fixed_size 0
		.amdhsa_kernarg_size 40
		.amdhsa_user_sgpr_count 6
		.amdhsa_user_sgpr_private_segment_buffer 1
		.amdhsa_user_sgpr_dispatch_ptr 0
		.amdhsa_user_sgpr_queue_ptr 0
		.amdhsa_user_sgpr_kernarg_segment_ptr 1
		.amdhsa_user_sgpr_dispatch_id 0
		.amdhsa_user_sgpr_flat_scratch_init 0
		.amdhsa_user_sgpr_private_segment_size 0
		.amdhsa_wavefront_size32 1
		.amdhsa_uses_dynamic_stack 0
		.amdhsa_system_sgpr_private_segment_wavefront_offset 0
		.amdhsa_system_sgpr_workgroup_id_x 1
		.amdhsa_system_sgpr_workgroup_id_y 0
		.amdhsa_system_sgpr_workgroup_id_z 0
		.amdhsa_system_sgpr_workgroup_info 0
		.amdhsa_system_vgpr_workitem_id 0
		.amdhsa_next_free_vgpr 1
		.amdhsa_next_free_sgpr 1
		.amdhsa_reserve_vcc 0
		.amdhsa_reserve_flat_scratch 0
		.amdhsa_float_round_mode_32 0
		.amdhsa_float_round_mode_16_64 0
		.amdhsa_float_denorm_mode_32 3
		.amdhsa_float_denorm_mode_16_64 3
		.amdhsa_dx10_clamp 1
		.amdhsa_ieee_mode 1
		.amdhsa_fp16_overflow 0
		.amdhsa_workgroup_processor_mode 1
		.amdhsa_memory_ordered 1
		.amdhsa_forward_progress 1
		.amdhsa_shared_vgpr_count 0
		.amdhsa_exception_fp_ieee_invalid_op 0
		.amdhsa_exception_fp_denorm_src 0
		.amdhsa_exception_fp_ieee_div_zero 0
		.amdhsa_exception_fp_ieee_overflow 0
		.amdhsa_exception_fp_ieee_underflow 0
		.amdhsa_exception_fp_ieee_inexact 0
		.amdhsa_exception_int_div_zero 0
	.end_amdhsa_kernel
	.section	.text._ZN7rocprim17ROCPRIM_400000_NS6detail17trampoline_kernelINS0_14default_configENS1_38merge_sort_block_merge_config_selectorIjN6thrust23THRUST_200600_302600_NS5tupleIffNS6_9null_typeES8_S8_S8_S8_S8_S8_S8_EEEEZZNS1_27merge_sort_block_merge_implIS3_NS6_6detail15normal_iteratorINS6_10device_ptrIjEEEENSD_INSE_IS9_EEEEjNS1_19radix_merge_compareILb0ELb0EjNS0_19identity_decomposerEEEEE10hipError_tT0_T1_T2_jT3_P12ihipStream_tbPNSt15iterator_traitsISN_E10value_typeEPNST_ISO_E10value_typeEPSP_NS1_7vsmem_tEENKUlT_SN_SO_SP_E_clISG_PjSI_PS9_EESM_S12_SN_SO_SP_EUlS12_E_NS1_11comp_targetILNS1_3genE4ELNS1_11target_archE910ELNS1_3gpuE8ELNS1_3repE0EEENS1_48merge_mergepath_partition_config_static_selectorELNS0_4arch9wavefront6targetE0EEEvSO_,"axG",@progbits,_ZN7rocprim17ROCPRIM_400000_NS6detail17trampoline_kernelINS0_14default_configENS1_38merge_sort_block_merge_config_selectorIjN6thrust23THRUST_200600_302600_NS5tupleIffNS6_9null_typeES8_S8_S8_S8_S8_S8_S8_EEEEZZNS1_27merge_sort_block_merge_implIS3_NS6_6detail15normal_iteratorINS6_10device_ptrIjEEEENSD_INSE_IS9_EEEEjNS1_19radix_merge_compareILb0ELb0EjNS0_19identity_decomposerEEEEE10hipError_tT0_T1_T2_jT3_P12ihipStream_tbPNSt15iterator_traitsISN_E10value_typeEPNST_ISO_E10value_typeEPSP_NS1_7vsmem_tEENKUlT_SN_SO_SP_E_clISG_PjSI_PS9_EESM_S12_SN_SO_SP_EUlS12_E_NS1_11comp_targetILNS1_3genE4ELNS1_11target_archE910ELNS1_3gpuE8ELNS1_3repE0EEENS1_48merge_mergepath_partition_config_static_selectorELNS0_4arch9wavefront6targetE0EEEvSO_,comdat
.Lfunc_end52:
	.size	_ZN7rocprim17ROCPRIM_400000_NS6detail17trampoline_kernelINS0_14default_configENS1_38merge_sort_block_merge_config_selectorIjN6thrust23THRUST_200600_302600_NS5tupleIffNS6_9null_typeES8_S8_S8_S8_S8_S8_S8_EEEEZZNS1_27merge_sort_block_merge_implIS3_NS6_6detail15normal_iteratorINS6_10device_ptrIjEEEENSD_INSE_IS9_EEEEjNS1_19radix_merge_compareILb0ELb0EjNS0_19identity_decomposerEEEEE10hipError_tT0_T1_T2_jT3_P12ihipStream_tbPNSt15iterator_traitsISN_E10value_typeEPNST_ISO_E10value_typeEPSP_NS1_7vsmem_tEENKUlT_SN_SO_SP_E_clISG_PjSI_PS9_EESM_S12_SN_SO_SP_EUlS12_E_NS1_11comp_targetILNS1_3genE4ELNS1_11target_archE910ELNS1_3gpuE8ELNS1_3repE0EEENS1_48merge_mergepath_partition_config_static_selectorELNS0_4arch9wavefront6targetE0EEEvSO_, .Lfunc_end52-_ZN7rocprim17ROCPRIM_400000_NS6detail17trampoline_kernelINS0_14default_configENS1_38merge_sort_block_merge_config_selectorIjN6thrust23THRUST_200600_302600_NS5tupleIffNS6_9null_typeES8_S8_S8_S8_S8_S8_S8_EEEEZZNS1_27merge_sort_block_merge_implIS3_NS6_6detail15normal_iteratorINS6_10device_ptrIjEEEENSD_INSE_IS9_EEEEjNS1_19radix_merge_compareILb0ELb0EjNS0_19identity_decomposerEEEEE10hipError_tT0_T1_T2_jT3_P12ihipStream_tbPNSt15iterator_traitsISN_E10value_typeEPNST_ISO_E10value_typeEPSP_NS1_7vsmem_tEENKUlT_SN_SO_SP_E_clISG_PjSI_PS9_EESM_S12_SN_SO_SP_EUlS12_E_NS1_11comp_targetILNS1_3genE4ELNS1_11target_archE910ELNS1_3gpuE8ELNS1_3repE0EEENS1_48merge_mergepath_partition_config_static_selectorELNS0_4arch9wavefront6targetE0EEEvSO_
                                        ; -- End function
	.set _ZN7rocprim17ROCPRIM_400000_NS6detail17trampoline_kernelINS0_14default_configENS1_38merge_sort_block_merge_config_selectorIjN6thrust23THRUST_200600_302600_NS5tupleIffNS6_9null_typeES8_S8_S8_S8_S8_S8_S8_EEEEZZNS1_27merge_sort_block_merge_implIS3_NS6_6detail15normal_iteratorINS6_10device_ptrIjEEEENSD_INSE_IS9_EEEEjNS1_19radix_merge_compareILb0ELb0EjNS0_19identity_decomposerEEEEE10hipError_tT0_T1_T2_jT3_P12ihipStream_tbPNSt15iterator_traitsISN_E10value_typeEPNST_ISO_E10value_typeEPSP_NS1_7vsmem_tEENKUlT_SN_SO_SP_E_clISG_PjSI_PS9_EESM_S12_SN_SO_SP_EUlS12_E_NS1_11comp_targetILNS1_3genE4ELNS1_11target_archE910ELNS1_3gpuE8ELNS1_3repE0EEENS1_48merge_mergepath_partition_config_static_selectorELNS0_4arch9wavefront6targetE0EEEvSO_.num_vgpr, 0
	.set _ZN7rocprim17ROCPRIM_400000_NS6detail17trampoline_kernelINS0_14default_configENS1_38merge_sort_block_merge_config_selectorIjN6thrust23THRUST_200600_302600_NS5tupleIffNS6_9null_typeES8_S8_S8_S8_S8_S8_S8_EEEEZZNS1_27merge_sort_block_merge_implIS3_NS6_6detail15normal_iteratorINS6_10device_ptrIjEEEENSD_INSE_IS9_EEEEjNS1_19radix_merge_compareILb0ELb0EjNS0_19identity_decomposerEEEEE10hipError_tT0_T1_T2_jT3_P12ihipStream_tbPNSt15iterator_traitsISN_E10value_typeEPNST_ISO_E10value_typeEPSP_NS1_7vsmem_tEENKUlT_SN_SO_SP_E_clISG_PjSI_PS9_EESM_S12_SN_SO_SP_EUlS12_E_NS1_11comp_targetILNS1_3genE4ELNS1_11target_archE910ELNS1_3gpuE8ELNS1_3repE0EEENS1_48merge_mergepath_partition_config_static_selectorELNS0_4arch9wavefront6targetE0EEEvSO_.num_agpr, 0
	.set _ZN7rocprim17ROCPRIM_400000_NS6detail17trampoline_kernelINS0_14default_configENS1_38merge_sort_block_merge_config_selectorIjN6thrust23THRUST_200600_302600_NS5tupleIffNS6_9null_typeES8_S8_S8_S8_S8_S8_S8_EEEEZZNS1_27merge_sort_block_merge_implIS3_NS6_6detail15normal_iteratorINS6_10device_ptrIjEEEENSD_INSE_IS9_EEEEjNS1_19radix_merge_compareILb0ELb0EjNS0_19identity_decomposerEEEEE10hipError_tT0_T1_T2_jT3_P12ihipStream_tbPNSt15iterator_traitsISN_E10value_typeEPNST_ISO_E10value_typeEPSP_NS1_7vsmem_tEENKUlT_SN_SO_SP_E_clISG_PjSI_PS9_EESM_S12_SN_SO_SP_EUlS12_E_NS1_11comp_targetILNS1_3genE4ELNS1_11target_archE910ELNS1_3gpuE8ELNS1_3repE0EEENS1_48merge_mergepath_partition_config_static_selectorELNS0_4arch9wavefront6targetE0EEEvSO_.numbered_sgpr, 0
	.set _ZN7rocprim17ROCPRIM_400000_NS6detail17trampoline_kernelINS0_14default_configENS1_38merge_sort_block_merge_config_selectorIjN6thrust23THRUST_200600_302600_NS5tupleIffNS6_9null_typeES8_S8_S8_S8_S8_S8_S8_EEEEZZNS1_27merge_sort_block_merge_implIS3_NS6_6detail15normal_iteratorINS6_10device_ptrIjEEEENSD_INSE_IS9_EEEEjNS1_19radix_merge_compareILb0ELb0EjNS0_19identity_decomposerEEEEE10hipError_tT0_T1_T2_jT3_P12ihipStream_tbPNSt15iterator_traitsISN_E10value_typeEPNST_ISO_E10value_typeEPSP_NS1_7vsmem_tEENKUlT_SN_SO_SP_E_clISG_PjSI_PS9_EESM_S12_SN_SO_SP_EUlS12_E_NS1_11comp_targetILNS1_3genE4ELNS1_11target_archE910ELNS1_3gpuE8ELNS1_3repE0EEENS1_48merge_mergepath_partition_config_static_selectorELNS0_4arch9wavefront6targetE0EEEvSO_.num_named_barrier, 0
	.set _ZN7rocprim17ROCPRIM_400000_NS6detail17trampoline_kernelINS0_14default_configENS1_38merge_sort_block_merge_config_selectorIjN6thrust23THRUST_200600_302600_NS5tupleIffNS6_9null_typeES8_S8_S8_S8_S8_S8_S8_EEEEZZNS1_27merge_sort_block_merge_implIS3_NS6_6detail15normal_iteratorINS6_10device_ptrIjEEEENSD_INSE_IS9_EEEEjNS1_19radix_merge_compareILb0ELb0EjNS0_19identity_decomposerEEEEE10hipError_tT0_T1_T2_jT3_P12ihipStream_tbPNSt15iterator_traitsISN_E10value_typeEPNST_ISO_E10value_typeEPSP_NS1_7vsmem_tEENKUlT_SN_SO_SP_E_clISG_PjSI_PS9_EESM_S12_SN_SO_SP_EUlS12_E_NS1_11comp_targetILNS1_3genE4ELNS1_11target_archE910ELNS1_3gpuE8ELNS1_3repE0EEENS1_48merge_mergepath_partition_config_static_selectorELNS0_4arch9wavefront6targetE0EEEvSO_.private_seg_size, 0
	.set _ZN7rocprim17ROCPRIM_400000_NS6detail17trampoline_kernelINS0_14default_configENS1_38merge_sort_block_merge_config_selectorIjN6thrust23THRUST_200600_302600_NS5tupleIffNS6_9null_typeES8_S8_S8_S8_S8_S8_S8_EEEEZZNS1_27merge_sort_block_merge_implIS3_NS6_6detail15normal_iteratorINS6_10device_ptrIjEEEENSD_INSE_IS9_EEEEjNS1_19radix_merge_compareILb0ELb0EjNS0_19identity_decomposerEEEEE10hipError_tT0_T1_T2_jT3_P12ihipStream_tbPNSt15iterator_traitsISN_E10value_typeEPNST_ISO_E10value_typeEPSP_NS1_7vsmem_tEENKUlT_SN_SO_SP_E_clISG_PjSI_PS9_EESM_S12_SN_SO_SP_EUlS12_E_NS1_11comp_targetILNS1_3genE4ELNS1_11target_archE910ELNS1_3gpuE8ELNS1_3repE0EEENS1_48merge_mergepath_partition_config_static_selectorELNS0_4arch9wavefront6targetE0EEEvSO_.uses_vcc, 0
	.set _ZN7rocprim17ROCPRIM_400000_NS6detail17trampoline_kernelINS0_14default_configENS1_38merge_sort_block_merge_config_selectorIjN6thrust23THRUST_200600_302600_NS5tupleIffNS6_9null_typeES8_S8_S8_S8_S8_S8_S8_EEEEZZNS1_27merge_sort_block_merge_implIS3_NS6_6detail15normal_iteratorINS6_10device_ptrIjEEEENSD_INSE_IS9_EEEEjNS1_19radix_merge_compareILb0ELb0EjNS0_19identity_decomposerEEEEE10hipError_tT0_T1_T2_jT3_P12ihipStream_tbPNSt15iterator_traitsISN_E10value_typeEPNST_ISO_E10value_typeEPSP_NS1_7vsmem_tEENKUlT_SN_SO_SP_E_clISG_PjSI_PS9_EESM_S12_SN_SO_SP_EUlS12_E_NS1_11comp_targetILNS1_3genE4ELNS1_11target_archE910ELNS1_3gpuE8ELNS1_3repE0EEENS1_48merge_mergepath_partition_config_static_selectorELNS0_4arch9wavefront6targetE0EEEvSO_.uses_flat_scratch, 0
	.set _ZN7rocprim17ROCPRIM_400000_NS6detail17trampoline_kernelINS0_14default_configENS1_38merge_sort_block_merge_config_selectorIjN6thrust23THRUST_200600_302600_NS5tupleIffNS6_9null_typeES8_S8_S8_S8_S8_S8_S8_EEEEZZNS1_27merge_sort_block_merge_implIS3_NS6_6detail15normal_iteratorINS6_10device_ptrIjEEEENSD_INSE_IS9_EEEEjNS1_19radix_merge_compareILb0ELb0EjNS0_19identity_decomposerEEEEE10hipError_tT0_T1_T2_jT3_P12ihipStream_tbPNSt15iterator_traitsISN_E10value_typeEPNST_ISO_E10value_typeEPSP_NS1_7vsmem_tEENKUlT_SN_SO_SP_E_clISG_PjSI_PS9_EESM_S12_SN_SO_SP_EUlS12_E_NS1_11comp_targetILNS1_3genE4ELNS1_11target_archE910ELNS1_3gpuE8ELNS1_3repE0EEENS1_48merge_mergepath_partition_config_static_selectorELNS0_4arch9wavefront6targetE0EEEvSO_.has_dyn_sized_stack, 0
	.set _ZN7rocprim17ROCPRIM_400000_NS6detail17trampoline_kernelINS0_14default_configENS1_38merge_sort_block_merge_config_selectorIjN6thrust23THRUST_200600_302600_NS5tupleIffNS6_9null_typeES8_S8_S8_S8_S8_S8_S8_EEEEZZNS1_27merge_sort_block_merge_implIS3_NS6_6detail15normal_iteratorINS6_10device_ptrIjEEEENSD_INSE_IS9_EEEEjNS1_19radix_merge_compareILb0ELb0EjNS0_19identity_decomposerEEEEE10hipError_tT0_T1_T2_jT3_P12ihipStream_tbPNSt15iterator_traitsISN_E10value_typeEPNST_ISO_E10value_typeEPSP_NS1_7vsmem_tEENKUlT_SN_SO_SP_E_clISG_PjSI_PS9_EESM_S12_SN_SO_SP_EUlS12_E_NS1_11comp_targetILNS1_3genE4ELNS1_11target_archE910ELNS1_3gpuE8ELNS1_3repE0EEENS1_48merge_mergepath_partition_config_static_selectorELNS0_4arch9wavefront6targetE0EEEvSO_.has_recursion, 0
	.set _ZN7rocprim17ROCPRIM_400000_NS6detail17trampoline_kernelINS0_14default_configENS1_38merge_sort_block_merge_config_selectorIjN6thrust23THRUST_200600_302600_NS5tupleIffNS6_9null_typeES8_S8_S8_S8_S8_S8_S8_EEEEZZNS1_27merge_sort_block_merge_implIS3_NS6_6detail15normal_iteratorINS6_10device_ptrIjEEEENSD_INSE_IS9_EEEEjNS1_19radix_merge_compareILb0ELb0EjNS0_19identity_decomposerEEEEE10hipError_tT0_T1_T2_jT3_P12ihipStream_tbPNSt15iterator_traitsISN_E10value_typeEPNST_ISO_E10value_typeEPSP_NS1_7vsmem_tEENKUlT_SN_SO_SP_E_clISG_PjSI_PS9_EESM_S12_SN_SO_SP_EUlS12_E_NS1_11comp_targetILNS1_3genE4ELNS1_11target_archE910ELNS1_3gpuE8ELNS1_3repE0EEENS1_48merge_mergepath_partition_config_static_selectorELNS0_4arch9wavefront6targetE0EEEvSO_.has_indirect_call, 0
	.section	.AMDGPU.csdata,"",@progbits
; Kernel info:
; codeLenInByte = 0
; TotalNumSgprs: 0
; NumVgprs: 0
; ScratchSize: 0
; MemoryBound: 0
; FloatMode: 240
; IeeeMode: 1
; LDSByteSize: 0 bytes/workgroup (compile time only)
; SGPRBlocks: 0
; VGPRBlocks: 0
; NumSGPRsForWavesPerEU: 1
; NumVGPRsForWavesPerEU: 1
; Occupancy: 16
; WaveLimiterHint : 0
; COMPUTE_PGM_RSRC2:SCRATCH_EN: 0
; COMPUTE_PGM_RSRC2:USER_SGPR: 6
; COMPUTE_PGM_RSRC2:TRAP_HANDLER: 0
; COMPUTE_PGM_RSRC2:TGID_X_EN: 1
; COMPUTE_PGM_RSRC2:TGID_Y_EN: 0
; COMPUTE_PGM_RSRC2:TGID_Z_EN: 0
; COMPUTE_PGM_RSRC2:TIDIG_COMP_CNT: 0
	.section	.text._ZN7rocprim17ROCPRIM_400000_NS6detail17trampoline_kernelINS0_14default_configENS1_38merge_sort_block_merge_config_selectorIjN6thrust23THRUST_200600_302600_NS5tupleIffNS6_9null_typeES8_S8_S8_S8_S8_S8_S8_EEEEZZNS1_27merge_sort_block_merge_implIS3_NS6_6detail15normal_iteratorINS6_10device_ptrIjEEEENSD_INSE_IS9_EEEEjNS1_19radix_merge_compareILb0ELb0EjNS0_19identity_decomposerEEEEE10hipError_tT0_T1_T2_jT3_P12ihipStream_tbPNSt15iterator_traitsISN_E10value_typeEPNST_ISO_E10value_typeEPSP_NS1_7vsmem_tEENKUlT_SN_SO_SP_E_clISG_PjSI_PS9_EESM_S12_SN_SO_SP_EUlS12_E_NS1_11comp_targetILNS1_3genE3ELNS1_11target_archE908ELNS1_3gpuE7ELNS1_3repE0EEENS1_48merge_mergepath_partition_config_static_selectorELNS0_4arch9wavefront6targetE0EEEvSO_,"axG",@progbits,_ZN7rocprim17ROCPRIM_400000_NS6detail17trampoline_kernelINS0_14default_configENS1_38merge_sort_block_merge_config_selectorIjN6thrust23THRUST_200600_302600_NS5tupleIffNS6_9null_typeES8_S8_S8_S8_S8_S8_S8_EEEEZZNS1_27merge_sort_block_merge_implIS3_NS6_6detail15normal_iteratorINS6_10device_ptrIjEEEENSD_INSE_IS9_EEEEjNS1_19radix_merge_compareILb0ELb0EjNS0_19identity_decomposerEEEEE10hipError_tT0_T1_T2_jT3_P12ihipStream_tbPNSt15iterator_traitsISN_E10value_typeEPNST_ISO_E10value_typeEPSP_NS1_7vsmem_tEENKUlT_SN_SO_SP_E_clISG_PjSI_PS9_EESM_S12_SN_SO_SP_EUlS12_E_NS1_11comp_targetILNS1_3genE3ELNS1_11target_archE908ELNS1_3gpuE7ELNS1_3repE0EEENS1_48merge_mergepath_partition_config_static_selectorELNS0_4arch9wavefront6targetE0EEEvSO_,comdat
	.protected	_ZN7rocprim17ROCPRIM_400000_NS6detail17trampoline_kernelINS0_14default_configENS1_38merge_sort_block_merge_config_selectorIjN6thrust23THRUST_200600_302600_NS5tupleIffNS6_9null_typeES8_S8_S8_S8_S8_S8_S8_EEEEZZNS1_27merge_sort_block_merge_implIS3_NS6_6detail15normal_iteratorINS6_10device_ptrIjEEEENSD_INSE_IS9_EEEEjNS1_19radix_merge_compareILb0ELb0EjNS0_19identity_decomposerEEEEE10hipError_tT0_T1_T2_jT3_P12ihipStream_tbPNSt15iterator_traitsISN_E10value_typeEPNST_ISO_E10value_typeEPSP_NS1_7vsmem_tEENKUlT_SN_SO_SP_E_clISG_PjSI_PS9_EESM_S12_SN_SO_SP_EUlS12_E_NS1_11comp_targetILNS1_3genE3ELNS1_11target_archE908ELNS1_3gpuE7ELNS1_3repE0EEENS1_48merge_mergepath_partition_config_static_selectorELNS0_4arch9wavefront6targetE0EEEvSO_ ; -- Begin function _ZN7rocprim17ROCPRIM_400000_NS6detail17trampoline_kernelINS0_14default_configENS1_38merge_sort_block_merge_config_selectorIjN6thrust23THRUST_200600_302600_NS5tupleIffNS6_9null_typeES8_S8_S8_S8_S8_S8_S8_EEEEZZNS1_27merge_sort_block_merge_implIS3_NS6_6detail15normal_iteratorINS6_10device_ptrIjEEEENSD_INSE_IS9_EEEEjNS1_19radix_merge_compareILb0ELb0EjNS0_19identity_decomposerEEEEE10hipError_tT0_T1_T2_jT3_P12ihipStream_tbPNSt15iterator_traitsISN_E10value_typeEPNST_ISO_E10value_typeEPSP_NS1_7vsmem_tEENKUlT_SN_SO_SP_E_clISG_PjSI_PS9_EESM_S12_SN_SO_SP_EUlS12_E_NS1_11comp_targetILNS1_3genE3ELNS1_11target_archE908ELNS1_3gpuE7ELNS1_3repE0EEENS1_48merge_mergepath_partition_config_static_selectorELNS0_4arch9wavefront6targetE0EEEvSO_
	.globl	_ZN7rocprim17ROCPRIM_400000_NS6detail17trampoline_kernelINS0_14default_configENS1_38merge_sort_block_merge_config_selectorIjN6thrust23THRUST_200600_302600_NS5tupleIffNS6_9null_typeES8_S8_S8_S8_S8_S8_S8_EEEEZZNS1_27merge_sort_block_merge_implIS3_NS6_6detail15normal_iteratorINS6_10device_ptrIjEEEENSD_INSE_IS9_EEEEjNS1_19radix_merge_compareILb0ELb0EjNS0_19identity_decomposerEEEEE10hipError_tT0_T1_T2_jT3_P12ihipStream_tbPNSt15iterator_traitsISN_E10value_typeEPNST_ISO_E10value_typeEPSP_NS1_7vsmem_tEENKUlT_SN_SO_SP_E_clISG_PjSI_PS9_EESM_S12_SN_SO_SP_EUlS12_E_NS1_11comp_targetILNS1_3genE3ELNS1_11target_archE908ELNS1_3gpuE7ELNS1_3repE0EEENS1_48merge_mergepath_partition_config_static_selectorELNS0_4arch9wavefront6targetE0EEEvSO_
	.p2align	8
	.type	_ZN7rocprim17ROCPRIM_400000_NS6detail17trampoline_kernelINS0_14default_configENS1_38merge_sort_block_merge_config_selectorIjN6thrust23THRUST_200600_302600_NS5tupleIffNS6_9null_typeES8_S8_S8_S8_S8_S8_S8_EEEEZZNS1_27merge_sort_block_merge_implIS3_NS6_6detail15normal_iteratorINS6_10device_ptrIjEEEENSD_INSE_IS9_EEEEjNS1_19radix_merge_compareILb0ELb0EjNS0_19identity_decomposerEEEEE10hipError_tT0_T1_T2_jT3_P12ihipStream_tbPNSt15iterator_traitsISN_E10value_typeEPNST_ISO_E10value_typeEPSP_NS1_7vsmem_tEENKUlT_SN_SO_SP_E_clISG_PjSI_PS9_EESM_S12_SN_SO_SP_EUlS12_E_NS1_11comp_targetILNS1_3genE3ELNS1_11target_archE908ELNS1_3gpuE7ELNS1_3repE0EEENS1_48merge_mergepath_partition_config_static_selectorELNS0_4arch9wavefront6targetE0EEEvSO_,@function
_ZN7rocprim17ROCPRIM_400000_NS6detail17trampoline_kernelINS0_14default_configENS1_38merge_sort_block_merge_config_selectorIjN6thrust23THRUST_200600_302600_NS5tupleIffNS6_9null_typeES8_S8_S8_S8_S8_S8_S8_EEEEZZNS1_27merge_sort_block_merge_implIS3_NS6_6detail15normal_iteratorINS6_10device_ptrIjEEEENSD_INSE_IS9_EEEEjNS1_19radix_merge_compareILb0ELb0EjNS0_19identity_decomposerEEEEE10hipError_tT0_T1_T2_jT3_P12ihipStream_tbPNSt15iterator_traitsISN_E10value_typeEPNST_ISO_E10value_typeEPSP_NS1_7vsmem_tEENKUlT_SN_SO_SP_E_clISG_PjSI_PS9_EESM_S12_SN_SO_SP_EUlS12_E_NS1_11comp_targetILNS1_3genE3ELNS1_11target_archE908ELNS1_3gpuE7ELNS1_3repE0EEENS1_48merge_mergepath_partition_config_static_selectorELNS0_4arch9wavefront6targetE0EEEvSO_: ; @_ZN7rocprim17ROCPRIM_400000_NS6detail17trampoline_kernelINS0_14default_configENS1_38merge_sort_block_merge_config_selectorIjN6thrust23THRUST_200600_302600_NS5tupleIffNS6_9null_typeES8_S8_S8_S8_S8_S8_S8_EEEEZZNS1_27merge_sort_block_merge_implIS3_NS6_6detail15normal_iteratorINS6_10device_ptrIjEEEENSD_INSE_IS9_EEEEjNS1_19radix_merge_compareILb0ELb0EjNS0_19identity_decomposerEEEEE10hipError_tT0_T1_T2_jT3_P12ihipStream_tbPNSt15iterator_traitsISN_E10value_typeEPNST_ISO_E10value_typeEPSP_NS1_7vsmem_tEENKUlT_SN_SO_SP_E_clISG_PjSI_PS9_EESM_S12_SN_SO_SP_EUlS12_E_NS1_11comp_targetILNS1_3genE3ELNS1_11target_archE908ELNS1_3gpuE7ELNS1_3repE0EEENS1_48merge_mergepath_partition_config_static_selectorELNS0_4arch9wavefront6targetE0EEEvSO_
; %bb.0:
	.section	.rodata,"a",@progbits
	.p2align	6, 0x0
	.amdhsa_kernel _ZN7rocprim17ROCPRIM_400000_NS6detail17trampoline_kernelINS0_14default_configENS1_38merge_sort_block_merge_config_selectorIjN6thrust23THRUST_200600_302600_NS5tupleIffNS6_9null_typeES8_S8_S8_S8_S8_S8_S8_EEEEZZNS1_27merge_sort_block_merge_implIS3_NS6_6detail15normal_iteratorINS6_10device_ptrIjEEEENSD_INSE_IS9_EEEEjNS1_19radix_merge_compareILb0ELb0EjNS0_19identity_decomposerEEEEE10hipError_tT0_T1_T2_jT3_P12ihipStream_tbPNSt15iterator_traitsISN_E10value_typeEPNST_ISO_E10value_typeEPSP_NS1_7vsmem_tEENKUlT_SN_SO_SP_E_clISG_PjSI_PS9_EESM_S12_SN_SO_SP_EUlS12_E_NS1_11comp_targetILNS1_3genE3ELNS1_11target_archE908ELNS1_3gpuE7ELNS1_3repE0EEENS1_48merge_mergepath_partition_config_static_selectorELNS0_4arch9wavefront6targetE0EEEvSO_
		.amdhsa_group_segment_fixed_size 0
		.amdhsa_private_segment_fixed_size 0
		.amdhsa_kernarg_size 40
		.amdhsa_user_sgpr_count 6
		.amdhsa_user_sgpr_private_segment_buffer 1
		.amdhsa_user_sgpr_dispatch_ptr 0
		.amdhsa_user_sgpr_queue_ptr 0
		.amdhsa_user_sgpr_kernarg_segment_ptr 1
		.amdhsa_user_sgpr_dispatch_id 0
		.amdhsa_user_sgpr_flat_scratch_init 0
		.amdhsa_user_sgpr_private_segment_size 0
		.amdhsa_wavefront_size32 1
		.amdhsa_uses_dynamic_stack 0
		.amdhsa_system_sgpr_private_segment_wavefront_offset 0
		.amdhsa_system_sgpr_workgroup_id_x 1
		.amdhsa_system_sgpr_workgroup_id_y 0
		.amdhsa_system_sgpr_workgroup_id_z 0
		.amdhsa_system_sgpr_workgroup_info 0
		.amdhsa_system_vgpr_workitem_id 0
		.amdhsa_next_free_vgpr 1
		.amdhsa_next_free_sgpr 1
		.amdhsa_reserve_vcc 0
		.amdhsa_reserve_flat_scratch 0
		.amdhsa_float_round_mode_32 0
		.amdhsa_float_round_mode_16_64 0
		.amdhsa_float_denorm_mode_32 3
		.amdhsa_float_denorm_mode_16_64 3
		.amdhsa_dx10_clamp 1
		.amdhsa_ieee_mode 1
		.amdhsa_fp16_overflow 0
		.amdhsa_workgroup_processor_mode 1
		.amdhsa_memory_ordered 1
		.amdhsa_forward_progress 1
		.amdhsa_shared_vgpr_count 0
		.amdhsa_exception_fp_ieee_invalid_op 0
		.amdhsa_exception_fp_denorm_src 0
		.amdhsa_exception_fp_ieee_div_zero 0
		.amdhsa_exception_fp_ieee_overflow 0
		.amdhsa_exception_fp_ieee_underflow 0
		.amdhsa_exception_fp_ieee_inexact 0
		.amdhsa_exception_int_div_zero 0
	.end_amdhsa_kernel
	.section	.text._ZN7rocprim17ROCPRIM_400000_NS6detail17trampoline_kernelINS0_14default_configENS1_38merge_sort_block_merge_config_selectorIjN6thrust23THRUST_200600_302600_NS5tupleIffNS6_9null_typeES8_S8_S8_S8_S8_S8_S8_EEEEZZNS1_27merge_sort_block_merge_implIS3_NS6_6detail15normal_iteratorINS6_10device_ptrIjEEEENSD_INSE_IS9_EEEEjNS1_19radix_merge_compareILb0ELb0EjNS0_19identity_decomposerEEEEE10hipError_tT0_T1_T2_jT3_P12ihipStream_tbPNSt15iterator_traitsISN_E10value_typeEPNST_ISO_E10value_typeEPSP_NS1_7vsmem_tEENKUlT_SN_SO_SP_E_clISG_PjSI_PS9_EESM_S12_SN_SO_SP_EUlS12_E_NS1_11comp_targetILNS1_3genE3ELNS1_11target_archE908ELNS1_3gpuE7ELNS1_3repE0EEENS1_48merge_mergepath_partition_config_static_selectorELNS0_4arch9wavefront6targetE0EEEvSO_,"axG",@progbits,_ZN7rocprim17ROCPRIM_400000_NS6detail17trampoline_kernelINS0_14default_configENS1_38merge_sort_block_merge_config_selectorIjN6thrust23THRUST_200600_302600_NS5tupleIffNS6_9null_typeES8_S8_S8_S8_S8_S8_S8_EEEEZZNS1_27merge_sort_block_merge_implIS3_NS6_6detail15normal_iteratorINS6_10device_ptrIjEEEENSD_INSE_IS9_EEEEjNS1_19radix_merge_compareILb0ELb0EjNS0_19identity_decomposerEEEEE10hipError_tT0_T1_T2_jT3_P12ihipStream_tbPNSt15iterator_traitsISN_E10value_typeEPNST_ISO_E10value_typeEPSP_NS1_7vsmem_tEENKUlT_SN_SO_SP_E_clISG_PjSI_PS9_EESM_S12_SN_SO_SP_EUlS12_E_NS1_11comp_targetILNS1_3genE3ELNS1_11target_archE908ELNS1_3gpuE7ELNS1_3repE0EEENS1_48merge_mergepath_partition_config_static_selectorELNS0_4arch9wavefront6targetE0EEEvSO_,comdat
.Lfunc_end53:
	.size	_ZN7rocprim17ROCPRIM_400000_NS6detail17trampoline_kernelINS0_14default_configENS1_38merge_sort_block_merge_config_selectorIjN6thrust23THRUST_200600_302600_NS5tupleIffNS6_9null_typeES8_S8_S8_S8_S8_S8_S8_EEEEZZNS1_27merge_sort_block_merge_implIS3_NS6_6detail15normal_iteratorINS6_10device_ptrIjEEEENSD_INSE_IS9_EEEEjNS1_19radix_merge_compareILb0ELb0EjNS0_19identity_decomposerEEEEE10hipError_tT0_T1_T2_jT3_P12ihipStream_tbPNSt15iterator_traitsISN_E10value_typeEPNST_ISO_E10value_typeEPSP_NS1_7vsmem_tEENKUlT_SN_SO_SP_E_clISG_PjSI_PS9_EESM_S12_SN_SO_SP_EUlS12_E_NS1_11comp_targetILNS1_3genE3ELNS1_11target_archE908ELNS1_3gpuE7ELNS1_3repE0EEENS1_48merge_mergepath_partition_config_static_selectorELNS0_4arch9wavefront6targetE0EEEvSO_, .Lfunc_end53-_ZN7rocprim17ROCPRIM_400000_NS6detail17trampoline_kernelINS0_14default_configENS1_38merge_sort_block_merge_config_selectorIjN6thrust23THRUST_200600_302600_NS5tupleIffNS6_9null_typeES8_S8_S8_S8_S8_S8_S8_EEEEZZNS1_27merge_sort_block_merge_implIS3_NS6_6detail15normal_iteratorINS6_10device_ptrIjEEEENSD_INSE_IS9_EEEEjNS1_19radix_merge_compareILb0ELb0EjNS0_19identity_decomposerEEEEE10hipError_tT0_T1_T2_jT3_P12ihipStream_tbPNSt15iterator_traitsISN_E10value_typeEPNST_ISO_E10value_typeEPSP_NS1_7vsmem_tEENKUlT_SN_SO_SP_E_clISG_PjSI_PS9_EESM_S12_SN_SO_SP_EUlS12_E_NS1_11comp_targetILNS1_3genE3ELNS1_11target_archE908ELNS1_3gpuE7ELNS1_3repE0EEENS1_48merge_mergepath_partition_config_static_selectorELNS0_4arch9wavefront6targetE0EEEvSO_
                                        ; -- End function
	.set _ZN7rocprim17ROCPRIM_400000_NS6detail17trampoline_kernelINS0_14default_configENS1_38merge_sort_block_merge_config_selectorIjN6thrust23THRUST_200600_302600_NS5tupleIffNS6_9null_typeES8_S8_S8_S8_S8_S8_S8_EEEEZZNS1_27merge_sort_block_merge_implIS3_NS6_6detail15normal_iteratorINS6_10device_ptrIjEEEENSD_INSE_IS9_EEEEjNS1_19radix_merge_compareILb0ELb0EjNS0_19identity_decomposerEEEEE10hipError_tT0_T1_T2_jT3_P12ihipStream_tbPNSt15iterator_traitsISN_E10value_typeEPNST_ISO_E10value_typeEPSP_NS1_7vsmem_tEENKUlT_SN_SO_SP_E_clISG_PjSI_PS9_EESM_S12_SN_SO_SP_EUlS12_E_NS1_11comp_targetILNS1_3genE3ELNS1_11target_archE908ELNS1_3gpuE7ELNS1_3repE0EEENS1_48merge_mergepath_partition_config_static_selectorELNS0_4arch9wavefront6targetE0EEEvSO_.num_vgpr, 0
	.set _ZN7rocprim17ROCPRIM_400000_NS6detail17trampoline_kernelINS0_14default_configENS1_38merge_sort_block_merge_config_selectorIjN6thrust23THRUST_200600_302600_NS5tupleIffNS6_9null_typeES8_S8_S8_S8_S8_S8_S8_EEEEZZNS1_27merge_sort_block_merge_implIS3_NS6_6detail15normal_iteratorINS6_10device_ptrIjEEEENSD_INSE_IS9_EEEEjNS1_19radix_merge_compareILb0ELb0EjNS0_19identity_decomposerEEEEE10hipError_tT0_T1_T2_jT3_P12ihipStream_tbPNSt15iterator_traitsISN_E10value_typeEPNST_ISO_E10value_typeEPSP_NS1_7vsmem_tEENKUlT_SN_SO_SP_E_clISG_PjSI_PS9_EESM_S12_SN_SO_SP_EUlS12_E_NS1_11comp_targetILNS1_3genE3ELNS1_11target_archE908ELNS1_3gpuE7ELNS1_3repE0EEENS1_48merge_mergepath_partition_config_static_selectorELNS0_4arch9wavefront6targetE0EEEvSO_.num_agpr, 0
	.set _ZN7rocprim17ROCPRIM_400000_NS6detail17trampoline_kernelINS0_14default_configENS1_38merge_sort_block_merge_config_selectorIjN6thrust23THRUST_200600_302600_NS5tupleIffNS6_9null_typeES8_S8_S8_S8_S8_S8_S8_EEEEZZNS1_27merge_sort_block_merge_implIS3_NS6_6detail15normal_iteratorINS6_10device_ptrIjEEEENSD_INSE_IS9_EEEEjNS1_19radix_merge_compareILb0ELb0EjNS0_19identity_decomposerEEEEE10hipError_tT0_T1_T2_jT3_P12ihipStream_tbPNSt15iterator_traitsISN_E10value_typeEPNST_ISO_E10value_typeEPSP_NS1_7vsmem_tEENKUlT_SN_SO_SP_E_clISG_PjSI_PS9_EESM_S12_SN_SO_SP_EUlS12_E_NS1_11comp_targetILNS1_3genE3ELNS1_11target_archE908ELNS1_3gpuE7ELNS1_3repE0EEENS1_48merge_mergepath_partition_config_static_selectorELNS0_4arch9wavefront6targetE0EEEvSO_.numbered_sgpr, 0
	.set _ZN7rocprim17ROCPRIM_400000_NS6detail17trampoline_kernelINS0_14default_configENS1_38merge_sort_block_merge_config_selectorIjN6thrust23THRUST_200600_302600_NS5tupleIffNS6_9null_typeES8_S8_S8_S8_S8_S8_S8_EEEEZZNS1_27merge_sort_block_merge_implIS3_NS6_6detail15normal_iteratorINS6_10device_ptrIjEEEENSD_INSE_IS9_EEEEjNS1_19radix_merge_compareILb0ELb0EjNS0_19identity_decomposerEEEEE10hipError_tT0_T1_T2_jT3_P12ihipStream_tbPNSt15iterator_traitsISN_E10value_typeEPNST_ISO_E10value_typeEPSP_NS1_7vsmem_tEENKUlT_SN_SO_SP_E_clISG_PjSI_PS9_EESM_S12_SN_SO_SP_EUlS12_E_NS1_11comp_targetILNS1_3genE3ELNS1_11target_archE908ELNS1_3gpuE7ELNS1_3repE0EEENS1_48merge_mergepath_partition_config_static_selectorELNS0_4arch9wavefront6targetE0EEEvSO_.num_named_barrier, 0
	.set _ZN7rocprim17ROCPRIM_400000_NS6detail17trampoline_kernelINS0_14default_configENS1_38merge_sort_block_merge_config_selectorIjN6thrust23THRUST_200600_302600_NS5tupleIffNS6_9null_typeES8_S8_S8_S8_S8_S8_S8_EEEEZZNS1_27merge_sort_block_merge_implIS3_NS6_6detail15normal_iteratorINS6_10device_ptrIjEEEENSD_INSE_IS9_EEEEjNS1_19radix_merge_compareILb0ELb0EjNS0_19identity_decomposerEEEEE10hipError_tT0_T1_T2_jT3_P12ihipStream_tbPNSt15iterator_traitsISN_E10value_typeEPNST_ISO_E10value_typeEPSP_NS1_7vsmem_tEENKUlT_SN_SO_SP_E_clISG_PjSI_PS9_EESM_S12_SN_SO_SP_EUlS12_E_NS1_11comp_targetILNS1_3genE3ELNS1_11target_archE908ELNS1_3gpuE7ELNS1_3repE0EEENS1_48merge_mergepath_partition_config_static_selectorELNS0_4arch9wavefront6targetE0EEEvSO_.private_seg_size, 0
	.set _ZN7rocprim17ROCPRIM_400000_NS6detail17trampoline_kernelINS0_14default_configENS1_38merge_sort_block_merge_config_selectorIjN6thrust23THRUST_200600_302600_NS5tupleIffNS6_9null_typeES8_S8_S8_S8_S8_S8_S8_EEEEZZNS1_27merge_sort_block_merge_implIS3_NS6_6detail15normal_iteratorINS6_10device_ptrIjEEEENSD_INSE_IS9_EEEEjNS1_19radix_merge_compareILb0ELb0EjNS0_19identity_decomposerEEEEE10hipError_tT0_T1_T2_jT3_P12ihipStream_tbPNSt15iterator_traitsISN_E10value_typeEPNST_ISO_E10value_typeEPSP_NS1_7vsmem_tEENKUlT_SN_SO_SP_E_clISG_PjSI_PS9_EESM_S12_SN_SO_SP_EUlS12_E_NS1_11comp_targetILNS1_3genE3ELNS1_11target_archE908ELNS1_3gpuE7ELNS1_3repE0EEENS1_48merge_mergepath_partition_config_static_selectorELNS0_4arch9wavefront6targetE0EEEvSO_.uses_vcc, 0
	.set _ZN7rocprim17ROCPRIM_400000_NS6detail17trampoline_kernelINS0_14default_configENS1_38merge_sort_block_merge_config_selectorIjN6thrust23THRUST_200600_302600_NS5tupleIffNS6_9null_typeES8_S8_S8_S8_S8_S8_S8_EEEEZZNS1_27merge_sort_block_merge_implIS3_NS6_6detail15normal_iteratorINS6_10device_ptrIjEEEENSD_INSE_IS9_EEEEjNS1_19radix_merge_compareILb0ELb0EjNS0_19identity_decomposerEEEEE10hipError_tT0_T1_T2_jT3_P12ihipStream_tbPNSt15iterator_traitsISN_E10value_typeEPNST_ISO_E10value_typeEPSP_NS1_7vsmem_tEENKUlT_SN_SO_SP_E_clISG_PjSI_PS9_EESM_S12_SN_SO_SP_EUlS12_E_NS1_11comp_targetILNS1_3genE3ELNS1_11target_archE908ELNS1_3gpuE7ELNS1_3repE0EEENS1_48merge_mergepath_partition_config_static_selectorELNS0_4arch9wavefront6targetE0EEEvSO_.uses_flat_scratch, 0
	.set _ZN7rocprim17ROCPRIM_400000_NS6detail17trampoline_kernelINS0_14default_configENS1_38merge_sort_block_merge_config_selectorIjN6thrust23THRUST_200600_302600_NS5tupleIffNS6_9null_typeES8_S8_S8_S8_S8_S8_S8_EEEEZZNS1_27merge_sort_block_merge_implIS3_NS6_6detail15normal_iteratorINS6_10device_ptrIjEEEENSD_INSE_IS9_EEEEjNS1_19radix_merge_compareILb0ELb0EjNS0_19identity_decomposerEEEEE10hipError_tT0_T1_T2_jT3_P12ihipStream_tbPNSt15iterator_traitsISN_E10value_typeEPNST_ISO_E10value_typeEPSP_NS1_7vsmem_tEENKUlT_SN_SO_SP_E_clISG_PjSI_PS9_EESM_S12_SN_SO_SP_EUlS12_E_NS1_11comp_targetILNS1_3genE3ELNS1_11target_archE908ELNS1_3gpuE7ELNS1_3repE0EEENS1_48merge_mergepath_partition_config_static_selectorELNS0_4arch9wavefront6targetE0EEEvSO_.has_dyn_sized_stack, 0
	.set _ZN7rocprim17ROCPRIM_400000_NS6detail17trampoline_kernelINS0_14default_configENS1_38merge_sort_block_merge_config_selectorIjN6thrust23THRUST_200600_302600_NS5tupleIffNS6_9null_typeES8_S8_S8_S8_S8_S8_S8_EEEEZZNS1_27merge_sort_block_merge_implIS3_NS6_6detail15normal_iteratorINS6_10device_ptrIjEEEENSD_INSE_IS9_EEEEjNS1_19radix_merge_compareILb0ELb0EjNS0_19identity_decomposerEEEEE10hipError_tT0_T1_T2_jT3_P12ihipStream_tbPNSt15iterator_traitsISN_E10value_typeEPNST_ISO_E10value_typeEPSP_NS1_7vsmem_tEENKUlT_SN_SO_SP_E_clISG_PjSI_PS9_EESM_S12_SN_SO_SP_EUlS12_E_NS1_11comp_targetILNS1_3genE3ELNS1_11target_archE908ELNS1_3gpuE7ELNS1_3repE0EEENS1_48merge_mergepath_partition_config_static_selectorELNS0_4arch9wavefront6targetE0EEEvSO_.has_recursion, 0
	.set _ZN7rocprim17ROCPRIM_400000_NS6detail17trampoline_kernelINS0_14default_configENS1_38merge_sort_block_merge_config_selectorIjN6thrust23THRUST_200600_302600_NS5tupleIffNS6_9null_typeES8_S8_S8_S8_S8_S8_S8_EEEEZZNS1_27merge_sort_block_merge_implIS3_NS6_6detail15normal_iteratorINS6_10device_ptrIjEEEENSD_INSE_IS9_EEEEjNS1_19radix_merge_compareILb0ELb0EjNS0_19identity_decomposerEEEEE10hipError_tT0_T1_T2_jT3_P12ihipStream_tbPNSt15iterator_traitsISN_E10value_typeEPNST_ISO_E10value_typeEPSP_NS1_7vsmem_tEENKUlT_SN_SO_SP_E_clISG_PjSI_PS9_EESM_S12_SN_SO_SP_EUlS12_E_NS1_11comp_targetILNS1_3genE3ELNS1_11target_archE908ELNS1_3gpuE7ELNS1_3repE0EEENS1_48merge_mergepath_partition_config_static_selectorELNS0_4arch9wavefront6targetE0EEEvSO_.has_indirect_call, 0
	.section	.AMDGPU.csdata,"",@progbits
; Kernel info:
; codeLenInByte = 0
; TotalNumSgprs: 0
; NumVgprs: 0
; ScratchSize: 0
; MemoryBound: 0
; FloatMode: 240
; IeeeMode: 1
; LDSByteSize: 0 bytes/workgroup (compile time only)
; SGPRBlocks: 0
; VGPRBlocks: 0
; NumSGPRsForWavesPerEU: 1
; NumVGPRsForWavesPerEU: 1
; Occupancy: 16
; WaveLimiterHint : 0
; COMPUTE_PGM_RSRC2:SCRATCH_EN: 0
; COMPUTE_PGM_RSRC2:USER_SGPR: 6
; COMPUTE_PGM_RSRC2:TRAP_HANDLER: 0
; COMPUTE_PGM_RSRC2:TGID_X_EN: 1
; COMPUTE_PGM_RSRC2:TGID_Y_EN: 0
; COMPUTE_PGM_RSRC2:TGID_Z_EN: 0
; COMPUTE_PGM_RSRC2:TIDIG_COMP_CNT: 0
	.section	.text._ZN7rocprim17ROCPRIM_400000_NS6detail17trampoline_kernelINS0_14default_configENS1_38merge_sort_block_merge_config_selectorIjN6thrust23THRUST_200600_302600_NS5tupleIffNS6_9null_typeES8_S8_S8_S8_S8_S8_S8_EEEEZZNS1_27merge_sort_block_merge_implIS3_NS6_6detail15normal_iteratorINS6_10device_ptrIjEEEENSD_INSE_IS9_EEEEjNS1_19radix_merge_compareILb0ELb0EjNS0_19identity_decomposerEEEEE10hipError_tT0_T1_T2_jT3_P12ihipStream_tbPNSt15iterator_traitsISN_E10value_typeEPNST_ISO_E10value_typeEPSP_NS1_7vsmem_tEENKUlT_SN_SO_SP_E_clISG_PjSI_PS9_EESM_S12_SN_SO_SP_EUlS12_E_NS1_11comp_targetILNS1_3genE2ELNS1_11target_archE906ELNS1_3gpuE6ELNS1_3repE0EEENS1_48merge_mergepath_partition_config_static_selectorELNS0_4arch9wavefront6targetE0EEEvSO_,"axG",@progbits,_ZN7rocprim17ROCPRIM_400000_NS6detail17trampoline_kernelINS0_14default_configENS1_38merge_sort_block_merge_config_selectorIjN6thrust23THRUST_200600_302600_NS5tupleIffNS6_9null_typeES8_S8_S8_S8_S8_S8_S8_EEEEZZNS1_27merge_sort_block_merge_implIS3_NS6_6detail15normal_iteratorINS6_10device_ptrIjEEEENSD_INSE_IS9_EEEEjNS1_19radix_merge_compareILb0ELb0EjNS0_19identity_decomposerEEEEE10hipError_tT0_T1_T2_jT3_P12ihipStream_tbPNSt15iterator_traitsISN_E10value_typeEPNST_ISO_E10value_typeEPSP_NS1_7vsmem_tEENKUlT_SN_SO_SP_E_clISG_PjSI_PS9_EESM_S12_SN_SO_SP_EUlS12_E_NS1_11comp_targetILNS1_3genE2ELNS1_11target_archE906ELNS1_3gpuE6ELNS1_3repE0EEENS1_48merge_mergepath_partition_config_static_selectorELNS0_4arch9wavefront6targetE0EEEvSO_,comdat
	.protected	_ZN7rocprim17ROCPRIM_400000_NS6detail17trampoline_kernelINS0_14default_configENS1_38merge_sort_block_merge_config_selectorIjN6thrust23THRUST_200600_302600_NS5tupleIffNS6_9null_typeES8_S8_S8_S8_S8_S8_S8_EEEEZZNS1_27merge_sort_block_merge_implIS3_NS6_6detail15normal_iteratorINS6_10device_ptrIjEEEENSD_INSE_IS9_EEEEjNS1_19radix_merge_compareILb0ELb0EjNS0_19identity_decomposerEEEEE10hipError_tT0_T1_T2_jT3_P12ihipStream_tbPNSt15iterator_traitsISN_E10value_typeEPNST_ISO_E10value_typeEPSP_NS1_7vsmem_tEENKUlT_SN_SO_SP_E_clISG_PjSI_PS9_EESM_S12_SN_SO_SP_EUlS12_E_NS1_11comp_targetILNS1_3genE2ELNS1_11target_archE906ELNS1_3gpuE6ELNS1_3repE0EEENS1_48merge_mergepath_partition_config_static_selectorELNS0_4arch9wavefront6targetE0EEEvSO_ ; -- Begin function _ZN7rocprim17ROCPRIM_400000_NS6detail17trampoline_kernelINS0_14default_configENS1_38merge_sort_block_merge_config_selectorIjN6thrust23THRUST_200600_302600_NS5tupleIffNS6_9null_typeES8_S8_S8_S8_S8_S8_S8_EEEEZZNS1_27merge_sort_block_merge_implIS3_NS6_6detail15normal_iteratorINS6_10device_ptrIjEEEENSD_INSE_IS9_EEEEjNS1_19radix_merge_compareILb0ELb0EjNS0_19identity_decomposerEEEEE10hipError_tT0_T1_T2_jT3_P12ihipStream_tbPNSt15iterator_traitsISN_E10value_typeEPNST_ISO_E10value_typeEPSP_NS1_7vsmem_tEENKUlT_SN_SO_SP_E_clISG_PjSI_PS9_EESM_S12_SN_SO_SP_EUlS12_E_NS1_11comp_targetILNS1_3genE2ELNS1_11target_archE906ELNS1_3gpuE6ELNS1_3repE0EEENS1_48merge_mergepath_partition_config_static_selectorELNS0_4arch9wavefront6targetE0EEEvSO_
	.globl	_ZN7rocprim17ROCPRIM_400000_NS6detail17trampoline_kernelINS0_14default_configENS1_38merge_sort_block_merge_config_selectorIjN6thrust23THRUST_200600_302600_NS5tupleIffNS6_9null_typeES8_S8_S8_S8_S8_S8_S8_EEEEZZNS1_27merge_sort_block_merge_implIS3_NS6_6detail15normal_iteratorINS6_10device_ptrIjEEEENSD_INSE_IS9_EEEEjNS1_19radix_merge_compareILb0ELb0EjNS0_19identity_decomposerEEEEE10hipError_tT0_T1_T2_jT3_P12ihipStream_tbPNSt15iterator_traitsISN_E10value_typeEPNST_ISO_E10value_typeEPSP_NS1_7vsmem_tEENKUlT_SN_SO_SP_E_clISG_PjSI_PS9_EESM_S12_SN_SO_SP_EUlS12_E_NS1_11comp_targetILNS1_3genE2ELNS1_11target_archE906ELNS1_3gpuE6ELNS1_3repE0EEENS1_48merge_mergepath_partition_config_static_selectorELNS0_4arch9wavefront6targetE0EEEvSO_
	.p2align	8
	.type	_ZN7rocprim17ROCPRIM_400000_NS6detail17trampoline_kernelINS0_14default_configENS1_38merge_sort_block_merge_config_selectorIjN6thrust23THRUST_200600_302600_NS5tupleIffNS6_9null_typeES8_S8_S8_S8_S8_S8_S8_EEEEZZNS1_27merge_sort_block_merge_implIS3_NS6_6detail15normal_iteratorINS6_10device_ptrIjEEEENSD_INSE_IS9_EEEEjNS1_19radix_merge_compareILb0ELb0EjNS0_19identity_decomposerEEEEE10hipError_tT0_T1_T2_jT3_P12ihipStream_tbPNSt15iterator_traitsISN_E10value_typeEPNST_ISO_E10value_typeEPSP_NS1_7vsmem_tEENKUlT_SN_SO_SP_E_clISG_PjSI_PS9_EESM_S12_SN_SO_SP_EUlS12_E_NS1_11comp_targetILNS1_3genE2ELNS1_11target_archE906ELNS1_3gpuE6ELNS1_3repE0EEENS1_48merge_mergepath_partition_config_static_selectorELNS0_4arch9wavefront6targetE0EEEvSO_,@function
_ZN7rocprim17ROCPRIM_400000_NS6detail17trampoline_kernelINS0_14default_configENS1_38merge_sort_block_merge_config_selectorIjN6thrust23THRUST_200600_302600_NS5tupleIffNS6_9null_typeES8_S8_S8_S8_S8_S8_S8_EEEEZZNS1_27merge_sort_block_merge_implIS3_NS6_6detail15normal_iteratorINS6_10device_ptrIjEEEENSD_INSE_IS9_EEEEjNS1_19radix_merge_compareILb0ELb0EjNS0_19identity_decomposerEEEEE10hipError_tT0_T1_T2_jT3_P12ihipStream_tbPNSt15iterator_traitsISN_E10value_typeEPNST_ISO_E10value_typeEPSP_NS1_7vsmem_tEENKUlT_SN_SO_SP_E_clISG_PjSI_PS9_EESM_S12_SN_SO_SP_EUlS12_E_NS1_11comp_targetILNS1_3genE2ELNS1_11target_archE906ELNS1_3gpuE6ELNS1_3repE0EEENS1_48merge_mergepath_partition_config_static_selectorELNS0_4arch9wavefront6targetE0EEEvSO_: ; @_ZN7rocprim17ROCPRIM_400000_NS6detail17trampoline_kernelINS0_14default_configENS1_38merge_sort_block_merge_config_selectorIjN6thrust23THRUST_200600_302600_NS5tupleIffNS6_9null_typeES8_S8_S8_S8_S8_S8_S8_EEEEZZNS1_27merge_sort_block_merge_implIS3_NS6_6detail15normal_iteratorINS6_10device_ptrIjEEEENSD_INSE_IS9_EEEEjNS1_19radix_merge_compareILb0ELb0EjNS0_19identity_decomposerEEEEE10hipError_tT0_T1_T2_jT3_P12ihipStream_tbPNSt15iterator_traitsISN_E10value_typeEPNST_ISO_E10value_typeEPSP_NS1_7vsmem_tEENKUlT_SN_SO_SP_E_clISG_PjSI_PS9_EESM_S12_SN_SO_SP_EUlS12_E_NS1_11comp_targetILNS1_3genE2ELNS1_11target_archE906ELNS1_3gpuE6ELNS1_3repE0EEENS1_48merge_mergepath_partition_config_static_selectorELNS0_4arch9wavefront6targetE0EEEvSO_
; %bb.0:
	.section	.rodata,"a",@progbits
	.p2align	6, 0x0
	.amdhsa_kernel _ZN7rocprim17ROCPRIM_400000_NS6detail17trampoline_kernelINS0_14default_configENS1_38merge_sort_block_merge_config_selectorIjN6thrust23THRUST_200600_302600_NS5tupleIffNS6_9null_typeES8_S8_S8_S8_S8_S8_S8_EEEEZZNS1_27merge_sort_block_merge_implIS3_NS6_6detail15normal_iteratorINS6_10device_ptrIjEEEENSD_INSE_IS9_EEEEjNS1_19radix_merge_compareILb0ELb0EjNS0_19identity_decomposerEEEEE10hipError_tT0_T1_T2_jT3_P12ihipStream_tbPNSt15iterator_traitsISN_E10value_typeEPNST_ISO_E10value_typeEPSP_NS1_7vsmem_tEENKUlT_SN_SO_SP_E_clISG_PjSI_PS9_EESM_S12_SN_SO_SP_EUlS12_E_NS1_11comp_targetILNS1_3genE2ELNS1_11target_archE906ELNS1_3gpuE6ELNS1_3repE0EEENS1_48merge_mergepath_partition_config_static_selectorELNS0_4arch9wavefront6targetE0EEEvSO_
		.amdhsa_group_segment_fixed_size 0
		.amdhsa_private_segment_fixed_size 0
		.amdhsa_kernarg_size 40
		.amdhsa_user_sgpr_count 6
		.amdhsa_user_sgpr_private_segment_buffer 1
		.amdhsa_user_sgpr_dispatch_ptr 0
		.amdhsa_user_sgpr_queue_ptr 0
		.amdhsa_user_sgpr_kernarg_segment_ptr 1
		.amdhsa_user_sgpr_dispatch_id 0
		.amdhsa_user_sgpr_flat_scratch_init 0
		.amdhsa_user_sgpr_private_segment_size 0
		.amdhsa_wavefront_size32 1
		.amdhsa_uses_dynamic_stack 0
		.amdhsa_system_sgpr_private_segment_wavefront_offset 0
		.amdhsa_system_sgpr_workgroup_id_x 1
		.amdhsa_system_sgpr_workgroup_id_y 0
		.amdhsa_system_sgpr_workgroup_id_z 0
		.amdhsa_system_sgpr_workgroup_info 0
		.amdhsa_system_vgpr_workitem_id 0
		.amdhsa_next_free_vgpr 1
		.amdhsa_next_free_sgpr 1
		.amdhsa_reserve_vcc 0
		.amdhsa_reserve_flat_scratch 0
		.amdhsa_float_round_mode_32 0
		.amdhsa_float_round_mode_16_64 0
		.amdhsa_float_denorm_mode_32 3
		.amdhsa_float_denorm_mode_16_64 3
		.amdhsa_dx10_clamp 1
		.amdhsa_ieee_mode 1
		.amdhsa_fp16_overflow 0
		.amdhsa_workgroup_processor_mode 1
		.amdhsa_memory_ordered 1
		.amdhsa_forward_progress 1
		.amdhsa_shared_vgpr_count 0
		.amdhsa_exception_fp_ieee_invalid_op 0
		.amdhsa_exception_fp_denorm_src 0
		.amdhsa_exception_fp_ieee_div_zero 0
		.amdhsa_exception_fp_ieee_overflow 0
		.amdhsa_exception_fp_ieee_underflow 0
		.amdhsa_exception_fp_ieee_inexact 0
		.amdhsa_exception_int_div_zero 0
	.end_amdhsa_kernel
	.section	.text._ZN7rocprim17ROCPRIM_400000_NS6detail17trampoline_kernelINS0_14default_configENS1_38merge_sort_block_merge_config_selectorIjN6thrust23THRUST_200600_302600_NS5tupleIffNS6_9null_typeES8_S8_S8_S8_S8_S8_S8_EEEEZZNS1_27merge_sort_block_merge_implIS3_NS6_6detail15normal_iteratorINS6_10device_ptrIjEEEENSD_INSE_IS9_EEEEjNS1_19radix_merge_compareILb0ELb0EjNS0_19identity_decomposerEEEEE10hipError_tT0_T1_T2_jT3_P12ihipStream_tbPNSt15iterator_traitsISN_E10value_typeEPNST_ISO_E10value_typeEPSP_NS1_7vsmem_tEENKUlT_SN_SO_SP_E_clISG_PjSI_PS9_EESM_S12_SN_SO_SP_EUlS12_E_NS1_11comp_targetILNS1_3genE2ELNS1_11target_archE906ELNS1_3gpuE6ELNS1_3repE0EEENS1_48merge_mergepath_partition_config_static_selectorELNS0_4arch9wavefront6targetE0EEEvSO_,"axG",@progbits,_ZN7rocprim17ROCPRIM_400000_NS6detail17trampoline_kernelINS0_14default_configENS1_38merge_sort_block_merge_config_selectorIjN6thrust23THRUST_200600_302600_NS5tupleIffNS6_9null_typeES8_S8_S8_S8_S8_S8_S8_EEEEZZNS1_27merge_sort_block_merge_implIS3_NS6_6detail15normal_iteratorINS6_10device_ptrIjEEEENSD_INSE_IS9_EEEEjNS1_19radix_merge_compareILb0ELb0EjNS0_19identity_decomposerEEEEE10hipError_tT0_T1_T2_jT3_P12ihipStream_tbPNSt15iterator_traitsISN_E10value_typeEPNST_ISO_E10value_typeEPSP_NS1_7vsmem_tEENKUlT_SN_SO_SP_E_clISG_PjSI_PS9_EESM_S12_SN_SO_SP_EUlS12_E_NS1_11comp_targetILNS1_3genE2ELNS1_11target_archE906ELNS1_3gpuE6ELNS1_3repE0EEENS1_48merge_mergepath_partition_config_static_selectorELNS0_4arch9wavefront6targetE0EEEvSO_,comdat
.Lfunc_end54:
	.size	_ZN7rocprim17ROCPRIM_400000_NS6detail17trampoline_kernelINS0_14default_configENS1_38merge_sort_block_merge_config_selectorIjN6thrust23THRUST_200600_302600_NS5tupleIffNS6_9null_typeES8_S8_S8_S8_S8_S8_S8_EEEEZZNS1_27merge_sort_block_merge_implIS3_NS6_6detail15normal_iteratorINS6_10device_ptrIjEEEENSD_INSE_IS9_EEEEjNS1_19radix_merge_compareILb0ELb0EjNS0_19identity_decomposerEEEEE10hipError_tT0_T1_T2_jT3_P12ihipStream_tbPNSt15iterator_traitsISN_E10value_typeEPNST_ISO_E10value_typeEPSP_NS1_7vsmem_tEENKUlT_SN_SO_SP_E_clISG_PjSI_PS9_EESM_S12_SN_SO_SP_EUlS12_E_NS1_11comp_targetILNS1_3genE2ELNS1_11target_archE906ELNS1_3gpuE6ELNS1_3repE0EEENS1_48merge_mergepath_partition_config_static_selectorELNS0_4arch9wavefront6targetE0EEEvSO_, .Lfunc_end54-_ZN7rocprim17ROCPRIM_400000_NS6detail17trampoline_kernelINS0_14default_configENS1_38merge_sort_block_merge_config_selectorIjN6thrust23THRUST_200600_302600_NS5tupleIffNS6_9null_typeES8_S8_S8_S8_S8_S8_S8_EEEEZZNS1_27merge_sort_block_merge_implIS3_NS6_6detail15normal_iteratorINS6_10device_ptrIjEEEENSD_INSE_IS9_EEEEjNS1_19radix_merge_compareILb0ELb0EjNS0_19identity_decomposerEEEEE10hipError_tT0_T1_T2_jT3_P12ihipStream_tbPNSt15iterator_traitsISN_E10value_typeEPNST_ISO_E10value_typeEPSP_NS1_7vsmem_tEENKUlT_SN_SO_SP_E_clISG_PjSI_PS9_EESM_S12_SN_SO_SP_EUlS12_E_NS1_11comp_targetILNS1_3genE2ELNS1_11target_archE906ELNS1_3gpuE6ELNS1_3repE0EEENS1_48merge_mergepath_partition_config_static_selectorELNS0_4arch9wavefront6targetE0EEEvSO_
                                        ; -- End function
	.set _ZN7rocprim17ROCPRIM_400000_NS6detail17trampoline_kernelINS0_14default_configENS1_38merge_sort_block_merge_config_selectorIjN6thrust23THRUST_200600_302600_NS5tupleIffNS6_9null_typeES8_S8_S8_S8_S8_S8_S8_EEEEZZNS1_27merge_sort_block_merge_implIS3_NS6_6detail15normal_iteratorINS6_10device_ptrIjEEEENSD_INSE_IS9_EEEEjNS1_19radix_merge_compareILb0ELb0EjNS0_19identity_decomposerEEEEE10hipError_tT0_T1_T2_jT3_P12ihipStream_tbPNSt15iterator_traitsISN_E10value_typeEPNST_ISO_E10value_typeEPSP_NS1_7vsmem_tEENKUlT_SN_SO_SP_E_clISG_PjSI_PS9_EESM_S12_SN_SO_SP_EUlS12_E_NS1_11comp_targetILNS1_3genE2ELNS1_11target_archE906ELNS1_3gpuE6ELNS1_3repE0EEENS1_48merge_mergepath_partition_config_static_selectorELNS0_4arch9wavefront6targetE0EEEvSO_.num_vgpr, 0
	.set _ZN7rocprim17ROCPRIM_400000_NS6detail17trampoline_kernelINS0_14default_configENS1_38merge_sort_block_merge_config_selectorIjN6thrust23THRUST_200600_302600_NS5tupleIffNS6_9null_typeES8_S8_S8_S8_S8_S8_S8_EEEEZZNS1_27merge_sort_block_merge_implIS3_NS6_6detail15normal_iteratorINS6_10device_ptrIjEEEENSD_INSE_IS9_EEEEjNS1_19radix_merge_compareILb0ELb0EjNS0_19identity_decomposerEEEEE10hipError_tT0_T1_T2_jT3_P12ihipStream_tbPNSt15iterator_traitsISN_E10value_typeEPNST_ISO_E10value_typeEPSP_NS1_7vsmem_tEENKUlT_SN_SO_SP_E_clISG_PjSI_PS9_EESM_S12_SN_SO_SP_EUlS12_E_NS1_11comp_targetILNS1_3genE2ELNS1_11target_archE906ELNS1_3gpuE6ELNS1_3repE0EEENS1_48merge_mergepath_partition_config_static_selectorELNS0_4arch9wavefront6targetE0EEEvSO_.num_agpr, 0
	.set _ZN7rocprim17ROCPRIM_400000_NS6detail17trampoline_kernelINS0_14default_configENS1_38merge_sort_block_merge_config_selectorIjN6thrust23THRUST_200600_302600_NS5tupleIffNS6_9null_typeES8_S8_S8_S8_S8_S8_S8_EEEEZZNS1_27merge_sort_block_merge_implIS3_NS6_6detail15normal_iteratorINS6_10device_ptrIjEEEENSD_INSE_IS9_EEEEjNS1_19radix_merge_compareILb0ELb0EjNS0_19identity_decomposerEEEEE10hipError_tT0_T1_T2_jT3_P12ihipStream_tbPNSt15iterator_traitsISN_E10value_typeEPNST_ISO_E10value_typeEPSP_NS1_7vsmem_tEENKUlT_SN_SO_SP_E_clISG_PjSI_PS9_EESM_S12_SN_SO_SP_EUlS12_E_NS1_11comp_targetILNS1_3genE2ELNS1_11target_archE906ELNS1_3gpuE6ELNS1_3repE0EEENS1_48merge_mergepath_partition_config_static_selectorELNS0_4arch9wavefront6targetE0EEEvSO_.numbered_sgpr, 0
	.set _ZN7rocprim17ROCPRIM_400000_NS6detail17trampoline_kernelINS0_14default_configENS1_38merge_sort_block_merge_config_selectorIjN6thrust23THRUST_200600_302600_NS5tupleIffNS6_9null_typeES8_S8_S8_S8_S8_S8_S8_EEEEZZNS1_27merge_sort_block_merge_implIS3_NS6_6detail15normal_iteratorINS6_10device_ptrIjEEEENSD_INSE_IS9_EEEEjNS1_19radix_merge_compareILb0ELb0EjNS0_19identity_decomposerEEEEE10hipError_tT0_T1_T2_jT3_P12ihipStream_tbPNSt15iterator_traitsISN_E10value_typeEPNST_ISO_E10value_typeEPSP_NS1_7vsmem_tEENKUlT_SN_SO_SP_E_clISG_PjSI_PS9_EESM_S12_SN_SO_SP_EUlS12_E_NS1_11comp_targetILNS1_3genE2ELNS1_11target_archE906ELNS1_3gpuE6ELNS1_3repE0EEENS1_48merge_mergepath_partition_config_static_selectorELNS0_4arch9wavefront6targetE0EEEvSO_.num_named_barrier, 0
	.set _ZN7rocprim17ROCPRIM_400000_NS6detail17trampoline_kernelINS0_14default_configENS1_38merge_sort_block_merge_config_selectorIjN6thrust23THRUST_200600_302600_NS5tupleIffNS6_9null_typeES8_S8_S8_S8_S8_S8_S8_EEEEZZNS1_27merge_sort_block_merge_implIS3_NS6_6detail15normal_iteratorINS6_10device_ptrIjEEEENSD_INSE_IS9_EEEEjNS1_19radix_merge_compareILb0ELb0EjNS0_19identity_decomposerEEEEE10hipError_tT0_T1_T2_jT3_P12ihipStream_tbPNSt15iterator_traitsISN_E10value_typeEPNST_ISO_E10value_typeEPSP_NS1_7vsmem_tEENKUlT_SN_SO_SP_E_clISG_PjSI_PS9_EESM_S12_SN_SO_SP_EUlS12_E_NS1_11comp_targetILNS1_3genE2ELNS1_11target_archE906ELNS1_3gpuE6ELNS1_3repE0EEENS1_48merge_mergepath_partition_config_static_selectorELNS0_4arch9wavefront6targetE0EEEvSO_.private_seg_size, 0
	.set _ZN7rocprim17ROCPRIM_400000_NS6detail17trampoline_kernelINS0_14default_configENS1_38merge_sort_block_merge_config_selectorIjN6thrust23THRUST_200600_302600_NS5tupleIffNS6_9null_typeES8_S8_S8_S8_S8_S8_S8_EEEEZZNS1_27merge_sort_block_merge_implIS3_NS6_6detail15normal_iteratorINS6_10device_ptrIjEEEENSD_INSE_IS9_EEEEjNS1_19radix_merge_compareILb0ELb0EjNS0_19identity_decomposerEEEEE10hipError_tT0_T1_T2_jT3_P12ihipStream_tbPNSt15iterator_traitsISN_E10value_typeEPNST_ISO_E10value_typeEPSP_NS1_7vsmem_tEENKUlT_SN_SO_SP_E_clISG_PjSI_PS9_EESM_S12_SN_SO_SP_EUlS12_E_NS1_11comp_targetILNS1_3genE2ELNS1_11target_archE906ELNS1_3gpuE6ELNS1_3repE0EEENS1_48merge_mergepath_partition_config_static_selectorELNS0_4arch9wavefront6targetE0EEEvSO_.uses_vcc, 0
	.set _ZN7rocprim17ROCPRIM_400000_NS6detail17trampoline_kernelINS0_14default_configENS1_38merge_sort_block_merge_config_selectorIjN6thrust23THRUST_200600_302600_NS5tupleIffNS6_9null_typeES8_S8_S8_S8_S8_S8_S8_EEEEZZNS1_27merge_sort_block_merge_implIS3_NS6_6detail15normal_iteratorINS6_10device_ptrIjEEEENSD_INSE_IS9_EEEEjNS1_19radix_merge_compareILb0ELb0EjNS0_19identity_decomposerEEEEE10hipError_tT0_T1_T2_jT3_P12ihipStream_tbPNSt15iterator_traitsISN_E10value_typeEPNST_ISO_E10value_typeEPSP_NS1_7vsmem_tEENKUlT_SN_SO_SP_E_clISG_PjSI_PS9_EESM_S12_SN_SO_SP_EUlS12_E_NS1_11comp_targetILNS1_3genE2ELNS1_11target_archE906ELNS1_3gpuE6ELNS1_3repE0EEENS1_48merge_mergepath_partition_config_static_selectorELNS0_4arch9wavefront6targetE0EEEvSO_.uses_flat_scratch, 0
	.set _ZN7rocprim17ROCPRIM_400000_NS6detail17trampoline_kernelINS0_14default_configENS1_38merge_sort_block_merge_config_selectorIjN6thrust23THRUST_200600_302600_NS5tupleIffNS6_9null_typeES8_S8_S8_S8_S8_S8_S8_EEEEZZNS1_27merge_sort_block_merge_implIS3_NS6_6detail15normal_iteratorINS6_10device_ptrIjEEEENSD_INSE_IS9_EEEEjNS1_19radix_merge_compareILb0ELb0EjNS0_19identity_decomposerEEEEE10hipError_tT0_T1_T2_jT3_P12ihipStream_tbPNSt15iterator_traitsISN_E10value_typeEPNST_ISO_E10value_typeEPSP_NS1_7vsmem_tEENKUlT_SN_SO_SP_E_clISG_PjSI_PS9_EESM_S12_SN_SO_SP_EUlS12_E_NS1_11comp_targetILNS1_3genE2ELNS1_11target_archE906ELNS1_3gpuE6ELNS1_3repE0EEENS1_48merge_mergepath_partition_config_static_selectorELNS0_4arch9wavefront6targetE0EEEvSO_.has_dyn_sized_stack, 0
	.set _ZN7rocprim17ROCPRIM_400000_NS6detail17trampoline_kernelINS0_14default_configENS1_38merge_sort_block_merge_config_selectorIjN6thrust23THRUST_200600_302600_NS5tupleIffNS6_9null_typeES8_S8_S8_S8_S8_S8_S8_EEEEZZNS1_27merge_sort_block_merge_implIS3_NS6_6detail15normal_iteratorINS6_10device_ptrIjEEEENSD_INSE_IS9_EEEEjNS1_19radix_merge_compareILb0ELb0EjNS0_19identity_decomposerEEEEE10hipError_tT0_T1_T2_jT3_P12ihipStream_tbPNSt15iterator_traitsISN_E10value_typeEPNST_ISO_E10value_typeEPSP_NS1_7vsmem_tEENKUlT_SN_SO_SP_E_clISG_PjSI_PS9_EESM_S12_SN_SO_SP_EUlS12_E_NS1_11comp_targetILNS1_3genE2ELNS1_11target_archE906ELNS1_3gpuE6ELNS1_3repE0EEENS1_48merge_mergepath_partition_config_static_selectorELNS0_4arch9wavefront6targetE0EEEvSO_.has_recursion, 0
	.set _ZN7rocprim17ROCPRIM_400000_NS6detail17trampoline_kernelINS0_14default_configENS1_38merge_sort_block_merge_config_selectorIjN6thrust23THRUST_200600_302600_NS5tupleIffNS6_9null_typeES8_S8_S8_S8_S8_S8_S8_EEEEZZNS1_27merge_sort_block_merge_implIS3_NS6_6detail15normal_iteratorINS6_10device_ptrIjEEEENSD_INSE_IS9_EEEEjNS1_19radix_merge_compareILb0ELb0EjNS0_19identity_decomposerEEEEE10hipError_tT0_T1_T2_jT3_P12ihipStream_tbPNSt15iterator_traitsISN_E10value_typeEPNST_ISO_E10value_typeEPSP_NS1_7vsmem_tEENKUlT_SN_SO_SP_E_clISG_PjSI_PS9_EESM_S12_SN_SO_SP_EUlS12_E_NS1_11comp_targetILNS1_3genE2ELNS1_11target_archE906ELNS1_3gpuE6ELNS1_3repE0EEENS1_48merge_mergepath_partition_config_static_selectorELNS0_4arch9wavefront6targetE0EEEvSO_.has_indirect_call, 0
	.section	.AMDGPU.csdata,"",@progbits
; Kernel info:
; codeLenInByte = 0
; TotalNumSgprs: 0
; NumVgprs: 0
; ScratchSize: 0
; MemoryBound: 0
; FloatMode: 240
; IeeeMode: 1
; LDSByteSize: 0 bytes/workgroup (compile time only)
; SGPRBlocks: 0
; VGPRBlocks: 0
; NumSGPRsForWavesPerEU: 1
; NumVGPRsForWavesPerEU: 1
; Occupancy: 16
; WaveLimiterHint : 0
; COMPUTE_PGM_RSRC2:SCRATCH_EN: 0
; COMPUTE_PGM_RSRC2:USER_SGPR: 6
; COMPUTE_PGM_RSRC2:TRAP_HANDLER: 0
; COMPUTE_PGM_RSRC2:TGID_X_EN: 1
; COMPUTE_PGM_RSRC2:TGID_Y_EN: 0
; COMPUTE_PGM_RSRC2:TGID_Z_EN: 0
; COMPUTE_PGM_RSRC2:TIDIG_COMP_CNT: 0
	.section	.text._ZN7rocprim17ROCPRIM_400000_NS6detail17trampoline_kernelINS0_14default_configENS1_38merge_sort_block_merge_config_selectorIjN6thrust23THRUST_200600_302600_NS5tupleIffNS6_9null_typeES8_S8_S8_S8_S8_S8_S8_EEEEZZNS1_27merge_sort_block_merge_implIS3_NS6_6detail15normal_iteratorINS6_10device_ptrIjEEEENSD_INSE_IS9_EEEEjNS1_19radix_merge_compareILb0ELb0EjNS0_19identity_decomposerEEEEE10hipError_tT0_T1_T2_jT3_P12ihipStream_tbPNSt15iterator_traitsISN_E10value_typeEPNST_ISO_E10value_typeEPSP_NS1_7vsmem_tEENKUlT_SN_SO_SP_E_clISG_PjSI_PS9_EESM_S12_SN_SO_SP_EUlS12_E_NS1_11comp_targetILNS1_3genE9ELNS1_11target_archE1100ELNS1_3gpuE3ELNS1_3repE0EEENS1_48merge_mergepath_partition_config_static_selectorELNS0_4arch9wavefront6targetE0EEEvSO_,"axG",@progbits,_ZN7rocprim17ROCPRIM_400000_NS6detail17trampoline_kernelINS0_14default_configENS1_38merge_sort_block_merge_config_selectorIjN6thrust23THRUST_200600_302600_NS5tupleIffNS6_9null_typeES8_S8_S8_S8_S8_S8_S8_EEEEZZNS1_27merge_sort_block_merge_implIS3_NS6_6detail15normal_iteratorINS6_10device_ptrIjEEEENSD_INSE_IS9_EEEEjNS1_19radix_merge_compareILb0ELb0EjNS0_19identity_decomposerEEEEE10hipError_tT0_T1_T2_jT3_P12ihipStream_tbPNSt15iterator_traitsISN_E10value_typeEPNST_ISO_E10value_typeEPSP_NS1_7vsmem_tEENKUlT_SN_SO_SP_E_clISG_PjSI_PS9_EESM_S12_SN_SO_SP_EUlS12_E_NS1_11comp_targetILNS1_3genE9ELNS1_11target_archE1100ELNS1_3gpuE3ELNS1_3repE0EEENS1_48merge_mergepath_partition_config_static_selectorELNS0_4arch9wavefront6targetE0EEEvSO_,comdat
	.protected	_ZN7rocprim17ROCPRIM_400000_NS6detail17trampoline_kernelINS0_14default_configENS1_38merge_sort_block_merge_config_selectorIjN6thrust23THRUST_200600_302600_NS5tupleIffNS6_9null_typeES8_S8_S8_S8_S8_S8_S8_EEEEZZNS1_27merge_sort_block_merge_implIS3_NS6_6detail15normal_iteratorINS6_10device_ptrIjEEEENSD_INSE_IS9_EEEEjNS1_19radix_merge_compareILb0ELb0EjNS0_19identity_decomposerEEEEE10hipError_tT0_T1_T2_jT3_P12ihipStream_tbPNSt15iterator_traitsISN_E10value_typeEPNST_ISO_E10value_typeEPSP_NS1_7vsmem_tEENKUlT_SN_SO_SP_E_clISG_PjSI_PS9_EESM_S12_SN_SO_SP_EUlS12_E_NS1_11comp_targetILNS1_3genE9ELNS1_11target_archE1100ELNS1_3gpuE3ELNS1_3repE0EEENS1_48merge_mergepath_partition_config_static_selectorELNS0_4arch9wavefront6targetE0EEEvSO_ ; -- Begin function _ZN7rocprim17ROCPRIM_400000_NS6detail17trampoline_kernelINS0_14default_configENS1_38merge_sort_block_merge_config_selectorIjN6thrust23THRUST_200600_302600_NS5tupleIffNS6_9null_typeES8_S8_S8_S8_S8_S8_S8_EEEEZZNS1_27merge_sort_block_merge_implIS3_NS6_6detail15normal_iteratorINS6_10device_ptrIjEEEENSD_INSE_IS9_EEEEjNS1_19radix_merge_compareILb0ELb0EjNS0_19identity_decomposerEEEEE10hipError_tT0_T1_T2_jT3_P12ihipStream_tbPNSt15iterator_traitsISN_E10value_typeEPNST_ISO_E10value_typeEPSP_NS1_7vsmem_tEENKUlT_SN_SO_SP_E_clISG_PjSI_PS9_EESM_S12_SN_SO_SP_EUlS12_E_NS1_11comp_targetILNS1_3genE9ELNS1_11target_archE1100ELNS1_3gpuE3ELNS1_3repE0EEENS1_48merge_mergepath_partition_config_static_selectorELNS0_4arch9wavefront6targetE0EEEvSO_
	.globl	_ZN7rocprim17ROCPRIM_400000_NS6detail17trampoline_kernelINS0_14default_configENS1_38merge_sort_block_merge_config_selectorIjN6thrust23THRUST_200600_302600_NS5tupleIffNS6_9null_typeES8_S8_S8_S8_S8_S8_S8_EEEEZZNS1_27merge_sort_block_merge_implIS3_NS6_6detail15normal_iteratorINS6_10device_ptrIjEEEENSD_INSE_IS9_EEEEjNS1_19radix_merge_compareILb0ELb0EjNS0_19identity_decomposerEEEEE10hipError_tT0_T1_T2_jT3_P12ihipStream_tbPNSt15iterator_traitsISN_E10value_typeEPNST_ISO_E10value_typeEPSP_NS1_7vsmem_tEENKUlT_SN_SO_SP_E_clISG_PjSI_PS9_EESM_S12_SN_SO_SP_EUlS12_E_NS1_11comp_targetILNS1_3genE9ELNS1_11target_archE1100ELNS1_3gpuE3ELNS1_3repE0EEENS1_48merge_mergepath_partition_config_static_selectorELNS0_4arch9wavefront6targetE0EEEvSO_
	.p2align	8
	.type	_ZN7rocprim17ROCPRIM_400000_NS6detail17trampoline_kernelINS0_14default_configENS1_38merge_sort_block_merge_config_selectorIjN6thrust23THRUST_200600_302600_NS5tupleIffNS6_9null_typeES8_S8_S8_S8_S8_S8_S8_EEEEZZNS1_27merge_sort_block_merge_implIS3_NS6_6detail15normal_iteratorINS6_10device_ptrIjEEEENSD_INSE_IS9_EEEEjNS1_19radix_merge_compareILb0ELb0EjNS0_19identity_decomposerEEEEE10hipError_tT0_T1_T2_jT3_P12ihipStream_tbPNSt15iterator_traitsISN_E10value_typeEPNST_ISO_E10value_typeEPSP_NS1_7vsmem_tEENKUlT_SN_SO_SP_E_clISG_PjSI_PS9_EESM_S12_SN_SO_SP_EUlS12_E_NS1_11comp_targetILNS1_3genE9ELNS1_11target_archE1100ELNS1_3gpuE3ELNS1_3repE0EEENS1_48merge_mergepath_partition_config_static_selectorELNS0_4arch9wavefront6targetE0EEEvSO_,@function
_ZN7rocprim17ROCPRIM_400000_NS6detail17trampoline_kernelINS0_14default_configENS1_38merge_sort_block_merge_config_selectorIjN6thrust23THRUST_200600_302600_NS5tupleIffNS6_9null_typeES8_S8_S8_S8_S8_S8_S8_EEEEZZNS1_27merge_sort_block_merge_implIS3_NS6_6detail15normal_iteratorINS6_10device_ptrIjEEEENSD_INSE_IS9_EEEEjNS1_19radix_merge_compareILb0ELb0EjNS0_19identity_decomposerEEEEE10hipError_tT0_T1_T2_jT3_P12ihipStream_tbPNSt15iterator_traitsISN_E10value_typeEPNST_ISO_E10value_typeEPSP_NS1_7vsmem_tEENKUlT_SN_SO_SP_E_clISG_PjSI_PS9_EESM_S12_SN_SO_SP_EUlS12_E_NS1_11comp_targetILNS1_3genE9ELNS1_11target_archE1100ELNS1_3gpuE3ELNS1_3repE0EEENS1_48merge_mergepath_partition_config_static_selectorELNS0_4arch9wavefront6targetE0EEEvSO_: ; @_ZN7rocprim17ROCPRIM_400000_NS6detail17trampoline_kernelINS0_14default_configENS1_38merge_sort_block_merge_config_selectorIjN6thrust23THRUST_200600_302600_NS5tupleIffNS6_9null_typeES8_S8_S8_S8_S8_S8_S8_EEEEZZNS1_27merge_sort_block_merge_implIS3_NS6_6detail15normal_iteratorINS6_10device_ptrIjEEEENSD_INSE_IS9_EEEEjNS1_19radix_merge_compareILb0ELb0EjNS0_19identity_decomposerEEEEE10hipError_tT0_T1_T2_jT3_P12ihipStream_tbPNSt15iterator_traitsISN_E10value_typeEPNST_ISO_E10value_typeEPSP_NS1_7vsmem_tEENKUlT_SN_SO_SP_E_clISG_PjSI_PS9_EESM_S12_SN_SO_SP_EUlS12_E_NS1_11comp_targetILNS1_3genE9ELNS1_11target_archE1100ELNS1_3gpuE3ELNS1_3repE0EEENS1_48merge_mergepath_partition_config_static_selectorELNS0_4arch9wavefront6targetE0EEEvSO_
; %bb.0:
	.section	.rodata,"a",@progbits
	.p2align	6, 0x0
	.amdhsa_kernel _ZN7rocprim17ROCPRIM_400000_NS6detail17trampoline_kernelINS0_14default_configENS1_38merge_sort_block_merge_config_selectorIjN6thrust23THRUST_200600_302600_NS5tupleIffNS6_9null_typeES8_S8_S8_S8_S8_S8_S8_EEEEZZNS1_27merge_sort_block_merge_implIS3_NS6_6detail15normal_iteratorINS6_10device_ptrIjEEEENSD_INSE_IS9_EEEEjNS1_19radix_merge_compareILb0ELb0EjNS0_19identity_decomposerEEEEE10hipError_tT0_T1_T2_jT3_P12ihipStream_tbPNSt15iterator_traitsISN_E10value_typeEPNST_ISO_E10value_typeEPSP_NS1_7vsmem_tEENKUlT_SN_SO_SP_E_clISG_PjSI_PS9_EESM_S12_SN_SO_SP_EUlS12_E_NS1_11comp_targetILNS1_3genE9ELNS1_11target_archE1100ELNS1_3gpuE3ELNS1_3repE0EEENS1_48merge_mergepath_partition_config_static_selectorELNS0_4arch9wavefront6targetE0EEEvSO_
		.amdhsa_group_segment_fixed_size 0
		.amdhsa_private_segment_fixed_size 0
		.amdhsa_kernarg_size 40
		.amdhsa_user_sgpr_count 6
		.amdhsa_user_sgpr_private_segment_buffer 1
		.amdhsa_user_sgpr_dispatch_ptr 0
		.amdhsa_user_sgpr_queue_ptr 0
		.amdhsa_user_sgpr_kernarg_segment_ptr 1
		.amdhsa_user_sgpr_dispatch_id 0
		.amdhsa_user_sgpr_flat_scratch_init 0
		.amdhsa_user_sgpr_private_segment_size 0
		.amdhsa_wavefront_size32 1
		.amdhsa_uses_dynamic_stack 0
		.amdhsa_system_sgpr_private_segment_wavefront_offset 0
		.amdhsa_system_sgpr_workgroup_id_x 1
		.amdhsa_system_sgpr_workgroup_id_y 0
		.amdhsa_system_sgpr_workgroup_id_z 0
		.amdhsa_system_sgpr_workgroup_info 0
		.amdhsa_system_vgpr_workitem_id 0
		.amdhsa_next_free_vgpr 1
		.amdhsa_next_free_sgpr 1
		.amdhsa_reserve_vcc 0
		.amdhsa_reserve_flat_scratch 0
		.amdhsa_float_round_mode_32 0
		.amdhsa_float_round_mode_16_64 0
		.amdhsa_float_denorm_mode_32 3
		.amdhsa_float_denorm_mode_16_64 3
		.amdhsa_dx10_clamp 1
		.amdhsa_ieee_mode 1
		.amdhsa_fp16_overflow 0
		.amdhsa_workgroup_processor_mode 1
		.amdhsa_memory_ordered 1
		.amdhsa_forward_progress 1
		.amdhsa_shared_vgpr_count 0
		.amdhsa_exception_fp_ieee_invalid_op 0
		.amdhsa_exception_fp_denorm_src 0
		.amdhsa_exception_fp_ieee_div_zero 0
		.amdhsa_exception_fp_ieee_overflow 0
		.amdhsa_exception_fp_ieee_underflow 0
		.amdhsa_exception_fp_ieee_inexact 0
		.amdhsa_exception_int_div_zero 0
	.end_amdhsa_kernel
	.section	.text._ZN7rocprim17ROCPRIM_400000_NS6detail17trampoline_kernelINS0_14default_configENS1_38merge_sort_block_merge_config_selectorIjN6thrust23THRUST_200600_302600_NS5tupleIffNS6_9null_typeES8_S8_S8_S8_S8_S8_S8_EEEEZZNS1_27merge_sort_block_merge_implIS3_NS6_6detail15normal_iteratorINS6_10device_ptrIjEEEENSD_INSE_IS9_EEEEjNS1_19radix_merge_compareILb0ELb0EjNS0_19identity_decomposerEEEEE10hipError_tT0_T1_T2_jT3_P12ihipStream_tbPNSt15iterator_traitsISN_E10value_typeEPNST_ISO_E10value_typeEPSP_NS1_7vsmem_tEENKUlT_SN_SO_SP_E_clISG_PjSI_PS9_EESM_S12_SN_SO_SP_EUlS12_E_NS1_11comp_targetILNS1_3genE9ELNS1_11target_archE1100ELNS1_3gpuE3ELNS1_3repE0EEENS1_48merge_mergepath_partition_config_static_selectorELNS0_4arch9wavefront6targetE0EEEvSO_,"axG",@progbits,_ZN7rocprim17ROCPRIM_400000_NS6detail17trampoline_kernelINS0_14default_configENS1_38merge_sort_block_merge_config_selectorIjN6thrust23THRUST_200600_302600_NS5tupleIffNS6_9null_typeES8_S8_S8_S8_S8_S8_S8_EEEEZZNS1_27merge_sort_block_merge_implIS3_NS6_6detail15normal_iteratorINS6_10device_ptrIjEEEENSD_INSE_IS9_EEEEjNS1_19radix_merge_compareILb0ELb0EjNS0_19identity_decomposerEEEEE10hipError_tT0_T1_T2_jT3_P12ihipStream_tbPNSt15iterator_traitsISN_E10value_typeEPNST_ISO_E10value_typeEPSP_NS1_7vsmem_tEENKUlT_SN_SO_SP_E_clISG_PjSI_PS9_EESM_S12_SN_SO_SP_EUlS12_E_NS1_11comp_targetILNS1_3genE9ELNS1_11target_archE1100ELNS1_3gpuE3ELNS1_3repE0EEENS1_48merge_mergepath_partition_config_static_selectorELNS0_4arch9wavefront6targetE0EEEvSO_,comdat
.Lfunc_end55:
	.size	_ZN7rocprim17ROCPRIM_400000_NS6detail17trampoline_kernelINS0_14default_configENS1_38merge_sort_block_merge_config_selectorIjN6thrust23THRUST_200600_302600_NS5tupleIffNS6_9null_typeES8_S8_S8_S8_S8_S8_S8_EEEEZZNS1_27merge_sort_block_merge_implIS3_NS6_6detail15normal_iteratorINS6_10device_ptrIjEEEENSD_INSE_IS9_EEEEjNS1_19radix_merge_compareILb0ELb0EjNS0_19identity_decomposerEEEEE10hipError_tT0_T1_T2_jT3_P12ihipStream_tbPNSt15iterator_traitsISN_E10value_typeEPNST_ISO_E10value_typeEPSP_NS1_7vsmem_tEENKUlT_SN_SO_SP_E_clISG_PjSI_PS9_EESM_S12_SN_SO_SP_EUlS12_E_NS1_11comp_targetILNS1_3genE9ELNS1_11target_archE1100ELNS1_3gpuE3ELNS1_3repE0EEENS1_48merge_mergepath_partition_config_static_selectorELNS0_4arch9wavefront6targetE0EEEvSO_, .Lfunc_end55-_ZN7rocprim17ROCPRIM_400000_NS6detail17trampoline_kernelINS0_14default_configENS1_38merge_sort_block_merge_config_selectorIjN6thrust23THRUST_200600_302600_NS5tupleIffNS6_9null_typeES8_S8_S8_S8_S8_S8_S8_EEEEZZNS1_27merge_sort_block_merge_implIS3_NS6_6detail15normal_iteratorINS6_10device_ptrIjEEEENSD_INSE_IS9_EEEEjNS1_19radix_merge_compareILb0ELb0EjNS0_19identity_decomposerEEEEE10hipError_tT0_T1_T2_jT3_P12ihipStream_tbPNSt15iterator_traitsISN_E10value_typeEPNST_ISO_E10value_typeEPSP_NS1_7vsmem_tEENKUlT_SN_SO_SP_E_clISG_PjSI_PS9_EESM_S12_SN_SO_SP_EUlS12_E_NS1_11comp_targetILNS1_3genE9ELNS1_11target_archE1100ELNS1_3gpuE3ELNS1_3repE0EEENS1_48merge_mergepath_partition_config_static_selectorELNS0_4arch9wavefront6targetE0EEEvSO_
                                        ; -- End function
	.set _ZN7rocprim17ROCPRIM_400000_NS6detail17trampoline_kernelINS0_14default_configENS1_38merge_sort_block_merge_config_selectorIjN6thrust23THRUST_200600_302600_NS5tupleIffNS6_9null_typeES8_S8_S8_S8_S8_S8_S8_EEEEZZNS1_27merge_sort_block_merge_implIS3_NS6_6detail15normal_iteratorINS6_10device_ptrIjEEEENSD_INSE_IS9_EEEEjNS1_19radix_merge_compareILb0ELb0EjNS0_19identity_decomposerEEEEE10hipError_tT0_T1_T2_jT3_P12ihipStream_tbPNSt15iterator_traitsISN_E10value_typeEPNST_ISO_E10value_typeEPSP_NS1_7vsmem_tEENKUlT_SN_SO_SP_E_clISG_PjSI_PS9_EESM_S12_SN_SO_SP_EUlS12_E_NS1_11comp_targetILNS1_3genE9ELNS1_11target_archE1100ELNS1_3gpuE3ELNS1_3repE0EEENS1_48merge_mergepath_partition_config_static_selectorELNS0_4arch9wavefront6targetE0EEEvSO_.num_vgpr, 0
	.set _ZN7rocprim17ROCPRIM_400000_NS6detail17trampoline_kernelINS0_14default_configENS1_38merge_sort_block_merge_config_selectorIjN6thrust23THRUST_200600_302600_NS5tupleIffNS6_9null_typeES8_S8_S8_S8_S8_S8_S8_EEEEZZNS1_27merge_sort_block_merge_implIS3_NS6_6detail15normal_iteratorINS6_10device_ptrIjEEEENSD_INSE_IS9_EEEEjNS1_19radix_merge_compareILb0ELb0EjNS0_19identity_decomposerEEEEE10hipError_tT0_T1_T2_jT3_P12ihipStream_tbPNSt15iterator_traitsISN_E10value_typeEPNST_ISO_E10value_typeEPSP_NS1_7vsmem_tEENKUlT_SN_SO_SP_E_clISG_PjSI_PS9_EESM_S12_SN_SO_SP_EUlS12_E_NS1_11comp_targetILNS1_3genE9ELNS1_11target_archE1100ELNS1_3gpuE3ELNS1_3repE0EEENS1_48merge_mergepath_partition_config_static_selectorELNS0_4arch9wavefront6targetE0EEEvSO_.num_agpr, 0
	.set _ZN7rocprim17ROCPRIM_400000_NS6detail17trampoline_kernelINS0_14default_configENS1_38merge_sort_block_merge_config_selectorIjN6thrust23THRUST_200600_302600_NS5tupleIffNS6_9null_typeES8_S8_S8_S8_S8_S8_S8_EEEEZZNS1_27merge_sort_block_merge_implIS3_NS6_6detail15normal_iteratorINS6_10device_ptrIjEEEENSD_INSE_IS9_EEEEjNS1_19radix_merge_compareILb0ELb0EjNS0_19identity_decomposerEEEEE10hipError_tT0_T1_T2_jT3_P12ihipStream_tbPNSt15iterator_traitsISN_E10value_typeEPNST_ISO_E10value_typeEPSP_NS1_7vsmem_tEENKUlT_SN_SO_SP_E_clISG_PjSI_PS9_EESM_S12_SN_SO_SP_EUlS12_E_NS1_11comp_targetILNS1_3genE9ELNS1_11target_archE1100ELNS1_3gpuE3ELNS1_3repE0EEENS1_48merge_mergepath_partition_config_static_selectorELNS0_4arch9wavefront6targetE0EEEvSO_.numbered_sgpr, 0
	.set _ZN7rocprim17ROCPRIM_400000_NS6detail17trampoline_kernelINS0_14default_configENS1_38merge_sort_block_merge_config_selectorIjN6thrust23THRUST_200600_302600_NS5tupleIffNS6_9null_typeES8_S8_S8_S8_S8_S8_S8_EEEEZZNS1_27merge_sort_block_merge_implIS3_NS6_6detail15normal_iteratorINS6_10device_ptrIjEEEENSD_INSE_IS9_EEEEjNS1_19radix_merge_compareILb0ELb0EjNS0_19identity_decomposerEEEEE10hipError_tT0_T1_T2_jT3_P12ihipStream_tbPNSt15iterator_traitsISN_E10value_typeEPNST_ISO_E10value_typeEPSP_NS1_7vsmem_tEENKUlT_SN_SO_SP_E_clISG_PjSI_PS9_EESM_S12_SN_SO_SP_EUlS12_E_NS1_11comp_targetILNS1_3genE9ELNS1_11target_archE1100ELNS1_3gpuE3ELNS1_3repE0EEENS1_48merge_mergepath_partition_config_static_selectorELNS0_4arch9wavefront6targetE0EEEvSO_.num_named_barrier, 0
	.set _ZN7rocprim17ROCPRIM_400000_NS6detail17trampoline_kernelINS0_14default_configENS1_38merge_sort_block_merge_config_selectorIjN6thrust23THRUST_200600_302600_NS5tupleIffNS6_9null_typeES8_S8_S8_S8_S8_S8_S8_EEEEZZNS1_27merge_sort_block_merge_implIS3_NS6_6detail15normal_iteratorINS6_10device_ptrIjEEEENSD_INSE_IS9_EEEEjNS1_19radix_merge_compareILb0ELb0EjNS0_19identity_decomposerEEEEE10hipError_tT0_T1_T2_jT3_P12ihipStream_tbPNSt15iterator_traitsISN_E10value_typeEPNST_ISO_E10value_typeEPSP_NS1_7vsmem_tEENKUlT_SN_SO_SP_E_clISG_PjSI_PS9_EESM_S12_SN_SO_SP_EUlS12_E_NS1_11comp_targetILNS1_3genE9ELNS1_11target_archE1100ELNS1_3gpuE3ELNS1_3repE0EEENS1_48merge_mergepath_partition_config_static_selectorELNS0_4arch9wavefront6targetE0EEEvSO_.private_seg_size, 0
	.set _ZN7rocprim17ROCPRIM_400000_NS6detail17trampoline_kernelINS0_14default_configENS1_38merge_sort_block_merge_config_selectorIjN6thrust23THRUST_200600_302600_NS5tupleIffNS6_9null_typeES8_S8_S8_S8_S8_S8_S8_EEEEZZNS1_27merge_sort_block_merge_implIS3_NS6_6detail15normal_iteratorINS6_10device_ptrIjEEEENSD_INSE_IS9_EEEEjNS1_19radix_merge_compareILb0ELb0EjNS0_19identity_decomposerEEEEE10hipError_tT0_T1_T2_jT3_P12ihipStream_tbPNSt15iterator_traitsISN_E10value_typeEPNST_ISO_E10value_typeEPSP_NS1_7vsmem_tEENKUlT_SN_SO_SP_E_clISG_PjSI_PS9_EESM_S12_SN_SO_SP_EUlS12_E_NS1_11comp_targetILNS1_3genE9ELNS1_11target_archE1100ELNS1_3gpuE3ELNS1_3repE0EEENS1_48merge_mergepath_partition_config_static_selectorELNS0_4arch9wavefront6targetE0EEEvSO_.uses_vcc, 0
	.set _ZN7rocprim17ROCPRIM_400000_NS6detail17trampoline_kernelINS0_14default_configENS1_38merge_sort_block_merge_config_selectorIjN6thrust23THRUST_200600_302600_NS5tupleIffNS6_9null_typeES8_S8_S8_S8_S8_S8_S8_EEEEZZNS1_27merge_sort_block_merge_implIS3_NS6_6detail15normal_iteratorINS6_10device_ptrIjEEEENSD_INSE_IS9_EEEEjNS1_19radix_merge_compareILb0ELb0EjNS0_19identity_decomposerEEEEE10hipError_tT0_T1_T2_jT3_P12ihipStream_tbPNSt15iterator_traitsISN_E10value_typeEPNST_ISO_E10value_typeEPSP_NS1_7vsmem_tEENKUlT_SN_SO_SP_E_clISG_PjSI_PS9_EESM_S12_SN_SO_SP_EUlS12_E_NS1_11comp_targetILNS1_3genE9ELNS1_11target_archE1100ELNS1_3gpuE3ELNS1_3repE0EEENS1_48merge_mergepath_partition_config_static_selectorELNS0_4arch9wavefront6targetE0EEEvSO_.uses_flat_scratch, 0
	.set _ZN7rocprim17ROCPRIM_400000_NS6detail17trampoline_kernelINS0_14default_configENS1_38merge_sort_block_merge_config_selectorIjN6thrust23THRUST_200600_302600_NS5tupleIffNS6_9null_typeES8_S8_S8_S8_S8_S8_S8_EEEEZZNS1_27merge_sort_block_merge_implIS3_NS6_6detail15normal_iteratorINS6_10device_ptrIjEEEENSD_INSE_IS9_EEEEjNS1_19radix_merge_compareILb0ELb0EjNS0_19identity_decomposerEEEEE10hipError_tT0_T1_T2_jT3_P12ihipStream_tbPNSt15iterator_traitsISN_E10value_typeEPNST_ISO_E10value_typeEPSP_NS1_7vsmem_tEENKUlT_SN_SO_SP_E_clISG_PjSI_PS9_EESM_S12_SN_SO_SP_EUlS12_E_NS1_11comp_targetILNS1_3genE9ELNS1_11target_archE1100ELNS1_3gpuE3ELNS1_3repE0EEENS1_48merge_mergepath_partition_config_static_selectorELNS0_4arch9wavefront6targetE0EEEvSO_.has_dyn_sized_stack, 0
	.set _ZN7rocprim17ROCPRIM_400000_NS6detail17trampoline_kernelINS0_14default_configENS1_38merge_sort_block_merge_config_selectorIjN6thrust23THRUST_200600_302600_NS5tupleIffNS6_9null_typeES8_S8_S8_S8_S8_S8_S8_EEEEZZNS1_27merge_sort_block_merge_implIS3_NS6_6detail15normal_iteratorINS6_10device_ptrIjEEEENSD_INSE_IS9_EEEEjNS1_19radix_merge_compareILb0ELb0EjNS0_19identity_decomposerEEEEE10hipError_tT0_T1_T2_jT3_P12ihipStream_tbPNSt15iterator_traitsISN_E10value_typeEPNST_ISO_E10value_typeEPSP_NS1_7vsmem_tEENKUlT_SN_SO_SP_E_clISG_PjSI_PS9_EESM_S12_SN_SO_SP_EUlS12_E_NS1_11comp_targetILNS1_3genE9ELNS1_11target_archE1100ELNS1_3gpuE3ELNS1_3repE0EEENS1_48merge_mergepath_partition_config_static_selectorELNS0_4arch9wavefront6targetE0EEEvSO_.has_recursion, 0
	.set _ZN7rocprim17ROCPRIM_400000_NS6detail17trampoline_kernelINS0_14default_configENS1_38merge_sort_block_merge_config_selectorIjN6thrust23THRUST_200600_302600_NS5tupleIffNS6_9null_typeES8_S8_S8_S8_S8_S8_S8_EEEEZZNS1_27merge_sort_block_merge_implIS3_NS6_6detail15normal_iteratorINS6_10device_ptrIjEEEENSD_INSE_IS9_EEEEjNS1_19radix_merge_compareILb0ELb0EjNS0_19identity_decomposerEEEEE10hipError_tT0_T1_T2_jT3_P12ihipStream_tbPNSt15iterator_traitsISN_E10value_typeEPNST_ISO_E10value_typeEPSP_NS1_7vsmem_tEENKUlT_SN_SO_SP_E_clISG_PjSI_PS9_EESM_S12_SN_SO_SP_EUlS12_E_NS1_11comp_targetILNS1_3genE9ELNS1_11target_archE1100ELNS1_3gpuE3ELNS1_3repE0EEENS1_48merge_mergepath_partition_config_static_selectorELNS0_4arch9wavefront6targetE0EEEvSO_.has_indirect_call, 0
	.section	.AMDGPU.csdata,"",@progbits
; Kernel info:
; codeLenInByte = 0
; TotalNumSgprs: 0
; NumVgprs: 0
; ScratchSize: 0
; MemoryBound: 0
; FloatMode: 240
; IeeeMode: 1
; LDSByteSize: 0 bytes/workgroup (compile time only)
; SGPRBlocks: 0
; VGPRBlocks: 0
; NumSGPRsForWavesPerEU: 1
; NumVGPRsForWavesPerEU: 1
; Occupancy: 16
; WaveLimiterHint : 0
; COMPUTE_PGM_RSRC2:SCRATCH_EN: 0
; COMPUTE_PGM_RSRC2:USER_SGPR: 6
; COMPUTE_PGM_RSRC2:TRAP_HANDLER: 0
; COMPUTE_PGM_RSRC2:TGID_X_EN: 1
; COMPUTE_PGM_RSRC2:TGID_Y_EN: 0
; COMPUTE_PGM_RSRC2:TGID_Z_EN: 0
; COMPUTE_PGM_RSRC2:TIDIG_COMP_CNT: 0
	.section	.text._ZN7rocprim17ROCPRIM_400000_NS6detail17trampoline_kernelINS0_14default_configENS1_38merge_sort_block_merge_config_selectorIjN6thrust23THRUST_200600_302600_NS5tupleIffNS6_9null_typeES8_S8_S8_S8_S8_S8_S8_EEEEZZNS1_27merge_sort_block_merge_implIS3_NS6_6detail15normal_iteratorINS6_10device_ptrIjEEEENSD_INSE_IS9_EEEEjNS1_19radix_merge_compareILb0ELb0EjNS0_19identity_decomposerEEEEE10hipError_tT0_T1_T2_jT3_P12ihipStream_tbPNSt15iterator_traitsISN_E10value_typeEPNST_ISO_E10value_typeEPSP_NS1_7vsmem_tEENKUlT_SN_SO_SP_E_clISG_PjSI_PS9_EESM_S12_SN_SO_SP_EUlS12_E_NS1_11comp_targetILNS1_3genE8ELNS1_11target_archE1030ELNS1_3gpuE2ELNS1_3repE0EEENS1_48merge_mergepath_partition_config_static_selectorELNS0_4arch9wavefront6targetE0EEEvSO_,"axG",@progbits,_ZN7rocprim17ROCPRIM_400000_NS6detail17trampoline_kernelINS0_14default_configENS1_38merge_sort_block_merge_config_selectorIjN6thrust23THRUST_200600_302600_NS5tupleIffNS6_9null_typeES8_S8_S8_S8_S8_S8_S8_EEEEZZNS1_27merge_sort_block_merge_implIS3_NS6_6detail15normal_iteratorINS6_10device_ptrIjEEEENSD_INSE_IS9_EEEEjNS1_19radix_merge_compareILb0ELb0EjNS0_19identity_decomposerEEEEE10hipError_tT0_T1_T2_jT3_P12ihipStream_tbPNSt15iterator_traitsISN_E10value_typeEPNST_ISO_E10value_typeEPSP_NS1_7vsmem_tEENKUlT_SN_SO_SP_E_clISG_PjSI_PS9_EESM_S12_SN_SO_SP_EUlS12_E_NS1_11comp_targetILNS1_3genE8ELNS1_11target_archE1030ELNS1_3gpuE2ELNS1_3repE0EEENS1_48merge_mergepath_partition_config_static_selectorELNS0_4arch9wavefront6targetE0EEEvSO_,comdat
	.protected	_ZN7rocprim17ROCPRIM_400000_NS6detail17trampoline_kernelINS0_14default_configENS1_38merge_sort_block_merge_config_selectorIjN6thrust23THRUST_200600_302600_NS5tupleIffNS6_9null_typeES8_S8_S8_S8_S8_S8_S8_EEEEZZNS1_27merge_sort_block_merge_implIS3_NS6_6detail15normal_iteratorINS6_10device_ptrIjEEEENSD_INSE_IS9_EEEEjNS1_19radix_merge_compareILb0ELb0EjNS0_19identity_decomposerEEEEE10hipError_tT0_T1_T2_jT3_P12ihipStream_tbPNSt15iterator_traitsISN_E10value_typeEPNST_ISO_E10value_typeEPSP_NS1_7vsmem_tEENKUlT_SN_SO_SP_E_clISG_PjSI_PS9_EESM_S12_SN_SO_SP_EUlS12_E_NS1_11comp_targetILNS1_3genE8ELNS1_11target_archE1030ELNS1_3gpuE2ELNS1_3repE0EEENS1_48merge_mergepath_partition_config_static_selectorELNS0_4arch9wavefront6targetE0EEEvSO_ ; -- Begin function _ZN7rocprim17ROCPRIM_400000_NS6detail17trampoline_kernelINS0_14default_configENS1_38merge_sort_block_merge_config_selectorIjN6thrust23THRUST_200600_302600_NS5tupleIffNS6_9null_typeES8_S8_S8_S8_S8_S8_S8_EEEEZZNS1_27merge_sort_block_merge_implIS3_NS6_6detail15normal_iteratorINS6_10device_ptrIjEEEENSD_INSE_IS9_EEEEjNS1_19radix_merge_compareILb0ELb0EjNS0_19identity_decomposerEEEEE10hipError_tT0_T1_T2_jT3_P12ihipStream_tbPNSt15iterator_traitsISN_E10value_typeEPNST_ISO_E10value_typeEPSP_NS1_7vsmem_tEENKUlT_SN_SO_SP_E_clISG_PjSI_PS9_EESM_S12_SN_SO_SP_EUlS12_E_NS1_11comp_targetILNS1_3genE8ELNS1_11target_archE1030ELNS1_3gpuE2ELNS1_3repE0EEENS1_48merge_mergepath_partition_config_static_selectorELNS0_4arch9wavefront6targetE0EEEvSO_
	.globl	_ZN7rocprim17ROCPRIM_400000_NS6detail17trampoline_kernelINS0_14default_configENS1_38merge_sort_block_merge_config_selectorIjN6thrust23THRUST_200600_302600_NS5tupleIffNS6_9null_typeES8_S8_S8_S8_S8_S8_S8_EEEEZZNS1_27merge_sort_block_merge_implIS3_NS6_6detail15normal_iteratorINS6_10device_ptrIjEEEENSD_INSE_IS9_EEEEjNS1_19radix_merge_compareILb0ELb0EjNS0_19identity_decomposerEEEEE10hipError_tT0_T1_T2_jT3_P12ihipStream_tbPNSt15iterator_traitsISN_E10value_typeEPNST_ISO_E10value_typeEPSP_NS1_7vsmem_tEENKUlT_SN_SO_SP_E_clISG_PjSI_PS9_EESM_S12_SN_SO_SP_EUlS12_E_NS1_11comp_targetILNS1_3genE8ELNS1_11target_archE1030ELNS1_3gpuE2ELNS1_3repE0EEENS1_48merge_mergepath_partition_config_static_selectorELNS0_4arch9wavefront6targetE0EEEvSO_
	.p2align	8
	.type	_ZN7rocprim17ROCPRIM_400000_NS6detail17trampoline_kernelINS0_14default_configENS1_38merge_sort_block_merge_config_selectorIjN6thrust23THRUST_200600_302600_NS5tupleIffNS6_9null_typeES8_S8_S8_S8_S8_S8_S8_EEEEZZNS1_27merge_sort_block_merge_implIS3_NS6_6detail15normal_iteratorINS6_10device_ptrIjEEEENSD_INSE_IS9_EEEEjNS1_19radix_merge_compareILb0ELb0EjNS0_19identity_decomposerEEEEE10hipError_tT0_T1_T2_jT3_P12ihipStream_tbPNSt15iterator_traitsISN_E10value_typeEPNST_ISO_E10value_typeEPSP_NS1_7vsmem_tEENKUlT_SN_SO_SP_E_clISG_PjSI_PS9_EESM_S12_SN_SO_SP_EUlS12_E_NS1_11comp_targetILNS1_3genE8ELNS1_11target_archE1030ELNS1_3gpuE2ELNS1_3repE0EEENS1_48merge_mergepath_partition_config_static_selectorELNS0_4arch9wavefront6targetE0EEEvSO_,@function
_ZN7rocprim17ROCPRIM_400000_NS6detail17trampoline_kernelINS0_14default_configENS1_38merge_sort_block_merge_config_selectorIjN6thrust23THRUST_200600_302600_NS5tupleIffNS6_9null_typeES8_S8_S8_S8_S8_S8_S8_EEEEZZNS1_27merge_sort_block_merge_implIS3_NS6_6detail15normal_iteratorINS6_10device_ptrIjEEEENSD_INSE_IS9_EEEEjNS1_19radix_merge_compareILb0ELb0EjNS0_19identity_decomposerEEEEE10hipError_tT0_T1_T2_jT3_P12ihipStream_tbPNSt15iterator_traitsISN_E10value_typeEPNST_ISO_E10value_typeEPSP_NS1_7vsmem_tEENKUlT_SN_SO_SP_E_clISG_PjSI_PS9_EESM_S12_SN_SO_SP_EUlS12_E_NS1_11comp_targetILNS1_3genE8ELNS1_11target_archE1030ELNS1_3gpuE2ELNS1_3repE0EEENS1_48merge_mergepath_partition_config_static_selectorELNS0_4arch9wavefront6targetE0EEEvSO_: ; @_ZN7rocprim17ROCPRIM_400000_NS6detail17trampoline_kernelINS0_14default_configENS1_38merge_sort_block_merge_config_selectorIjN6thrust23THRUST_200600_302600_NS5tupleIffNS6_9null_typeES8_S8_S8_S8_S8_S8_S8_EEEEZZNS1_27merge_sort_block_merge_implIS3_NS6_6detail15normal_iteratorINS6_10device_ptrIjEEEENSD_INSE_IS9_EEEEjNS1_19radix_merge_compareILb0ELb0EjNS0_19identity_decomposerEEEEE10hipError_tT0_T1_T2_jT3_P12ihipStream_tbPNSt15iterator_traitsISN_E10value_typeEPNST_ISO_E10value_typeEPSP_NS1_7vsmem_tEENKUlT_SN_SO_SP_E_clISG_PjSI_PS9_EESM_S12_SN_SO_SP_EUlS12_E_NS1_11comp_targetILNS1_3genE8ELNS1_11target_archE1030ELNS1_3gpuE2ELNS1_3repE0EEENS1_48merge_mergepath_partition_config_static_selectorELNS0_4arch9wavefront6targetE0EEEvSO_
; %bb.0:
	s_load_dword s0, s[4:5], 0x0
	v_lshl_or_b32 v0, s6, 7, v0
	s_waitcnt lgkmcnt(0)
	v_cmp_gt_u32_e32 vcc_lo, s0, v0
	s_and_saveexec_b32 s0, vcc_lo
	s_cbranch_execz .LBB56_6
; %bb.1:
	s_load_dwordx2 s[0:1], s[4:5], 0x4
	s_waitcnt lgkmcnt(0)
	s_lshr_b32 s2, s0, 9
	s_and_b32 s2, s2, 0x7ffffe
	s_sub_i32 s3, 0, s2
	s_add_i32 s2, s2, -1
	v_and_b32_e32 v1, s3, v0
	v_and_b32_e32 v5, s2, v0
	s_mov_b32 s3, 0
	s_mov_b32 s2, exec_lo
	v_lshlrev_b32_e32 v1, 10, v1
	v_add_nc_u32_e32 v2, s0, v1
	v_min_u32_e32 v4, s1, v2
	v_min_u32_e32 v2, s1, v1
	v_add_nc_u32_e32 v3, s0, v4
	v_min_u32_e32 v1, s1, v3
	s_load_dwordx2 s[0:1], s[4:5], 0x20
	v_lshlrev_b32_e32 v3, 10, v5
	v_sub_nc_u32_e32 v5, v1, v2
	v_sub_nc_u32_e32 v6, v1, v4
	v_min_u32_e32 v1, v5, v3
	v_sub_nc_u32_e32 v3, v4, v2
	v_sub_nc_u32_e64 v6, v1, v6 clamp
	v_min_u32_e32 v7, v1, v3
	v_cmpx_lt_u32_e64 v6, v7
	s_cbranch_execz .LBB56_5
; %bb.2:
	s_load_dwordx2 s[4:5], s[4:5], 0x10
	v_mov_b32_e32 v5, 0
	v_mov_b32_e32 v3, v5
	v_lshlrev_b64 v[10:11], 2, v[4:5]
	v_lshlrev_b64 v[8:9], 2, v[2:3]
	s_waitcnt lgkmcnt(0)
	v_add_co_u32 v3, vcc_lo, s4, v8
	v_add_co_ci_u32_e64 v8, null, s5, v9, vcc_lo
	v_add_co_u32 v9, vcc_lo, s4, v10
	v_add_co_ci_u32_e64 v10, null, s5, v11, vcc_lo
	.p2align	6
.LBB56_3:                               ; =>This Inner Loop Header: Depth=1
	v_add_nc_u32_e32 v4, v7, v6
	v_mov_b32_e32 v12, v5
	v_lshrrev_b32_e32 v4, 1, v4
	v_xad_u32 v11, v4, -1, v1
	v_lshlrev_b64 v[13:14], 2, v[4:5]
	v_lshlrev_b64 v[11:12], 2, v[11:12]
	v_add_co_u32 v13, vcc_lo, v3, v13
	v_add_co_ci_u32_e64 v14, null, v8, v14, vcc_lo
	v_add_co_u32 v11, vcc_lo, v9, v11
	v_add_co_ci_u32_e64 v12, null, v10, v12, vcc_lo
	s_clause 0x1
	flat_load_dword v13, v[13:14]
	flat_load_dword v11, v[11:12]
	v_add_nc_u32_e32 v12, 1, v4
	s_waitcnt vmcnt(0) lgkmcnt(0)
	v_cmp_gt_u32_e32 vcc_lo, v13, v11
	v_cndmask_b32_e32 v7, v7, v4, vcc_lo
	v_cndmask_b32_e32 v6, v12, v6, vcc_lo
	v_cmp_ge_u32_e32 vcc_lo, v6, v7
	s_or_b32 s3, vcc_lo, s3
	s_andn2_b32 exec_lo, exec_lo, s3
	s_cbranch_execnz .LBB56_3
; %bb.4:
	s_or_b32 exec_lo, exec_lo, s3
.LBB56_5:
	s_or_b32 exec_lo, exec_lo, s2
	v_mov_b32_e32 v1, 0
	v_add_nc_u32_e32 v2, v6, v2
	v_lshlrev_b64 v[0:1], 2, v[0:1]
	s_waitcnt lgkmcnt(0)
	v_add_co_u32 v0, vcc_lo, s0, v0
	v_add_co_ci_u32_e64 v1, null, s1, v1, vcc_lo
	global_store_dword v[0:1], v2, off
.LBB56_6:
	s_endpgm
	.section	.rodata,"a",@progbits
	.p2align	6, 0x0
	.amdhsa_kernel _ZN7rocprim17ROCPRIM_400000_NS6detail17trampoline_kernelINS0_14default_configENS1_38merge_sort_block_merge_config_selectorIjN6thrust23THRUST_200600_302600_NS5tupleIffNS6_9null_typeES8_S8_S8_S8_S8_S8_S8_EEEEZZNS1_27merge_sort_block_merge_implIS3_NS6_6detail15normal_iteratorINS6_10device_ptrIjEEEENSD_INSE_IS9_EEEEjNS1_19radix_merge_compareILb0ELb0EjNS0_19identity_decomposerEEEEE10hipError_tT0_T1_T2_jT3_P12ihipStream_tbPNSt15iterator_traitsISN_E10value_typeEPNST_ISO_E10value_typeEPSP_NS1_7vsmem_tEENKUlT_SN_SO_SP_E_clISG_PjSI_PS9_EESM_S12_SN_SO_SP_EUlS12_E_NS1_11comp_targetILNS1_3genE8ELNS1_11target_archE1030ELNS1_3gpuE2ELNS1_3repE0EEENS1_48merge_mergepath_partition_config_static_selectorELNS0_4arch9wavefront6targetE0EEEvSO_
		.amdhsa_group_segment_fixed_size 0
		.amdhsa_private_segment_fixed_size 0
		.amdhsa_kernarg_size 40
		.amdhsa_user_sgpr_count 6
		.amdhsa_user_sgpr_private_segment_buffer 1
		.amdhsa_user_sgpr_dispatch_ptr 0
		.amdhsa_user_sgpr_queue_ptr 0
		.amdhsa_user_sgpr_kernarg_segment_ptr 1
		.amdhsa_user_sgpr_dispatch_id 0
		.amdhsa_user_sgpr_flat_scratch_init 0
		.amdhsa_user_sgpr_private_segment_size 0
		.amdhsa_wavefront_size32 1
		.amdhsa_uses_dynamic_stack 0
		.amdhsa_system_sgpr_private_segment_wavefront_offset 0
		.amdhsa_system_sgpr_workgroup_id_x 1
		.amdhsa_system_sgpr_workgroup_id_y 0
		.amdhsa_system_sgpr_workgroup_id_z 0
		.amdhsa_system_sgpr_workgroup_info 0
		.amdhsa_system_vgpr_workitem_id 0
		.amdhsa_next_free_vgpr 15
		.amdhsa_next_free_sgpr 7
		.amdhsa_reserve_vcc 1
		.amdhsa_reserve_flat_scratch 1
		.amdhsa_float_round_mode_32 0
		.amdhsa_float_round_mode_16_64 0
		.amdhsa_float_denorm_mode_32 3
		.amdhsa_float_denorm_mode_16_64 3
		.amdhsa_dx10_clamp 1
		.amdhsa_ieee_mode 1
		.amdhsa_fp16_overflow 0
		.amdhsa_workgroup_processor_mode 1
		.amdhsa_memory_ordered 1
		.amdhsa_forward_progress 1
		.amdhsa_shared_vgpr_count 0
		.amdhsa_exception_fp_ieee_invalid_op 0
		.amdhsa_exception_fp_denorm_src 0
		.amdhsa_exception_fp_ieee_div_zero 0
		.amdhsa_exception_fp_ieee_overflow 0
		.amdhsa_exception_fp_ieee_underflow 0
		.amdhsa_exception_fp_ieee_inexact 0
		.amdhsa_exception_int_div_zero 0
	.end_amdhsa_kernel
	.section	.text._ZN7rocprim17ROCPRIM_400000_NS6detail17trampoline_kernelINS0_14default_configENS1_38merge_sort_block_merge_config_selectorIjN6thrust23THRUST_200600_302600_NS5tupleIffNS6_9null_typeES8_S8_S8_S8_S8_S8_S8_EEEEZZNS1_27merge_sort_block_merge_implIS3_NS6_6detail15normal_iteratorINS6_10device_ptrIjEEEENSD_INSE_IS9_EEEEjNS1_19radix_merge_compareILb0ELb0EjNS0_19identity_decomposerEEEEE10hipError_tT0_T1_T2_jT3_P12ihipStream_tbPNSt15iterator_traitsISN_E10value_typeEPNST_ISO_E10value_typeEPSP_NS1_7vsmem_tEENKUlT_SN_SO_SP_E_clISG_PjSI_PS9_EESM_S12_SN_SO_SP_EUlS12_E_NS1_11comp_targetILNS1_3genE8ELNS1_11target_archE1030ELNS1_3gpuE2ELNS1_3repE0EEENS1_48merge_mergepath_partition_config_static_selectorELNS0_4arch9wavefront6targetE0EEEvSO_,"axG",@progbits,_ZN7rocprim17ROCPRIM_400000_NS6detail17trampoline_kernelINS0_14default_configENS1_38merge_sort_block_merge_config_selectorIjN6thrust23THRUST_200600_302600_NS5tupleIffNS6_9null_typeES8_S8_S8_S8_S8_S8_S8_EEEEZZNS1_27merge_sort_block_merge_implIS3_NS6_6detail15normal_iteratorINS6_10device_ptrIjEEEENSD_INSE_IS9_EEEEjNS1_19radix_merge_compareILb0ELb0EjNS0_19identity_decomposerEEEEE10hipError_tT0_T1_T2_jT3_P12ihipStream_tbPNSt15iterator_traitsISN_E10value_typeEPNST_ISO_E10value_typeEPSP_NS1_7vsmem_tEENKUlT_SN_SO_SP_E_clISG_PjSI_PS9_EESM_S12_SN_SO_SP_EUlS12_E_NS1_11comp_targetILNS1_3genE8ELNS1_11target_archE1030ELNS1_3gpuE2ELNS1_3repE0EEENS1_48merge_mergepath_partition_config_static_selectorELNS0_4arch9wavefront6targetE0EEEvSO_,comdat
.Lfunc_end56:
	.size	_ZN7rocprim17ROCPRIM_400000_NS6detail17trampoline_kernelINS0_14default_configENS1_38merge_sort_block_merge_config_selectorIjN6thrust23THRUST_200600_302600_NS5tupleIffNS6_9null_typeES8_S8_S8_S8_S8_S8_S8_EEEEZZNS1_27merge_sort_block_merge_implIS3_NS6_6detail15normal_iteratorINS6_10device_ptrIjEEEENSD_INSE_IS9_EEEEjNS1_19radix_merge_compareILb0ELb0EjNS0_19identity_decomposerEEEEE10hipError_tT0_T1_T2_jT3_P12ihipStream_tbPNSt15iterator_traitsISN_E10value_typeEPNST_ISO_E10value_typeEPSP_NS1_7vsmem_tEENKUlT_SN_SO_SP_E_clISG_PjSI_PS9_EESM_S12_SN_SO_SP_EUlS12_E_NS1_11comp_targetILNS1_3genE8ELNS1_11target_archE1030ELNS1_3gpuE2ELNS1_3repE0EEENS1_48merge_mergepath_partition_config_static_selectorELNS0_4arch9wavefront6targetE0EEEvSO_, .Lfunc_end56-_ZN7rocprim17ROCPRIM_400000_NS6detail17trampoline_kernelINS0_14default_configENS1_38merge_sort_block_merge_config_selectorIjN6thrust23THRUST_200600_302600_NS5tupleIffNS6_9null_typeES8_S8_S8_S8_S8_S8_S8_EEEEZZNS1_27merge_sort_block_merge_implIS3_NS6_6detail15normal_iteratorINS6_10device_ptrIjEEEENSD_INSE_IS9_EEEEjNS1_19radix_merge_compareILb0ELb0EjNS0_19identity_decomposerEEEEE10hipError_tT0_T1_T2_jT3_P12ihipStream_tbPNSt15iterator_traitsISN_E10value_typeEPNST_ISO_E10value_typeEPSP_NS1_7vsmem_tEENKUlT_SN_SO_SP_E_clISG_PjSI_PS9_EESM_S12_SN_SO_SP_EUlS12_E_NS1_11comp_targetILNS1_3genE8ELNS1_11target_archE1030ELNS1_3gpuE2ELNS1_3repE0EEENS1_48merge_mergepath_partition_config_static_selectorELNS0_4arch9wavefront6targetE0EEEvSO_
                                        ; -- End function
	.set _ZN7rocprim17ROCPRIM_400000_NS6detail17trampoline_kernelINS0_14default_configENS1_38merge_sort_block_merge_config_selectorIjN6thrust23THRUST_200600_302600_NS5tupleIffNS6_9null_typeES8_S8_S8_S8_S8_S8_S8_EEEEZZNS1_27merge_sort_block_merge_implIS3_NS6_6detail15normal_iteratorINS6_10device_ptrIjEEEENSD_INSE_IS9_EEEEjNS1_19radix_merge_compareILb0ELb0EjNS0_19identity_decomposerEEEEE10hipError_tT0_T1_T2_jT3_P12ihipStream_tbPNSt15iterator_traitsISN_E10value_typeEPNST_ISO_E10value_typeEPSP_NS1_7vsmem_tEENKUlT_SN_SO_SP_E_clISG_PjSI_PS9_EESM_S12_SN_SO_SP_EUlS12_E_NS1_11comp_targetILNS1_3genE8ELNS1_11target_archE1030ELNS1_3gpuE2ELNS1_3repE0EEENS1_48merge_mergepath_partition_config_static_selectorELNS0_4arch9wavefront6targetE0EEEvSO_.num_vgpr, 15
	.set _ZN7rocprim17ROCPRIM_400000_NS6detail17trampoline_kernelINS0_14default_configENS1_38merge_sort_block_merge_config_selectorIjN6thrust23THRUST_200600_302600_NS5tupleIffNS6_9null_typeES8_S8_S8_S8_S8_S8_S8_EEEEZZNS1_27merge_sort_block_merge_implIS3_NS6_6detail15normal_iteratorINS6_10device_ptrIjEEEENSD_INSE_IS9_EEEEjNS1_19radix_merge_compareILb0ELb0EjNS0_19identity_decomposerEEEEE10hipError_tT0_T1_T2_jT3_P12ihipStream_tbPNSt15iterator_traitsISN_E10value_typeEPNST_ISO_E10value_typeEPSP_NS1_7vsmem_tEENKUlT_SN_SO_SP_E_clISG_PjSI_PS9_EESM_S12_SN_SO_SP_EUlS12_E_NS1_11comp_targetILNS1_3genE8ELNS1_11target_archE1030ELNS1_3gpuE2ELNS1_3repE0EEENS1_48merge_mergepath_partition_config_static_selectorELNS0_4arch9wavefront6targetE0EEEvSO_.num_agpr, 0
	.set _ZN7rocprim17ROCPRIM_400000_NS6detail17trampoline_kernelINS0_14default_configENS1_38merge_sort_block_merge_config_selectorIjN6thrust23THRUST_200600_302600_NS5tupleIffNS6_9null_typeES8_S8_S8_S8_S8_S8_S8_EEEEZZNS1_27merge_sort_block_merge_implIS3_NS6_6detail15normal_iteratorINS6_10device_ptrIjEEEENSD_INSE_IS9_EEEEjNS1_19radix_merge_compareILb0ELb0EjNS0_19identity_decomposerEEEEE10hipError_tT0_T1_T2_jT3_P12ihipStream_tbPNSt15iterator_traitsISN_E10value_typeEPNST_ISO_E10value_typeEPSP_NS1_7vsmem_tEENKUlT_SN_SO_SP_E_clISG_PjSI_PS9_EESM_S12_SN_SO_SP_EUlS12_E_NS1_11comp_targetILNS1_3genE8ELNS1_11target_archE1030ELNS1_3gpuE2ELNS1_3repE0EEENS1_48merge_mergepath_partition_config_static_selectorELNS0_4arch9wavefront6targetE0EEEvSO_.numbered_sgpr, 7
	.set _ZN7rocprim17ROCPRIM_400000_NS6detail17trampoline_kernelINS0_14default_configENS1_38merge_sort_block_merge_config_selectorIjN6thrust23THRUST_200600_302600_NS5tupleIffNS6_9null_typeES8_S8_S8_S8_S8_S8_S8_EEEEZZNS1_27merge_sort_block_merge_implIS3_NS6_6detail15normal_iteratorINS6_10device_ptrIjEEEENSD_INSE_IS9_EEEEjNS1_19radix_merge_compareILb0ELb0EjNS0_19identity_decomposerEEEEE10hipError_tT0_T1_T2_jT3_P12ihipStream_tbPNSt15iterator_traitsISN_E10value_typeEPNST_ISO_E10value_typeEPSP_NS1_7vsmem_tEENKUlT_SN_SO_SP_E_clISG_PjSI_PS9_EESM_S12_SN_SO_SP_EUlS12_E_NS1_11comp_targetILNS1_3genE8ELNS1_11target_archE1030ELNS1_3gpuE2ELNS1_3repE0EEENS1_48merge_mergepath_partition_config_static_selectorELNS0_4arch9wavefront6targetE0EEEvSO_.num_named_barrier, 0
	.set _ZN7rocprim17ROCPRIM_400000_NS6detail17trampoline_kernelINS0_14default_configENS1_38merge_sort_block_merge_config_selectorIjN6thrust23THRUST_200600_302600_NS5tupleIffNS6_9null_typeES8_S8_S8_S8_S8_S8_S8_EEEEZZNS1_27merge_sort_block_merge_implIS3_NS6_6detail15normal_iteratorINS6_10device_ptrIjEEEENSD_INSE_IS9_EEEEjNS1_19radix_merge_compareILb0ELb0EjNS0_19identity_decomposerEEEEE10hipError_tT0_T1_T2_jT3_P12ihipStream_tbPNSt15iterator_traitsISN_E10value_typeEPNST_ISO_E10value_typeEPSP_NS1_7vsmem_tEENKUlT_SN_SO_SP_E_clISG_PjSI_PS9_EESM_S12_SN_SO_SP_EUlS12_E_NS1_11comp_targetILNS1_3genE8ELNS1_11target_archE1030ELNS1_3gpuE2ELNS1_3repE0EEENS1_48merge_mergepath_partition_config_static_selectorELNS0_4arch9wavefront6targetE0EEEvSO_.private_seg_size, 0
	.set _ZN7rocprim17ROCPRIM_400000_NS6detail17trampoline_kernelINS0_14default_configENS1_38merge_sort_block_merge_config_selectorIjN6thrust23THRUST_200600_302600_NS5tupleIffNS6_9null_typeES8_S8_S8_S8_S8_S8_S8_EEEEZZNS1_27merge_sort_block_merge_implIS3_NS6_6detail15normal_iteratorINS6_10device_ptrIjEEEENSD_INSE_IS9_EEEEjNS1_19radix_merge_compareILb0ELb0EjNS0_19identity_decomposerEEEEE10hipError_tT0_T1_T2_jT3_P12ihipStream_tbPNSt15iterator_traitsISN_E10value_typeEPNST_ISO_E10value_typeEPSP_NS1_7vsmem_tEENKUlT_SN_SO_SP_E_clISG_PjSI_PS9_EESM_S12_SN_SO_SP_EUlS12_E_NS1_11comp_targetILNS1_3genE8ELNS1_11target_archE1030ELNS1_3gpuE2ELNS1_3repE0EEENS1_48merge_mergepath_partition_config_static_selectorELNS0_4arch9wavefront6targetE0EEEvSO_.uses_vcc, 1
	.set _ZN7rocprim17ROCPRIM_400000_NS6detail17trampoline_kernelINS0_14default_configENS1_38merge_sort_block_merge_config_selectorIjN6thrust23THRUST_200600_302600_NS5tupleIffNS6_9null_typeES8_S8_S8_S8_S8_S8_S8_EEEEZZNS1_27merge_sort_block_merge_implIS3_NS6_6detail15normal_iteratorINS6_10device_ptrIjEEEENSD_INSE_IS9_EEEEjNS1_19radix_merge_compareILb0ELb0EjNS0_19identity_decomposerEEEEE10hipError_tT0_T1_T2_jT3_P12ihipStream_tbPNSt15iterator_traitsISN_E10value_typeEPNST_ISO_E10value_typeEPSP_NS1_7vsmem_tEENKUlT_SN_SO_SP_E_clISG_PjSI_PS9_EESM_S12_SN_SO_SP_EUlS12_E_NS1_11comp_targetILNS1_3genE8ELNS1_11target_archE1030ELNS1_3gpuE2ELNS1_3repE0EEENS1_48merge_mergepath_partition_config_static_selectorELNS0_4arch9wavefront6targetE0EEEvSO_.uses_flat_scratch, 1
	.set _ZN7rocprim17ROCPRIM_400000_NS6detail17trampoline_kernelINS0_14default_configENS1_38merge_sort_block_merge_config_selectorIjN6thrust23THRUST_200600_302600_NS5tupleIffNS6_9null_typeES8_S8_S8_S8_S8_S8_S8_EEEEZZNS1_27merge_sort_block_merge_implIS3_NS6_6detail15normal_iteratorINS6_10device_ptrIjEEEENSD_INSE_IS9_EEEEjNS1_19radix_merge_compareILb0ELb0EjNS0_19identity_decomposerEEEEE10hipError_tT0_T1_T2_jT3_P12ihipStream_tbPNSt15iterator_traitsISN_E10value_typeEPNST_ISO_E10value_typeEPSP_NS1_7vsmem_tEENKUlT_SN_SO_SP_E_clISG_PjSI_PS9_EESM_S12_SN_SO_SP_EUlS12_E_NS1_11comp_targetILNS1_3genE8ELNS1_11target_archE1030ELNS1_3gpuE2ELNS1_3repE0EEENS1_48merge_mergepath_partition_config_static_selectorELNS0_4arch9wavefront6targetE0EEEvSO_.has_dyn_sized_stack, 0
	.set _ZN7rocprim17ROCPRIM_400000_NS6detail17trampoline_kernelINS0_14default_configENS1_38merge_sort_block_merge_config_selectorIjN6thrust23THRUST_200600_302600_NS5tupleIffNS6_9null_typeES8_S8_S8_S8_S8_S8_S8_EEEEZZNS1_27merge_sort_block_merge_implIS3_NS6_6detail15normal_iteratorINS6_10device_ptrIjEEEENSD_INSE_IS9_EEEEjNS1_19radix_merge_compareILb0ELb0EjNS0_19identity_decomposerEEEEE10hipError_tT0_T1_T2_jT3_P12ihipStream_tbPNSt15iterator_traitsISN_E10value_typeEPNST_ISO_E10value_typeEPSP_NS1_7vsmem_tEENKUlT_SN_SO_SP_E_clISG_PjSI_PS9_EESM_S12_SN_SO_SP_EUlS12_E_NS1_11comp_targetILNS1_3genE8ELNS1_11target_archE1030ELNS1_3gpuE2ELNS1_3repE0EEENS1_48merge_mergepath_partition_config_static_selectorELNS0_4arch9wavefront6targetE0EEEvSO_.has_recursion, 0
	.set _ZN7rocprim17ROCPRIM_400000_NS6detail17trampoline_kernelINS0_14default_configENS1_38merge_sort_block_merge_config_selectorIjN6thrust23THRUST_200600_302600_NS5tupleIffNS6_9null_typeES8_S8_S8_S8_S8_S8_S8_EEEEZZNS1_27merge_sort_block_merge_implIS3_NS6_6detail15normal_iteratorINS6_10device_ptrIjEEEENSD_INSE_IS9_EEEEjNS1_19radix_merge_compareILb0ELb0EjNS0_19identity_decomposerEEEEE10hipError_tT0_T1_T2_jT3_P12ihipStream_tbPNSt15iterator_traitsISN_E10value_typeEPNST_ISO_E10value_typeEPSP_NS1_7vsmem_tEENKUlT_SN_SO_SP_E_clISG_PjSI_PS9_EESM_S12_SN_SO_SP_EUlS12_E_NS1_11comp_targetILNS1_3genE8ELNS1_11target_archE1030ELNS1_3gpuE2ELNS1_3repE0EEENS1_48merge_mergepath_partition_config_static_selectorELNS0_4arch9wavefront6targetE0EEEvSO_.has_indirect_call, 0
	.section	.AMDGPU.csdata,"",@progbits
; Kernel info:
; codeLenInByte = 436
; TotalNumSgprs: 9
; NumVgprs: 15
; ScratchSize: 0
; MemoryBound: 0
; FloatMode: 240
; IeeeMode: 1
; LDSByteSize: 0 bytes/workgroup (compile time only)
; SGPRBlocks: 0
; VGPRBlocks: 1
; NumSGPRsForWavesPerEU: 9
; NumVGPRsForWavesPerEU: 15
; Occupancy: 16
; WaveLimiterHint : 0
; COMPUTE_PGM_RSRC2:SCRATCH_EN: 0
; COMPUTE_PGM_RSRC2:USER_SGPR: 6
; COMPUTE_PGM_RSRC2:TRAP_HANDLER: 0
; COMPUTE_PGM_RSRC2:TGID_X_EN: 1
; COMPUTE_PGM_RSRC2:TGID_Y_EN: 0
; COMPUTE_PGM_RSRC2:TGID_Z_EN: 0
; COMPUTE_PGM_RSRC2:TIDIG_COMP_CNT: 0
	.section	.text._ZN7rocprim17ROCPRIM_400000_NS6detail17trampoline_kernelINS0_14default_configENS1_38merge_sort_block_merge_config_selectorIjN6thrust23THRUST_200600_302600_NS5tupleIffNS6_9null_typeES8_S8_S8_S8_S8_S8_S8_EEEEZZNS1_27merge_sort_block_merge_implIS3_NS6_6detail15normal_iteratorINS6_10device_ptrIjEEEENSD_INSE_IS9_EEEEjNS1_19radix_merge_compareILb0ELb0EjNS0_19identity_decomposerEEEEE10hipError_tT0_T1_T2_jT3_P12ihipStream_tbPNSt15iterator_traitsISN_E10value_typeEPNST_ISO_E10value_typeEPSP_NS1_7vsmem_tEENKUlT_SN_SO_SP_E_clISG_PjSI_PS9_EESM_S12_SN_SO_SP_EUlS12_E0_NS1_11comp_targetILNS1_3genE0ELNS1_11target_archE4294967295ELNS1_3gpuE0ELNS1_3repE0EEENS1_38merge_mergepath_config_static_selectorELNS0_4arch9wavefront6targetE0EEEvSO_,"axG",@progbits,_ZN7rocprim17ROCPRIM_400000_NS6detail17trampoline_kernelINS0_14default_configENS1_38merge_sort_block_merge_config_selectorIjN6thrust23THRUST_200600_302600_NS5tupleIffNS6_9null_typeES8_S8_S8_S8_S8_S8_S8_EEEEZZNS1_27merge_sort_block_merge_implIS3_NS6_6detail15normal_iteratorINS6_10device_ptrIjEEEENSD_INSE_IS9_EEEEjNS1_19radix_merge_compareILb0ELb0EjNS0_19identity_decomposerEEEEE10hipError_tT0_T1_T2_jT3_P12ihipStream_tbPNSt15iterator_traitsISN_E10value_typeEPNST_ISO_E10value_typeEPSP_NS1_7vsmem_tEENKUlT_SN_SO_SP_E_clISG_PjSI_PS9_EESM_S12_SN_SO_SP_EUlS12_E0_NS1_11comp_targetILNS1_3genE0ELNS1_11target_archE4294967295ELNS1_3gpuE0ELNS1_3repE0EEENS1_38merge_mergepath_config_static_selectorELNS0_4arch9wavefront6targetE0EEEvSO_,comdat
	.protected	_ZN7rocprim17ROCPRIM_400000_NS6detail17trampoline_kernelINS0_14default_configENS1_38merge_sort_block_merge_config_selectorIjN6thrust23THRUST_200600_302600_NS5tupleIffNS6_9null_typeES8_S8_S8_S8_S8_S8_S8_EEEEZZNS1_27merge_sort_block_merge_implIS3_NS6_6detail15normal_iteratorINS6_10device_ptrIjEEEENSD_INSE_IS9_EEEEjNS1_19radix_merge_compareILb0ELb0EjNS0_19identity_decomposerEEEEE10hipError_tT0_T1_T2_jT3_P12ihipStream_tbPNSt15iterator_traitsISN_E10value_typeEPNST_ISO_E10value_typeEPSP_NS1_7vsmem_tEENKUlT_SN_SO_SP_E_clISG_PjSI_PS9_EESM_S12_SN_SO_SP_EUlS12_E0_NS1_11comp_targetILNS1_3genE0ELNS1_11target_archE4294967295ELNS1_3gpuE0ELNS1_3repE0EEENS1_38merge_mergepath_config_static_selectorELNS0_4arch9wavefront6targetE0EEEvSO_ ; -- Begin function _ZN7rocprim17ROCPRIM_400000_NS6detail17trampoline_kernelINS0_14default_configENS1_38merge_sort_block_merge_config_selectorIjN6thrust23THRUST_200600_302600_NS5tupleIffNS6_9null_typeES8_S8_S8_S8_S8_S8_S8_EEEEZZNS1_27merge_sort_block_merge_implIS3_NS6_6detail15normal_iteratorINS6_10device_ptrIjEEEENSD_INSE_IS9_EEEEjNS1_19radix_merge_compareILb0ELb0EjNS0_19identity_decomposerEEEEE10hipError_tT0_T1_T2_jT3_P12ihipStream_tbPNSt15iterator_traitsISN_E10value_typeEPNST_ISO_E10value_typeEPSP_NS1_7vsmem_tEENKUlT_SN_SO_SP_E_clISG_PjSI_PS9_EESM_S12_SN_SO_SP_EUlS12_E0_NS1_11comp_targetILNS1_3genE0ELNS1_11target_archE4294967295ELNS1_3gpuE0ELNS1_3repE0EEENS1_38merge_mergepath_config_static_selectorELNS0_4arch9wavefront6targetE0EEEvSO_
	.globl	_ZN7rocprim17ROCPRIM_400000_NS6detail17trampoline_kernelINS0_14default_configENS1_38merge_sort_block_merge_config_selectorIjN6thrust23THRUST_200600_302600_NS5tupleIffNS6_9null_typeES8_S8_S8_S8_S8_S8_S8_EEEEZZNS1_27merge_sort_block_merge_implIS3_NS6_6detail15normal_iteratorINS6_10device_ptrIjEEEENSD_INSE_IS9_EEEEjNS1_19radix_merge_compareILb0ELb0EjNS0_19identity_decomposerEEEEE10hipError_tT0_T1_T2_jT3_P12ihipStream_tbPNSt15iterator_traitsISN_E10value_typeEPNST_ISO_E10value_typeEPSP_NS1_7vsmem_tEENKUlT_SN_SO_SP_E_clISG_PjSI_PS9_EESM_S12_SN_SO_SP_EUlS12_E0_NS1_11comp_targetILNS1_3genE0ELNS1_11target_archE4294967295ELNS1_3gpuE0ELNS1_3repE0EEENS1_38merge_mergepath_config_static_selectorELNS0_4arch9wavefront6targetE0EEEvSO_
	.p2align	8
	.type	_ZN7rocprim17ROCPRIM_400000_NS6detail17trampoline_kernelINS0_14default_configENS1_38merge_sort_block_merge_config_selectorIjN6thrust23THRUST_200600_302600_NS5tupleIffNS6_9null_typeES8_S8_S8_S8_S8_S8_S8_EEEEZZNS1_27merge_sort_block_merge_implIS3_NS6_6detail15normal_iteratorINS6_10device_ptrIjEEEENSD_INSE_IS9_EEEEjNS1_19radix_merge_compareILb0ELb0EjNS0_19identity_decomposerEEEEE10hipError_tT0_T1_T2_jT3_P12ihipStream_tbPNSt15iterator_traitsISN_E10value_typeEPNST_ISO_E10value_typeEPSP_NS1_7vsmem_tEENKUlT_SN_SO_SP_E_clISG_PjSI_PS9_EESM_S12_SN_SO_SP_EUlS12_E0_NS1_11comp_targetILNS1_3genE0ELNS1_11target_archE4294967295ELNS1_3gpuE0ELNS1_3repE0EEENS1_38merge_mergepath_config_static_selectorELNS0_4arch9wavefront6targetE0EEEvSO_,@function
_ZN7rocprim17ROCPRIM_400000_NS6detail17trampoline_kernelINS0_14default_configENS1_38merge_sort_block_merge_config_selectorIjN6thrust23THRUST_200600_302600_NS5tupleIffNS6_9null_typeES8_S8_S8_S8_S8_S8_S8_EEEEZZNS1_27merge_sort_block_merge_implIS3_NS6_6detail15normal_iteratorINS6_10device_ptrIjEEEENSD_INSE_IS9_EEEEjNS1_19radix_merge_compareILb0ELb0EjNS0_19identity_decomposerEEEEE10hipError_tT0_T1_T2_jT3_P12ihipStream_tbPNSt15iterator_traitsISN_E10value_typeEPNST_ISO_E10value_typeEPSP_NS1_7vsmem_tEENKUlT_SN_SO_SP_E_clISG_PjSI_PS9_EESM_S12_SN_SO_SP_EUlS12_E0_NS1_11comp_targetILNS1_3genE0ELNS1_11target_archE4294967295ELNS1_3gpuE0ELNS1_3repE0EEENS1_38merge_mergepath_config_static_selectorELNS0_4arch9wavefront6targetE0EEEvSO_: ; @_ZN7rocprim17ROCPRIM_400000_NS6detail17trampoline_kernelINS0_14default_configENS1_38merge_sort_block_merge_config_selectorIjN6thrust23THRUST_200600_302600_NS5tupleIffNS6_9null_typeES8_S8_S8_S8_S8_S8_S8_EEEEZZNS1_27merge_sort_block_merge_implIS3_NS6_6detail15normal_iteratorINS6_10device_ptrIjEEEENSD_INSE_IS9_EEEEjNS1_19radix_merge_compareILb0ELb0EjNS0_19identity_decomposerEEEEE10hipError_tT0_T1_T2_jT3_P12ihipStream_tbPNSt15iterator_traitsISN_E10value_typeEPNST_ISO_E10value_typeEPSP_NS1_7vsmem_tEENKUlT_SN_SO_SP_E_clISG_PjSI_PS9_EESM_S12_SN_SO_SP_EUlS12_E0_NS1_11comp_targetILNS1_3genE0ELNS1_11target_archE4294967295ELNS1_3gpuE0ELNS1_3repE0EEENS1_38merge_mergepath_config_static_selectorELNS0_4arch9wavefront6targetE0EEEvSO_
; %bb.0:
	.section	.rodata,"a",@progbits
	.p2align	6, 0x0
	.amdhsa_kernel _ZN7rocprim17ROCPRIM_400000_NS6detail17trampoline_kernelINS0_14default_configENS1_38merge_sort_block_merge_config_selectorIjN6thrust23THRUST_200600_302600_NS5tupleIffNS6_9null_typeES8_S8_S8_S8_S8_S8_S8_EEEEZZNS1_27merge_sort_block_merge_implIS3_NS6_6detail15normal_iteratorINS6_10device_ptrIjEEEENSD_INSE_IS9_EEEEjNS1_19radix_merge_compareILb0ELb0EjNS0_19identity_decomposerEEEEE10hipError_tT0_T1_T2_jT3_P12ihipStream_tbPNSt15iterator_traitsISN_E10value_typeEPNST_ISO_E10value_typeEPSP_NS1_7vsmem_tEENKUlT_SN_SO_SP_E_clISG_PjSI_PS9_EESM_S12_SN_SO_SP_EUlS12_E0_NS1_11comp_targetILNS1_3genE0ELNS1_11target_archE4294967295ELNS1_3gpuE0ELNS1_3repE0EEENS1_38merge_mergepath_config_static_selectorELNS0_4arch9wavefront6targetE0EEEvSO_
		.amdhsa_group_segment_fixed_size 0
		.amdhsa_private_segment_fixed_size 0
		.amdhsa_kernarg_size 64
		.amdhsa_user_sgpr_count 6
		.amdhsa_user_sgpr_private_segment_buffer 1
		.amdhsa_user_sgpr_dispatch_ptr 0
		.amdhsa_user_sgpr_queue_ptr 0
		.amdhsa_user_sgpr_kernarg_segment_ptr 1
		.amdhsa_user_sgpr_dispatch_id 0
		.amdhsa_user_sgpr_flat_scratch_init 0
		.amdhsa_user_sgpr_private_segment_size 0
		.amdhsa_wavefront_size32 1
		.amdhsa_uses_dynamic_stack 0
		.amdhsa_system_sgpr_private_segment_wavefront_offset 0
		.amdhsa_system_sgpr_workgroup_id_x 1
		.amdhsa_system_sgpr_workgroup_id_y 0
		.amdhsa_system_sgpr_workgroup_id_z 0
		.amdhsa_system_sgpr_workgroup_info 0
		.amdhsa_system_vgpr_workitem_id 0
		.amdhsa_next_free_vgpr 1
		.amdhsa_next_free_sgpr 1
		.amdhsa_reserve_vcc 0
		.amdhsa_reserve_flat_scratch 0
		.amdhsa_float_round_mode_32 0
		.amdhsa_float_round_mode_16_64 0
		.amdhsa_float_denorm_mode_32 3
		.amdhsa_float_denorm_mode_16_64 3
		.amdhsa_dx10_clamp 1
		.amdhsa_ieee_mode 1
		.amdhsa_fp16_overflow 0
		.amdhsa_workgroup_processor_mode 1
		.amdhsa_memory_ordered 1
		.amdhsa_forward_progress 1
		.amdhsa_shared_vgpr_count 0
		.amdhsa_exception_fp_ieee_invalid_op 0
		.amdhsa_exception_fp_denorm_src 0
		.amdhsa_exception_fp_ieee_div_zero 0
		.amdhsa_exception_fp_ieee_overflow 0
		.amdhsa_exception_fp_ieee_underflow 0
		.amdhsa_exception_fp_ieee_inexact 0
		.amdhsa_exception_int_div_zero 0
	.end_amdhsa_kernel
	.section	.text._ZN7rocprim17ROCPRIM_400000_NS6detail17trampoline_kernelINS0_14default_configENS1_38merge_sort_block_merge_config_selectorIjN6thrust23THRUST_200600_302600_NS5tupleIffNS6_9null_typeES8_S8_S8_S8_S8_S8_S8_EEEEZZNS1_27merge_sort_block_merge_implIS3_NS6_6detail15normal_iteratorINS6_10device_ptrIjEEEENSD_INSE_IS9_EEEEjNS1_19radix_merge_compareILb0ELb0EjNS0_19identity_decomposerEEEEE10hipError_tT0_T1_T2_jT3_P12ihipStream_tbPNSt15iterator_traitsISN_E10value_typeEPNST_ISO_E10value_typeEPSP_NS1_7vsmem_tEENKUlT_SN_SO_SP_E_clISG_PjSI_PS9_EESM_S12_SN_SO_SP_EUlS12_E0_NS1_11comp_targetILNS1_3genE0ELNS1_11target_archE4294967295ELNS1_3gpuE0ELNS1_3repE0EEENS1_38merge_mergepath_config_static_selectorELNS0_4arch9wavefront6targetE0EEEvSO_,"axG",@progbits,_ZN7rocprim17ROCPRIM_400000_NS6detail17trampoline_kernelINS0_14default_configENS1_38merge_sort_block_merge_config_selectorIjN6thrust23THRUST_200600_302600_NS5tupleIffNS6_9null_typeES8_S8_S8_S8_S8_S8_S8_EEEEZZNS1_27merge_sort_block_merge_implIS3_NS6_6detail15normal_iteratorINS6_10device_ptrIjEEEENSD_INSE_IS9_EEEEjNS1_19radix_merge_compareILb0ELb0EjNS0_19identity_decomposerEEEEE10hipError_tT0_T1_T2_jT3_P12ihipStream_tbPNSt15iterator_traitsISN_E10value_typeEPNST_ISO_E10value_typeEPSP_NS1_7vsmem_tEENKUlT_SN_SO_SP_E_clISG_PjSI_PS9_EESM_S12_SN_SO_SP_EUlS12_E0_NS1_11comp_targetILNS1_3genE0ELNS1_11target_archE4294967295ELNS1_3gpuE0ELNS1_3repE0EEENS1_38merge_mergepath_config_static_selectorELNS0_4arch9wavefront6targetE0EEEvSO_,comdat
.Lfunc_end57:
	.size	_ZN7rocprim17ROCPRIM_400000_NS6detail17trampoline_kernelINS0_14default_configENS1_38merge_sort_block_merge_config_selectorIjN6thrust23THRUST_200600_302600_NS5tupleIffNS6_9null_typeES8_S8_S8_S8_S8_S8_S8_EEEEZZNS1_27merge_sort_block_merge_implIS3_NS6_6detail15normal_iteratorINS6_10device_ptrIjEEEENSD_INSE_IS9_EEEEjNS1_19radix_merge_compareILb0ELb0EjNS0_19identity_decomposerEEEEE10hipError_tT0_T1_T2_jT3_P12ihipStream_tbPNSt15iterator_traitsISN_E10value_typeEPNST_ISO_E10value_typeEPSP_NS1_7vsmem_tEENKUlT_SN_SO_SP_E_clISG_PjSI_PS9_EESM_S12_SN_SO_SP_EUlS12_E0_NS1_11comp_targetILNS1_3genE0ELNS1_11target_archE4294967295ELNS1_3gpuE0ELNS1_3repE0EEENS1_38merge_mergepath_config_static_selectorELNS0_4arch9wavefront6targetE0EEEvSO_, .Lfunc_end57-_ZN7rocprim17ROCPRIM_400000_NS6detail17trampoline_kernelINS0_14default_configENS1_38merge_sort_block_merge_config_selectorIjN6thrust23THRUST_200600_302600_NS5tupleIffNS6_9null_typeES8_S8_S8_S8_S8_S8_S8_EEEEZZNS1_27merge_sort_block_merge_implIS3_NS6_6detail15normal_iteratorINS6_10device_ptrIjEEEENSD_INSE_IS9_EEEEjNS1_19radix_merge_compareILb0ELb0EjNS0_19identity_decomposerEEEEE10hipError_tT0_T1_T2_jT3_P12ihipStream_tbPNSt15iterator_traitsISN_E10value_typeEPNST_ISO_E10value_typeEPSP_NS1_7vsmem_tEENKUlT_SN_SO_SP_E_clISG_PjSI_PS9_EESM_S12_SN_SO_SP_EUlS12_E0_NS1_11comp_targetILNS1_3genE0ELNS1_11target_archE4294967295ELNS1_3gpuE0ELNS1_3repE0EEENS1_38merge_mergepath_config_static_selectorELNS0_4arch9wavefront6targetE0EEEvSO_
                                        ; -- End function
	.set _ZN7rocprim17ROCPRIM_400000_NS6detail17trampoline_kernelINS0_14default_configENS1_38merge_sort_block_merge_config_selectorIjN6thrust23THRUST_200600_302600_NS5tupleIffNS6_9null_typeES8_S8_S8_S8_S8_S8_S8_EEEEZZNS1_27merge_sort_block_merge_implIS3_NS6_6detail15normal_iteratorINS6_10device_ptrIjEEEENSD_INSE_IS9_EEEEjNS1_19radix_merge_compareILb0ELb0EjNS0_19identity_decomposerEEEEE10hipError_tT0_T1_T2_jT3_P12ihipStream_tbPNSt15iterator_traitsISN_E10value_typeEPNST_ISO_E10value_typeEPSP_NS1_7vsmem_tEENKUlT_SN_SO_SP_E_clISG_PjSI_PS9_EESM_S12_SN_SO_SP_EUlS12_E0_NS1_11comp_targetILNS1_3genE0ELNS1_11target_archE4294967295ELNS1_3gpuE0ELNS1_3repE0EEENS1_38merge_mergepath_config_static_selectorELNS0_4arch9wavefront6targetE0EEEvSO_.num_vgpr, 0
	.set _ZN7rocprim17ROCPRIM_400000_NS6detail17trampoline_kernelINS0_14default_configENS1_38merge_sort_block_merge_config_selectorIjN6thrust23THRUST_200600_302600_NS5tupleIffNS6_9null_typeES8_S8_S8_S8_S8_S8_S8_EEEEZZNS1_27merge_sort_block_merge_implIS3_NS6_6detail15normal_iteratorINS6_10device_ptrIjEEEENSD_INSE_IS9_EEEEjNS1_19radix_merge_compareILb0ELb0EjNS0_19identity_decomposerEEEEE10hipError_tT0_T1_T2_jT3_P12ihipStream_tbPNSt15iterator_traitsISN_E10value_typeEPNST_ISO_E10value_typeEPSP_NS1_7vsmem_tEENKUlT_SN_SO_SP_E_clISG_PjSI_PS9_EESM_S12_SN_SO_SP_EUlS12_E0_NS1_11comp_targetILNS1_3genE0ELNS1_11target_archE4294967295ELNS1_3gpuE0ELNS1_3repE0EEENS1_38merge_mergepath_config_static_selectorELNS0_4arch9wavefront6targetE0EEEvSO_.num_agpr, 0
	.set _ZN7rocprim17ROCPRIM_400000_NS6detail17trampoline_kernelINS0_14default_configENS1_38merge_sort_block_merge_config_selectorIjN6thrust23THRUST_200600_302600_NS5tupleIffNS6_9null_typeES8_S8_S8_S8_S8_S8_S8_EEEEZZNS1_27merge_sort_block_merge_implIS3_NS6_6detail15normal_iteratorINS6_10device_ptrIjEEEENSD_INSE_IS9_EEEEjNS1_19radix_merge_compareILb0ELb0EjNS0_19identity_decomposerEEEEE10hipError_tT0_T1_T2_jT3_P12ihipStream_tbPNSt15iterator_traitsISN_E10value_typeEPNST_ISO_E10value_typeEPSP_NS1_7vsmem_tEENKUlT_SN_SO_SP_E_clISG_PjSI_PS9_EESM_S12_SN_SO_SP_EUlS12_E0_NS1_11comp_targetILNS1_3genE0ELNS1_11target_archE4294967295ELNS1_3gpuE0ELNS1_3repE0EEENS1_38merge_mergepath_config_static_selectorELNS0_4arch9wavefront6targetE0EEEvSO_.numbered_sgpr, 0
	.set _ZN7rocprim17ROCPRIM_400000_NS6detail17trampoline_kernelINS0_14default_configENS1_38merge_sort_block_merge_config_selectorIjN6thrust23THRUST_200600_302600_NS5tupleIffNS6_9null_typeES8_S8_S8_S8_S8_S8_S8_EEEEZZNS1_27merge_sort_block_merge_implIS3_NS6_6detail15normal_iteratorINS6_10device_ptrIjEEEENSD_INSE_IS9_EEEEjNS1_19radix_merge_compareILb0ELb0EjNS0_19identity_decomposerEEEEE10hipError_tT0_T1_T2_jT3_P12ihipStream_tbPNSt15iterator_traitsISN_E10value_typeEPNST_ISO_E10value_typeEPSP_NS1_7vsmem_tEENKUlT_SN_SO_SP_E_clISG_PjSI_PS9_EESM_S12_SN_SO_SP_EUlS12_E0_NS1_11comp_targetILNS1_3genE0ELNS1_11target_archE4294967295ELNS1_3gpuE0ELNS1_3repE0EEENS1_38merge_mergepath_config_static_selectorELNS0_4arch9wavefront6targetE0EEEvSO_.num_named_barrier, 0
	.set _ZN7rocprim17ROCPRIM_400000_NS6detail17trampoline_kernelINS0_14default_configENS1_38merge_sort_block_merge_config_selectorIjN6thrust23THRUST_200600_302600_NS5tupleIffNS6_9null_typeES8_S8_S8_S8_S8_S8_S8_EEEEZZNS1_27merge_sort_block_merge_implIS3_NS6_6detail15normal_iteratorINS6_10device_ptrIjEEEENSD_INSE_IS9_EEEEjNS1_19radix_merge_compareILb0ELb0EjNS0_19identity_decomposerEEEEE10hipError_tT0_T1_T2_jT3_P12ihipStream_tbPNSt15iterator_traitsISN_E10value_typeEPNST_ISO_E10value_typeEPSP_NS1_7vsmem_tEENKUlT_SN_SO_SP_E_clISG_PjSI_PS9_EESM_S12_SN_SO_SP_EUlS12_E0_NS1_11comp_targetILNS1_3genE0ELNS1_11target_archE4294967295ELNS1_3gpuE0ELNS1_3repE0EEENS1_38merge_mergepath_config_static_selectorELNS0_4arch9wavefront6targetE0EEEvSO_.private_seg_size, 0
	.set _ZN7rocprim17ROCPRIM_400000_NS6detail17trampoline_kernelINS0_14default_configENS1_38merge_sort_block_merge_config_selectorIjN6thrust23THRUST_200600_302600_NS5tupleIffNS6_9null_typeES8_S8_S8_S8_S8_S8_S8_EEEEZZNS1_27merge_sort_block_merge_implIS3_NS6_6detail15normal_iteratorINS6_10device_ptrIjEEEENSD_INSE_IS9_EEEEjNS1_19radix_merge_compareILb0ELb0EjNS0_19identity_decomposerEEEEE10hipError_tT0_T1_T2_jT3_P12ihipStream_tbPNSt15iterator_traitsISN_E10value_typeEPNST_ISO_E10value_typeEPSP_NS1_7vsmem_tEENKUlT_SN_SO_SP_E_clISG_PjSI_PS9_EESM_S12_SN_SO_SP_EUlS12_E0_NS1_11comp_targetILNS1_3genE0ELNS1_11target_archE4294967295ELNS1_3gpuE0ELNS1_3repE0EEENS1_38merge_mergepath_config_static_selectorELNS0_4arch9wavefront6targetE0EEEvSO_.uses_vcc, 0
	.set _ZN7rocprim17ROCPRIM_400000_NS6detail17trampoline_kernelINS0_14default_configENS1_38merge_sort_block_merge_config_selectorIjN6thrust23THRUST_200600_302600_NS5tupleIffNS6_9null_typeES8_S8_S8_S8_S8_S8_S8_EEEEZZNS1_27merge_sort_block_merge_implIS3_NS6_6detail15normal_iteratorINS6_10device_ptrIjEEEENSD_INSE_IS9_EEEEjNS1_19radix_merge_compareILb0ELb0EjNS0_19identity_decomposerEEEEE10hipError_tT0_T1_T2_jT3_P12ihipStream_tbPNSt15iterator_traitsISN_E10value_typeEPNST_ISO_E10value_typeEPSP_NS1_7vsmem_tEENKUlT_SN_SO_SP_E_clISG_PjSI_PS9_EESM_S12_SN_SO_SP_EUlS12_E0_NS1_11comp_targetILNS1_3genE0ELNS1_11target_archE4294967295ELNS1_3gpuE0ELNS1_3repE0EEENS1_38merge_mergepath_config_static_selectorELNS0_4arch9wavefront6targetE0EEEvSO_.uses_flat_scratch, 0
	.set _ZN7rocprim17ROCPRIM_400000_NS6detail17trampoline_kernelINS0_14default_configENS1_38merge_sort_block_merge_config_selectorIjN6thrust23THRUST_200600_302600_NS5tupleIffNS6_9null_typeES8_S8_S8_S8_S8_S8_S8_EEEEZZNS1_27merge_sort_block_merge_implIS3_NS6_6detail15normal_iteratorINS6_10device_ptrIjEEEENSD_INSE_IS9_EEEEjNS1_19radix_merge_compareILb0ELb0EjNS0_19identity_decomposerEEEEE10hipError_tT0_T1_T2_jT3_P12ihipStream_tbPNSt15iterator_traitsISN_E10value_typeEPNST_ISO_E10value_typeEPSP_NS1_7vsmem_tEENKUlT_SN_SO_SP_E_clISG_PjSI_PS9_EESM_S12_SN_SO_SP_EUlS12_E0_NS1_11comp_targetILNS1_3genE0ELNS1_11target_archE4294967295ELNS1_3gpuE0ELNS1_3repE0EEENS1_38merge_mergepath_config_static_selectorELNS0_4arch9wavefront6targetE0EEEvSO_.has_dyn_sized_stack, 0
	.set _ZN7rocprim17ROCPRIM_400000_NS6detail17trampoline_kernelINS0_14default_configENS1_38merge_sort_block_merge_config_selectorIjN6thrust23THRUST_200600_302600_NS5tupleIffNS6_9null_typeES8_S8_S8_S8_S8_S8_S8_EEEEZZNS1_27merge_sort_block_merge_implIS3_NS6_6detail15normal_iteratorINS6_10device_ptrIjEEEENSD_INSE_IS9_EEEEjNS1_19radix_merge_compareILb0ELb0EjNS0_19identity_decomposerEEEEE10hipError_tT0_T1_T2_jT3_P12ihipStream_tbPNSt15iterator_traitsISN_E10value_typeEPNST_ISO_E10value_typeEPSP_NS1_7vsmem_tEENKUlT_SN_SO_SP_E_clISG_PjSI_PS9_EESM_S12_SN_SO_SP_EUlS12_E0_NS1_11comp_targetILNS1_3genE0ELNS1_11target_archE4294967295ELNS1_3gpuE0ELNS1_3repE0EEENS1_38merge_mergepath_config_static_selectorELNS0_4arch9wavefront6targetE0EEEvSO_.has_recursion, 0
	.set _ZN7rocprim17ROCPRIM_400000_NS6detail17trampoline_kernelINS0_14default_configENS1_38merge_sort_block_merge_config_selectorIjN6thrust23THRUST_200600_302600_NS5tupleIffNS6_9null_typeES8_S8_S8_S8_S8_S8_S8_EEEEZZNS1_27merge_sort_block_merge_implIS3_NS6_6detail15normal_iteratorINS6_10device_ptrIjEEEENSD_INSE_IS9_EEEEjNS1_19radix_merge_compareILb0ELb0EjNS0_19identity_decomposerEEEEE10hipError_tT0_T1_T2_jT3_P12ihipStream_tbPNSt15iterator_traitsISN_E10value_typeEPNST_ISO_E10value_typeEPSP_NS1_7vsmem_tEENKUlT_SN_SO_SP_E_clISG_PjSI_PS9_EESM_S12_SN_SO_SP_EUlS12_E0_NS1_11comp_targetILNS1_3genE0ELNS1_11target_archE4294967295ELNS1_3gpuE0ELNS1_3repE0EEENS1_38merge_mergepath_config_static_selectorELNS0_4arch9wavefront6targetE0EEEvSO_.has_indirect_call, 0
	.section	.AMDGPU.csdata,"",@progbits
; Kernel info:
; codeLenInByte = 0
; TotalNumSgprs: 0
; NumVgprs: 0
; ScratchSize: 0
; MemoryBound: 0
; FloatMode: 240
; IeeeMode: 1
; LDSByteSize: 0 bytes/workgroup (compile time only)
; SGPRBlocks: 0
; VGPRBlocks: 0
; NumSGPRsForWavesPerEU: 1
; NumVGPRsForWavesPerEU: 1
; Occupancy: 16
; WaveLimiterHint : 0
; COMPUTE_PGM_RSRC2:SCRATCH_EN: 0
; COMPUTE_PGM_RSRC2:USER_SGPR: 6
; COMPUTE_PGM_RSRC2:TRAP_HANDLER: 0
; COMPUTE_PGM_RSRC2:TGID_X_EN: 1
; COMPUTE_PGM_RSRC2:TGID_Y_EN: 0
; COMPUTE_PGM_RSRC2:TGID_Z_EN: 0
; COMPUTE_PGM_RSRC2:TIDIG_COMP_CNT: 0
	.section	.text._ZN7rocprim17ROCPRIM_400000_NS6detail17trampoline_kernelINS0_14default_configENS1_38merge_sort_block_merge_config_selectorIjN6thrust23THRUST_200600_302600_NS5tupleIffNS6_9null_typeES8_S8_S8_S8_S8_S8_S8_EEEEZZNS1_27merge_sort_block_merge_implIS3_NS6_6detail15normal_iteratorINS6_10device_ptrIjEEEENSD_INSE_IS9_EEEEjNS1_19radix_merge_compareILb0ELb0EjNS0_19identity_decomposerEEEEE10hipError_tT0_T1_T2_jT3_P12ihipStream_tbPNSt15iterator_traitsISN_E10value_typeEPNST_ISO_E10value_typeEPSP_NS1_7vsmem_tEENKUlT_SN_SO_SP_E_clISG_PjSI_PS9_EESM_S12_SN_SO_SP_EUlS12_E0_NS1_11comp_targetILNS1_3genE10ELNS1_11target_archE1201ELNS1_3gpuE5ELNS1_3repE0EEENS1_38merge_mergepath_config_static_selectorELNS0_4arch9wavefront6targetE0EEEvSO_,"axG",@progbits,_ZN7rocprim17ROCPRIM_400000_NS6detail17trampoline_kernelINS0_14default_configENS1_38merge_sort_block_merge_config_selectorIjN6thrust23THRUST_200600_302600_NS5tupleIffNS6_9null_typeES8_S8_S8_S8_S8_S8_S8_EEEEZZNS1_27merge_sort_block_merge_implIS3_NS6_6detail15normal_iteratorINS6_10device_ptrIjEEEENSD_INSE_IS9_EEEEjNS1_19radix_merge_compareILb0ELb0EjNS0_19identity_decomposerEEEEE10hipError_tT0_T1_T2_jT3_P12ihipStream_tbPNSt15iterator_traitsISN_E10value_typeEPNST_ISO_E10value_typeEPSP_NS1_7vsmem_tEENKUlT_SN_SO_SP_E_clISG_PjSI_PS9_EESM_S12_SN_SO_SP_EUlS12_E0_NS1_11comp_targetILNS1_3genE10ELNS1_11target_archE1201ELNS1_3gpuE5ELNS1_3repE0EEENS1_38merge_mergepath_config_static_selectorELNS0_4arch9wavefront6targetE0EEEvSO_,comdat
	.protected	_ZN7rocprim17ROCPRIM_400000_NS6detail17trampoline_kernelINS0_14default_configENS1_38merge_sort_block_merge_config_selectorIjN6thrust23THRUST_200600_302600_NS5tupleIffNS6_9null_typeES8_S8_S8_S8_S8_S8_S8_EEEEZZNS1_27merge_sort_block_merge_implIS3_NS6_6detail15normal_iteratorINS6_10device_ptrIjEEEENSD_INSE_IS9_EEEEjNS1_19radix_merge_compareILb0ELb0EjNS0_19identity_decomposerEEEEE10hipError_tT0_T1_T2_jT3_P12ihipStream_tbPNSt15iterator_traitsISN_E10value_typeEPNST_ISO_E10value_typeEPSP_NS1_7vsmem_tEENKUlT_SN_SO_SP_E_clISG_PjSI_PS9_EESM_S12_SN_SO_SP_EUlS12_E0_NS1_11comp_targetILNS1_3genE10ELNS1_11target_archE1201ELNS1_3gpuE5ELNS1_3repE0EEENS1_38merge_mergepath_config_static_selectorELNS0_4arch9wavefront6targetE0EEEvSO_ ; -- Begin function _ZN7rocprim17ROCPRIM_400000_NS6detail17trampoline_kernelINS0_14default_configENS1_38merge_sort_block_merge_config_selectorIjN6thrust23THRUST_200600_302600_NS5tupleIffNS6_9null_typeES8_S8_S8_S8_S8_S8_S8_EEEEZZNS1_27merge_sort_block_merge_implIS3_NS6_6detail15normal_iteratorINS6_10device_ptrIjEEEENSD_INSE_IS9_EEEEjNS1_19radix_merge_compareILb0ELb0EjNS0_19identity_decomposerEEEEE10hipError_tT0_T1_T2_jT3_P12ihipStream_tbPNSt15iterator_traitsISN_E10value_typeEPNST_ISO_E10value_typeEPSP_NS1_7vsmem_tEENKUlT_SN_SO_SP_E_clISG_PjSI_PS9_EESM_S12_SN_SO_SP_EUlS12_E0_NS1_11comp_targetILNS1_3genE10ELNS1_11target_archE1201ELNS1_3gpuE5ELNS1_3repE0EEENS1_38merge_mergepath_config_static_selectorELNS0_4arch9wavefront6targetE0EEEvSO_
	.globl	_ZN7rocprim17ROCPRIM_400000_NS6detail17trampoline_kernelINS0_14default_configENS1_38merge_sort_block_merge_config_selectorIjN6thrust23THRUST_200600_302600_NS5tupleIffNS6_9null_typeES8_S8_S8_S8_S8_S8_S8_EEEEZZNS1_27merge_sort_block_merge_implIS3_NS6_6detail15normal_iteratorINS6_10device_ptrIjEEEENSD_INSE_IS9_EEEEjNS1_19radix_merge_compareILb0ELb0EjNS0_19identity_decomposerEEEEE10hipError_tT0_T1_T2_jT3_P12ihipStream_tbPNSt15iterator_traitsISN_E10value_typeEPNST_ISO_E10value_typeEPSP_NS1_7vsmem_tEENKUlT_SN_SO_SP_E_clISG_PjSI_PS9_EESM_S12_SN_SO_SP_EUlS12_E0_NS1_11comp_targetILNS1_3genE10ELNS1_11target_archE1201ELNS1_3gpuE5ELNS1_3repE0EEENS1_38merge_mergepath_config_static_selectorELNS0_4arch9wavefront6targetE0EEEvSO_
	.p2align	8
	.type	_ZN7rocprim17ROCPRIM_400000_NS6detail17trampoline_kernelINS0_14default_configENS1_38merge_sort_block_merge_config_selectorIjN6thrust23THRUST_200600_302600_NS5tupleIffNS6_9null_typeES8_S8_S8_S8_S8_S8_S8_EEEEZZNS1_27merge_sort_block_merge_implIS3_NS6_6detail15normal_iteratorINS6_10device_ptrIjEEEENSD_INSE_IS9_EEEEjNS1_19radix_merge_compareILb0ELb0EjNS0_19identity_decomposerEEEEE10hipError_tT0_T1_T2_jT3_P12ihipStream_tbPNSt15iterator_traitsISN_E10value_typeEPNST_ISO_E10value_typeEPSP_NS1_7vsmem_tEENKUlT_SN_SO_SP_E_clISG_PjSI_PS9_EESM_S12_SN_SO_SP_EUlS12_E0_NS1_11comp_targetILNS1_3genE10ELNS1_11target_archE1201ELNS1_3gpuE5ELNS1_3repE0EEENS1_38merge_mergepath_config_static_selectorELNS0_4arch9wavefront6targetE0EEEvSO_,@function
_ZN7rocprim17ROCPRIM_400000_NS6detail17trampoline_kernelINS0_14default_configENS1_38merge_sort_block_merge_config_selectorIjN6thrust23THRUST_200600_302600_NS5tupleIffNS6_9null_typeES8_S8_S8_S8_S8_S8_S8_EEEEZZNS1_27merge_sort_block_merge_implIS3_NS6_6detail15normal_iteratorINS6_10device_ptrIjEEEENSD_INSE_IS9_EEEEjNS1_19radix_merge_compareILb0ELb0EjNS0_19identity_decomposerEEEEE10hipError_tT0_T1_T2_jT3_P12ihipStream_tbPNSt15iterator_traitsISN_E10value_typeEPNST_ISO_E10value_typeEPSP_NS1_7vsmem_tEENKUlT_SN_SO_SP_E_clISG_PjSI_PS9_EESM_S12_SN_SO_SP_EUlS12_E0_NS1_11comp_targetILNS1_3genE10ELNS1_11target_archE1201ELNS1_3gpuE5ELNS1_3repE0EEENS1_38merge_mergepath_config_static_selectorELNS0_4arch9wavefront6targetE0EEEvSO_: ; @_ZN7rocprim17ROCPRIM_400000_NS6detail17trampoline_kernelINS0_14default_configENS1_38merge_sort_block_merge_config_selectorIjN6thrust23THRUST_200600_302600_NS5tupleIffNS6_9null_typeES8_S8_S8_S8_S8_S8_S8_EEEEZZNS1_27merge_sort_block_merge_implIS3_NS6_6detail15normal_iteratorINS6_10device_ptrIjEEEENSD_INSE_IS9_EEEEjNS1_19radix_merge_compareILb0ELb0EjNS0_19identity_decomposerEEEEE10hipError_tT0_T1_T2_jT3_P12ihipStream_tbPNSt15iterator_traitsISN_E10value_typeEPNST_ISO_E10value_typeEPSP_NS1_7vsmem_tEENKUlT_SN_SO_SP_E_clISG_PjSI_PS9_EESM_S12_SN_SO_SP_EUlS12_E0_NS1_11comp_targetILNS1_3genE10ELNS1_11target_archE1201ELNS1_3gpuE5ELNS1_3repE0EEENS1_38merge_mergepath_config_static_selectorELNS0_4arch9wavefront6targetE0EEEvSO_
; %bb.0:
	.section	.rodata,"a",@progbits
	.p2align	6, 0x0
	.amdhsa_kernel _ZN7rocprim17ROCPRIM_400000_NS6detail17trampoline_kernelINS0_14default_configENS1_38merge_sort_block_merge_config_selectorIjN6thrust23THRUST_200600_302600_NS5tupleIffNS6_9null_typeES8_S8_S8_S8_S8_S8_S8_EEEEZZNS1_27merge_sort_block_merge_implIS3_NS6_6detail15normal_iteratorINS6_10device_ptrIjEEEENSD_INSE_IS9_EEEEjNS1_19radix_merge_compareILb0ELb0EjNS0_19identity_decomposerEEEEE10hipError_tT0_T1_T2_jT3_P12ihipStream_tbPNSt15iterator_traitsISN_E10value_typeEPNST_ISO_E10value_typeEPSP_NS1_7vsmem_tEENKUlT_SN_SO_SP_E_clISG_PjSI_PS9_EESM_S12_SN_SO_SP_EUlS12_E0_NS1_11comp_targetILNS1_3genE10ELNS1_11target_archE1201ELNS1_3gpuE5ELNS1_3repE0EEENS1_38merge_mergepath_config_static_selectorELNS0_4arch9wavefront6targetE0EEEvSO_
		.amdhsa_group_segment_fixed_size 0
		.amdhsa_private_segment_fixed_size 0
		.amdhsa_kernarg_size 64
		.amdhsa_user_sgpr_count 6
		.amdhsa_user_sgpr_private_segment_buffer 1
		.amdhsa_user_sgpr_dispatch_ptr 0
		.amdhsa_user_sgpr_queue_ptr 0
		.amdhsa_user_sgpr_kernarg_segment_ptr 1
		.amdhsa_user_sgpr_dispatch_id 0
		.amdhsa_user_sgpr_flat_scratch_init 0
		.amdhsa_user_sgpr_private_segment_size 0
		.amdhsa_wavefront_size32 1
		.amdhsa_uses_dynamic_stack 0
		.amdhsa_system_sgpr_private_segment_wavefront_offset 0
		.amdhsa_system_sgpr_workgroup_id_x 1
		.amdhsa_system_sgpr_workgroup_id_y 0
		.amdhsa_system_sgpr_workgroup_id_z 0
		.amdhsa_system_sgpr_workgroup_info 0
		.amdhsa_system_vgpr_workitem_id 0
		.amdhsa_next_free_vgpr 1
		.amdhsa_next_free_sgpr 1
		.amdhsa_reserve_vcc 0
		.amdhsa_reserve_flat_scratch 0
		.amdhsa_float_round_mode_32 0
		.amdhsa_float_round_mode_16_64 0
		.amdhsa_float_denorm_mode_32 3
		.amdhsa_float_denorm_mode_16_64 3
		.amdhsa_dx10_clamp 1
		.amdhsa_ieee_mode 1
		.amdhsa_fp16_overflow 0
		.amdhsa_workgroup_processor_mode 1
		.amdhsa_memory_ordered 1
		.amdhsa_forward_progress 1
		.amdhsa_shared_vgpr_count 0
		.amdhsa_exception_fp_ieee_invalid_op 0
		.amdhsa_exception_fp_denorm_src 0
		.amdhsa_exception_fp_ieee_div_zero 0
		.amdhsa_exception_fp_ieee_overflow 0
		.amdhsa_exception_fp_ieee_underflow 0
		.amdhsa_exception_fp_ieee_inexact 0
		.amdhsa_exception_int_div_zero 0
	.end_amdhsa_kernel
	.section	.text._ZN7rocprim17ROCPRIM_400000_NS6detail17trampoline_kernelINS0_14default_configENS1_38merge_sort_block_merge_config_selectorIjN6thrust23THRUST_200600_302600_NS5tupleIffNS6_9null_typeES8_S8_S8_S8_S8_S8_S8_EEEEZZNS1_27merge_sort_block_merge_implIS3_NS6_6detail15normal_iteratorINS6_10device_ptrIjEEEENSD_INSE_IS9_EEEEjNS1_19radix_merge_compareILb0ELb0EjNS0_19identity_decomposerEEEEE10hipError_tT0_T1_T2_jT3_P12ihipStream_tbPNSt15iterator_traitsISN_E10value_typeEPNST_ISO_E10value_typeEPSP_NS1_7vsmem_tEENKUlT_SN_SO_SP_E_clISG_PjSI_PS9_EESM_S12_SN_SO_SP_EUlS12_E0_NS1_11comp_targetILNS1_3genE10ELNS1_11target_archE1201ELNS1_3gpuE5ELNS1_3repE0EEENS1_38merge_mergepath_config_static_selectorELNS0_4arch9wavefront6targetE0EEEvSO_,"axG",@progbits,_ZN7rocprim17ROCPRIM_400000_NS6detail17trampoline_kernelINS0_14default_configENS1_38merge_sort_block_merge_config_selectorIjN6thrust23THRUST_200600_302600_NS5tupleIffNS6_9null_typeES8_S8_S8_S8_S8_S8_S8_EEEEZZNS1_27merge_sort_block_merge_implIS3_NS6_6detail15normal_iteratorINS6_10device_ptrIjEEEENSD_INSE_IS9_EEEEjNS1_19radix_merge_compareILb0ELb0EjNS0_19identity_decomposerEEEEE10hipError_tT0_T1_T2_jT3_P12ihipStream_tbPNSt15iterator_traitsISN_E10value_typeEPNST_ISO_E10value_typeEPSP_NS1_7vsmem_tEENKUlT_SN_SO_SP_E_clISG_PjSI_PS9_EESM_S12_SN_SO_SP_EUlS12_E0_NS1_11comp_targetILNS1_3genE10ELNS1_11target_archE1201ELNS1_3gpuE5ELNS1_3repE0EEENS1_38merge_mergepath_config_static_selectorELNS0_4arch9wavefront6targetE0EEEvSO_,comdat
.Lfunc_end58:
	.size	_ZN7rocprim17ROCPRIM_400000_NS6detail17trampoline_kernelINS0_14default_configENS1_38merge_sort_block_merge_config_selectorIjN6thrust23THRUST_200600_302600_NS5tupleIffNS6_9null_typeES8_S8_S8_S8_S8_S8_S8_EEEEZZNS1_27merge_sort_block_merge_implIS3_NS6_6detail15normal_iteratorINS6_10device_ptrIjEEEENSD_INSE_IS9_EEEEjNS1_19radix_merge_compareILb0ELb0EjNS0_19identity_decomposerEEEEE10hipError_tT0_T1_T2_jT3_P12ihipStream_tbPNSt15iterator_traitsISN_E10value_typeEPNST_ISO_E10value_typeEPSP_NS1_7vsmem_tEENKUlT_SN_SO_SP_E_clISG_PjSI_PS9_EESM_S12_SN_SO_SP_EUlS12_E0_NS1_11comp_targetILNS1_3genE10ELNS1_11target_archE1201ELNS1_3gpuE5ELNS1_3repE0EEENS1_38merge_mergepath_config_static_selectorELNS0_4arch9wavefront6targetE0EEEvSO_, .Lfunc_end58-_ZN7rocprim17ROCPRIM_400000_NS6detail17trampoline_kernelINS0_14default_configENS1_38merge_sort_block_merge_config_selectorIjN6thrust23THRUST_200600_302600_NS5tupleIffNS6_9null_typeES8_S8_S8_S8_S8_S8_S8_EEEEZZNS1_27merge_sort_block_merge_implIS3_NS6_6detail15normal_iteratorINS6_10device_ptrIjEEEENSD_INSE_IS9_EEEEjNS1_19radix_merge_compareILb0ELb0EjNS0_19identity_decomposerEEEEE10hipError_tT0_T1_T2_jT3_P12ihipStream_tbPNSt15iterator_traitsISN_E10value_typeEPNST_ISO_E10value_typeEPSP_NS1_7vsmem_tEENKUlT_SN_SO_SP_E_clISG_PjSI_PS9_EESM_S12_SN_SO_SP_EUlS12_E0_NS1_11comp_targetILNS1_3genE10ELNS1_11target_archE1201ELNS1_3gpuE5ELNS1_3repE0EEENS1_38merge_mergepath_config_static_selectorELNS0_4arch9wavefront6targetE0EEEvSO_
                                        ; -- End function
	.set _ZN7rocprim17ROCPRIM_400000_NS6detail17trampoline_kernelINS0_14default_configENS1_38merge_sort_block_merge_config_selectorIjN6thrust23THRUST_200600_302600_NS5tupleIffNS6_9null_typeES8_S8_S8_S8_S8_S8_S8_EEEEZZNS1_27merge_sort_block_merge_implIS3_NS6_6detail15normal_iteratorINS6_10device_ptrIjEEEENSD_INSE_IS9_EEEEjNS1_19radix_merge_compareILb0ELb0EjNS0_19identity_decomposerEEEEE10hipError_tT0_T1_T2_jT3_P12ihipStream_tbPNSt15iterator_traitsISN_E10value_typeEPNST_ISO_E10value_typeEPSP_NS1_7vsmem_tEENKUlT_SN_SO_SP_E_clISG_PjSI_PS9_EESM_S12_SN_SO_SP_EUlS12_E0_NS1_11comp_targetILNS1_3genE10ELNS1_11target_archE1201ELNS1_3gpuE5ELNS1_3repE0EEENS1_38merge_mergepath_config_static_selectorELNS0_4arch9wavefront6targetE0EEEvSO_.num_vgpr, 0
	.set _ZN7rocprim17ROCPRIM_400000_NS6detail17trampoline_kernelINS0_14default_configENS1_38merge_sort_block_merge_config_selectorIjN6thrust23THRUST_200600_302600_NS5tupleIffNS6_9null_typeES8_S8_S8_S8_S8_S8_S8_EEEEZZNS1_27merge_sort_block_merge_implIS3_NS6_6detail15normal_iteratorINS6_10device_ptrIjEEEENSD_INSE_IS9_EEEEjNS1_19radix_merge_compareILb0ELb0EjNS0_19identity_decomposerEEEEE10hipError_tT0_T1_T2_jT3_P12ihipStream_tbPNSt15iterator_traitsISN_E10value_typeEPNST_ISO_E10value_typeEPSP_NS1_7vsmem_tEENKUlT_SN_SO_SP_E_clISG_PjSI_PS9_EESM_S12_SN_SO_SP_EUlS12_E0_NS1_11comp_targetILNS1_3genE10ELNS1_11target_archE1201ELNS1_3gpuE5ELNS1_3repE0EEENS1_38merge_mergepath_config_static_selectorELNS0_4arch9wavefront6targetE0EEEvSO_.num_agpr, 0
	.set _ZN7rocprim17ROCPRIM_400000_NS6detail17trampoline_kernelINS0_14default_configENS1_38merge_sort_block_merge_config_selectorIjN6thrust23THRUST_200600_302600_NS5tupleIffNS6_9null_typeES8_S8_S8_S8_S8_S8_S8_EEEEZZNS1_27merge_sort_block_merge_implIS3_NS6_6detail15normal_iteratorINS6_10device_ptrIjEEEENSD_INSE_IS9_EEEEjNS1_19radix_merge_compareILb0ELb0EjNS0_19identity_decomposerEEEEE10hipError_tT0_T1_T2_jT3_P12ihipStream_tbPNSt15iterator_traitsISN_E10value_typeEPNST_ISO_E10value_typeEPSP_NS1_7vsmem_tEENKUlT_SN_SO_SP_E_clISG_PjSI_PS9_EESM_S12_SN_SO_SP_EUlS12_E0_NS1_11comp_targetILNS1_3genE10ELNS1_11target_archE1201ELNS1_3gpuE5ELNS1_3repE0EEENS1_38merge_mergepath_config_static_selectorELNS0_4arch9wavefront6targetE0EEEvSO_.numbered_sgpr, 0
	.set _ZN7rocprim17ROCPRIM_400000_NS6detail17trampoline_kernelINS0_14default_configENS1_38merge_sort_block_merge_config_selectorIjN6thrust23THRUST_200600_302600_NS5tupleIffNS6_9null_typeES8_S8_S8_S8_S8_S8_S8_EEEEZZNS1_27merge_sort_block_merge_implIS3_NS6_6detail15normal_iteratorINS6_10device_ptrIjEEEENSD_INSE_IS9_EEEEjNS1_19radix_merge_compareILb0ELb0EjNS0_19identity_decomposerEEEEE10hipError_tT0_T1_T2_jT3_P12ihipStream_tbPNSt15iterator_traitsISN_E10value_typeEPNST_ISO_E10value_typeEPSP_NS1_7vsmem_tEENKUlT_SN_SO_SP_E_clISG_PjSI_PS9_EESM_S12_SN_SO_SP_EUlS12_E0_NS1_11comp_targetILNS1_3genE10ELNS1_11target_archE1201ELNS1_3gpuE5ELNS1_3repE0EEENS1_38merge_mergepath_config_static_selectorELNS0_4arch9wavefront6targetE0EEEvSO_.num_named_barrier, 0
	.set _ZN7rocprim17ROCPRIM_400000_NS6detail17trampoline_kernelINS0_14default_configENS1_38merge_sort_block_merge_config_selectorIjN6thrust23THRUST_200600_302600_NS5tupleIffNS6_9null_typeES8_S8_S8_S8_S8_S8_S8_EEEEZZNS1_27merge_sort_block_merge_implIS3_NS6_6detail15normal_iteratorINS6_10device_ptrIjEEEENSD_INSE_IS9_EEEEjNS1_19radix_merge_compareILb0ELb0EjNS0_19identity_decomposerEEEEE10hipError_tT0_T1_T2_jT3_P12ihipStream_tbPNSt15iterator_traitsISN_E10value_typeEPNST_ISO_E10value_typeEPSP_NS1_7vsmem_tEENKUlT_SN_SO_SP_E_clISG_PjSI_PS9_EESM_S12_SN_SO_SP_EUlS12_E0_NS1_11comp_targetILNS1_3genE10ELNS1_11target_archE1201ELNS1_3gpuE5ELNS1_3repE0EEENS1_38merge_mergepath_config_static_selectorELNS0_4arch9wavefront6targetE0EEEvSO_.private_seg_size, 0
	.set _ZN7rocprim17ROCPRIM_400000_NS6detail17trampoline_kernelINS0_14default_configENS1_38merge_sort_block_merge_config_selectorIjN6thrust23THRUST_200600_302600_NS5tupleIffNS6_9null_typeES8_S8_S8_S8_S8_S8_S8_EEEEZZNS1_27merge_sort_block_merge_implIS3_NS6_6detail15normal_iteratorINS6_10device_ptrIjEEEENSD_INSE_IS9_EEEEjNS1_19radix_merge_compareILb0ELb0EjNS0_19identity_decomposerEEEEE10hipError_tT0_T1_T2_jT3_P12ihipStream_tbPNSt15iterator_traitsISN_E10value_typeEPNST_ISO_E10value_typeEPSP_NS1_7vsmem_tEENKUlT_SN_SO_SP_E_clISG_PjSI_PS9_EESM_S12_SN_SO_SP_EUlS12_E0_NS1_11comp_targetILNS1_3genE10ELNS1_11target_archE1201ELNS1_3gpuE5ELNS1_3repE0EEENS1_38merge_mergepath_config_static_selectorELNS0_4arch9wavefront6targetE0EEEvSO_.uses_vcc, 0
	.set _ZN7rocprim17ROCPRIM_400000_NS6detail17trampoline_kernelINS0_14default_configENS1_38merge_sort_block_merge_config_selectorIjN6thrust23THRUST_200600_302600_NS5tupleIffNS6_9null_typeES8_S8_S8_S8_S8_S8_S8_EEEEZZNS1_27merge_sort_block_merge_implIS3_NS6_6detail15normal_iteratorINS6_10device_ptrIjEEEENSD_INSE_IS9_EEEEjNS1_19radix_merge_compareILb0ELb0EjNS0_19identity_decomposerEEEEE10hipError_tT0_T1_T2_jT3_P12ihipStream_tbPNSt15iterator_traitsISN_E10value_typeEPNST_ISO_E10value_typeEPSP_NS1_7vsmem_tEENKUlT_SN_SO_SP_E_clISG_PjSI_PS9_EESM_S12_SN_SO_SP_EUlS12_E0_NS1_11comp_targetILNS1_3genE10ELNS1_11target_archE1201ELNS1_3gpuE5ELNS1_3repE0EEENS1_38merge_mergepath_config_static_selectorELNS0_4arch9wavefront6targetE0EEEvSO_.uses_flat_scratch, 0
	.set _ZN7rocprim17ROCPRIM_400000_NS6detail17trampoline_kernelINS0_14default_configENS1_38merge_sort_block_merge_config_selectorIjN6thrust23THRUST_200600_302600_NS5tupleIffNS6_9null_typeES8_S8_S8_S8_S8_S8_S8_EEEEZZNS1_27merge_sort_block_merge_implIS3_NS6_6detail15normal_iteratorINS6_10device_ptrIjEEEENSD_INSE_IS9_EEEEjNS1_19radix_merge_compareILb0ELb0EjNS0_19identity_decomposerEEEEE10hipError_tT0_T1_T2_jT3_P12ihipStream_tbPNSt15iterator_traitsISN_E10value_typeEPNST_ISO_E10value_typeEPSP_NS1_7vsmem_tEENKUlT_SN_SO_SP_E_clISG_PjSI_PS9_EESM_S12_SN_SO_SP_EUlS12_E0_NS1_11comp_targetILNS1_3genE10ELNS1_11target_archE1201ELNS1_3gpuE5ELNS1_3repE0EEENS1_38merge_mergepath_config_static_selectorELNS0_4arch9wavefront6targetE0EEEvSO_.has_dyn_sized_stack, 0
	.set _ZN7rocprim17ROCPRIM_400000_NS6detail17trampoline_kernelINS0_14default_configENS1_38merge_sort_block_merge_config_selectorIjN6thrust23THRUST_200600_302600_NS5tupleIffNS6_9null_typeES8_S8_S8_S8_S8_S8_S8_EEEEZZNS1_27merge_sort_block_merge_implIS3_NS6_6detail15normal_iteratorINS6_10device_ptrIjEEEENSD_INSE_IS9_EEEEjNS1_19radix_merge_compareILb0ELb0EjNS0_19identity_decomposerEEEEE10hipError_tT0_T1_T2_jT3_P12ihipStream_tbPNSt15iterator_traitsISN_E10value_typeEPNST_ISO_E10value_typeEPSP_NS1_7vsmem_tEENKUlT_SN_SO_SP_E_clISG_PjSI_PS9_EESM_S12_SN_SO_SP_EUlS12_E0_NS1_11comp_targetILNS1_3genE10ELNS1_11target_archE1201ELNS1_3gpuE5ELNS1_3repE0EEENS1_38merge_mergepath_config_static_selectorELNS0_4arch9wavefront6targetE0EEEvSO_.has_recursion, 0
	.set _ZN7rocprim17ROCPRIM_400000_NS6detail17trampoline_kernelINS0_14default_configENS1_38merge_sort_block_merge_config_selectorIjN6thrust23THRUST_200600_302600_NS5tupleIffNS6_9null_typeES8_S8_S8_S8_S8_S8_S8_EEEEZZNS1_27merge_sort_block_merge_implIS3_NS6_6detail15normal_iteratorINS6_10device_ptrIjEEEENSD_INSE_IS9_EEEEjNS1_19radix_merge_compareILb0ELb0EjNS0_19identity_decomposerEEEEE10hipError_tT0_T1_T2_jT3_P12ihipStream_tbPNSt15iterator_traitsISN_E10value_typeEPNST_ISO_E10value_typeEPSP_NS1_7vsmem_tEENKUlT_SN_SO_SP_E_clISG_PjSI_PS9_EESM_S12_SN_SO_SP_EUlS12_E0_NS1_11comp_targetILNS1_3genE10ELNS1_11target_archE1201ELNS1_3gpuE5ELNS1_3repE0EEENS1_38merge_mergepath_config_static_selectorELNS0_4arch9wavefront6targetE0EEEvSO_.has_indirect_call, 0
	.section	.AMDGPU.csdata,"",@progbits
; Kernel info:
; codeLenInByte = 0
; TotalNumSgprs: 0
; NumVgprs: 0
; ScratchSize: 0
; MemoryBound: 0
; FloatMode: 240
; IeeeMode: 1
; LDSByteSize: 0 bytes/workgroup (compile time only)
; SGPRBlocks: 0
; VGPRBlocks: 0
; NumSGPRsForWavesPerEU: 1
; NumVGPRsForWavesPerEU: 1
; Occupancy: 16
; WaveLimiterHint : 0
; COMPUTE_PGM_RSRC2:SCRATCH_EN: 0
; COMPUTE_PGM_RSRC2:USER_SGPR: 6
; COMPUTE_PGM_RSRC2:TRAP_HANDLER: 0
; COMPUTE_PGM_RSRC2:TGID_X_EN: 1
; COMPUTE_PGM_RSRC2:TGID_Y_EN: 0
; COMPUTE_PGM_RSRC2:TGID_Z_EN: 0
; COMPUTE_PGM_RSRC2:TIDIG_COMP_CNT: 0
	.section	.text._ZN7rocprim17ROCPRIM_400000_NS6detail17trampoline_kernelINS0_14default_configENS1_38merge_sort_block_merge_config_selectorIjN6thrust23THRUST_200600_302600_NS5tupleIffNS6_9null_typeES8_S8_S8_S8_S8_S8_S8_EEEEZZNS1_27merge_sort_block_merge_implIS3_NS6_6detail15normal_iteratorINS6_10device_ptrIjEEEENSD_INSE_IS9_EEEEjNS1_19radix_merge_compareILb0ELb0EjNS0_19identity_decomposerEEEEE10hipError_tT0_T1_T2_jT3_P12ihipStream_tbPNSt15iterator_traitsISN_E10value_typeEPNST_ISO_E10value_typeEPSP_NS1_7vsmem_tEENKUlT_SN_SO_SP_E_clISG_PjSI_PS9_EESM_S12_SN_SO_SP_EUlS12_E0_NS1_11comp_targetILNS1_3genE5ELNS1_11target_archE942ELNS1_3gpuE9ELNS1_3repE0EEENS1_38merge_mergepath_config_static_selectorELNS0_4arch9wavefront6targetE0EEEvSO_,"axG",@progbits,_ZN7rocprim17ROCPRIM_400000_NS6detail17trampoline_kernelINS0_14default_configENS1_38merge_sort_block_merge_config_selectorIjN6thrust23THRUST_200600_302600_NS5tupleIffNS6_9null_typeES8_S8_S8_S8_S8_S8_S8_EEEEZZNS1_27merge_sort_block_merge_implIS3_NS6_6detail15normal_iteratorINS6_10device_ptrIjEEEENSD_INSE_IS9_EEEEjNS1_19radix_merge_compareILb0ELb0EjNS0_19identity_decomposerEEEEE10hipError_tT0_T1_T2_jT3_P12ihipStream_tbPNSt15iterator_traitsISN_E10value_typeEPNST_ISO_E10value_typeEPSP_NS1_7vsmem_tEENKUlT_SN_SO_SP_E_clISG_PjSI_PS9_EESM_S12_SN_SO_SP_EUlS12_E0_NS1_11comp_targetILNS1_3genE5ELNS1_11target_archE942ELNS1_3gpuE9ELNS1_3repE0EEENS1_38merge_mergepath_config_static_selectorELNS0_4arch9wavefront6targetE0EEEvSO_,comdat
	.protected	_ZN7rocprim17ROCPRIM_400000_NS6detail17trampoline_kernelINS0_14default_configENS1_38merge_sort_block_merge_config_selectorIjN6thrust23THRUST_200600_302600_NS5tupleIffNS6_9null_typeES8_S8_S8_S8_S8_S8_S8_EEEEZZNS1_27merge_sort_block_merge_implIS3_NS6_6detail15normal_iteratorINS6_10device_ptrIjEEEENSD_INSE_IS9_EEEEjNS1_19radix_merge_compareILb0ELb0EjNS0_19identity_decomposerEEEEE10hipError_tT0_T1_T2_jT3_P12ihipStream_tbPNSt15iterator_traitsISN_E10value_typeEPNST_ISO_E10value_typeEPSP_NS1_7vsmem_tEENKUlT_SN_SO_SP_E_clISG_PjSI_PS9_EESM_S12_SN_SO_SP_EUlS12_E0_NS1_11comp_targetILNS1_3genE5ELNS1_11target_archE942ELNS1_3gpuE9ELNS1_3repE0EEENS1_38merge_mergepath_config_static_selectorELNS0_4arch9wavefront6targetE0EEEvSO_ ; -- Begin function _ZN7rocprim17ROCPRIM_400000_NS6detail17trampoline_kernelINS0_14default_configENS1_38merge_sort_block_merge_config_selectorIjN6thrust23THRUST_200600_302600_NS5tupleIffNS6_9null_typeES8_S8_S8_S8_S8_S8_S8_EEEEZZNS1_27merge_sort_block_merge_implIS3_NS6_6detail15normal_iteratorINS6_10device_ptrIjEEEENSD_INSE_IS9_EEEEjNS1_19radix_merge_compareILb0ELb0EjNS0_19identity_decomposerEEEEE10hipError_tT0_T1_T2_jT3_P12ihipStream_tbPNSt15iterator_traitsISN_E10value_typeEPNST_ISO_E10value_typeEPSP_NS1_7vsmem_tEENKUlT_SN_SO_SP_E_clISG_PjSI_PS9_EESM_S12_SN_SO_SP_EUlS12_E0_NS1_11comp_targetILNS1_3genE5ELNS1_11target_archE942ELNS1_3gpuE9ELNS1_3repE0EEENS1_38merge_mergepath_config_static_selectorELNS0_4arch9wavefront6targetE0EEEvSO_
	.globl	_ZN7rocprim17ROCPRIM_400000_NS6detail17trampoline_kernelINS0_14default_configENS1_38merge_sort_block_merge_config_selectorIjN6thrust23THRUST_200600_302600_NS5tupleIffNS6_9null_typeES8_S8_S8_S8_S8_S8_S8_EEEEZZNS1_27merge_sort_block_merge_implIS3_NS6_6detail15normal_iteratorINS6_10device_ptrIjEEEENSD_INSE_IS9_EEEEjNS1_19radix_merge_compareILb0ELb0EjNS0_19identity_decomposerEEEEE10hipError_tT0_T1_T2_jT3_P12ihipStream_tbPNSt15iterator_traitsISN_E10value_typeEPNST_ISO_E10value_typeEPSP_NS1_7vsmem_tEENKUlT_SN_SO_SP_E_clISG_PjSI_PS9_EESM_S12_SN_SO_SP_EUlS12_E0_NS1_11comp_targetILNS1_3genE5ELNS1_11target_archE942ELNS1_3gpuE9ELNS1_3repE0EEENS1_38merge_mergepath_config_static_selectorELNS0_4arch9wavefront6targetE0EEEvSO_
	.p2align	8
	.type	_ZN7rocprim17ROCPRIM_400000_NS6detail17trampoline_kernelINS0_14default_configENS1_38merge_sort_block_merge_config_selectorIjN6thrust23THRUST_200600_302600_NS5tupleIffNS6_9null_typeES8_S8_S8_S8_S8_S8_S8_EEEEZZNS1_27merge_sort_block_merge_implIS3_NS6_6detail15normal_iteratorINS6_10device_ptrIjEEEENSD_INSE_IS9_EEEEjNS1_19radix_merge_compareILb0ELb0EjNS0_19identity_decomposerEEEEE10hipError_tT0_T1_T2_jT3_P12ihipStream_tbPNSt15iterator_traitsISN_E10value_typeEPNST_ISO_E10value_typeEPSP_NS1_7vsmem_tEENKUlT_SN_SO_SP_E_clISG_PjSI_PS9_EESM_S12_SN_SO_SP_EUlS12_E0_NS1_11comp_targetILNS1_3genE5ELNS1_11target_archE942ELNS1_3gpuE9ELNS1_3repE0EEENS1_38merge_mergepath_config_static_selectorELNS0_4arch9wavefront6targetE0EEEvSO_,@function
_ZN7rocprim17ROCPRIM_400000_NS6detail17trampoline_kernelINS0_14default_configENS1_38merge_sort_block_merge_config_selectorIjN6thrust23THRUST_200600_302600_NS5tupleIffNS6_9null_typeES8_S8_S8_S8_S8_S8_S8_EEEEZZNS1_27merge_sort_block_merge_implIS3_NS6_6detail15normal_iteratorINS6_10device_ptrIjEEEENSD_INSE_IS9_EEEEjNS1_19radix_merge_compareILb0ELb0EjNS0_19identity_decomposerEEEEE10hipError_tT0_T1_T2_jT3_P12ihipStream_tbPNSt15iterator_traitsISN_E10value_typeEPNST_ISO_E10value_typeEPSP_NS1_7vsmem_tEENKUlT_SN_SO_SP_E_clISG_PjSI_PS9_EESM_S12_SN_SO_SP_EUlS12_E0_NS1_11comp_targetILNS1_3genE5ELNS1_11target_archE942ELNS1_3gpuE9ELNS1_3repE0EEENS1_38merge_mergepath_config_static_selectorELNS0_4arch9wavefront6targetE0EEEvSO_: ; @_ZN7rocprim17ROCPRIM_400000_NS6detail17trampoline_kernelINS0_14default_configENS1_38merge_sort_block_merge_config_selectorIjN6thrust23THRUST_200600_302600_NS5tupleIffNS6_9null_typeES8_S8_S8_S8_S8_S8_S8_EEEEZZNS1_27merge_sort_block_merge_implIS3_NS6_6detail15normal_iteratorINS6_10device_ptrIjEEEENSD_INSE_IS9_EEEEjNS1_19radix_merge_compareILb0ELb0EjNS0_19identity_decomposerEEEEE10hipError_tT0_T1_T2_jT3_P12ihipStream_tbPNSt15iterator_traitsISN_E10value_typeEPNST_ISO_E10value_typeEPSP_NS1_7vsmem_tEENKUlT_SN_SO_SP_E_clISG_PjSI_PS9_EESM_S12_SN_SO_SP_EUlS12_E0_NS1_11comp_targetILNS1_3genE5ELNS1_11target_archE942ELNS1_3gpuE9ELNS1_3repE0EEENS1_38merge_mergepath_config_static_selectorELNS0_4arch9wavefront6targetE0EEEvSO_
; %bb.0:
	.section	.rodata,"a",@progbits
	.p2align	6, 0x0
	.amdhsa_kernel _ZN7rocprim17ROCPRIM_400000_NS6detail17trampoline_kernelINS0_14default_configENS1_38merge_sort_block_merge_config_selectorIjN6thrust23THRUST_200600_302600_NS5tupleIffNS6_9null_typeES8_S8_S8_S8_S8_S8_S8_EEEEZZNS1_27merge_sort_block_merge_implIS3_NS6_6detail15normal_iteratorINS6_10device_ptrIjEEEENSD_INSE_IS9_EEEEjNS1_19radix_merge_compareILb0ELb0EjNS0_19identity_decomposerEEEEE10hipError_tT0_T1_T2_jT3_P12ihipStream_tbPNSt15iterator_traitsISN_E10value_typeEPNST_ISO_E10value_typeEPSP_NS1_7vsmem_tEENKUlT_SN_SO_SP_E_clISG_PjSI_PS9_EESM_S12_SN_SO_SP_EUlS12_E0_NS1_11comp_targetILNS1_3genE5ELNS1_11target_archE942ELNS1_3gpuE9ELNS1_3repE0EEENS1_38merge_mergepath_config_static_selectorELNS0_4arch9wavefront6targetE0EEEvSO_
		.amdhsa_group_segment_fixed_size 0
		.amdhsa_private_segment_fixed_size 0
		.amdhsa_kernarg_size 64
		.amdhsa_user_sgpr_count 6
		.amdhsa_user_sgpr_private_segment_buffer 1
		.amdhsa_user_sgpr_dispatch_ptr 0
		.amdhsa_user_sgpr_queue_ptr 0
		.amdhsa_user_sgpr_kernarg_segment_ptr 1
		.amdhsa_user_sgpr_dispatch_id 0
		.amdhsa_user_sgpr_flat_scratch_init 0
		.amdhsa_user_sgpr_private_segment_size 0
		.amdhsa_wavefront_size32 1
		.amdhsa_uses_dynamic_stack 0
		.amdhsa_system_sgpr_private_segment_wavefront_offset 0
		.amdhsa_system_sgpr_workgroup_id_x 1
		.amdhsa_system_sgpr_workgroup_id_y 0
		.amdhsa_system_sgpr_workgroup_id_z 0
		.amdhsa_system_sgpr_workgroup_info 0
		.amdhsa_system_vgpr_workitem_id 0
		.amdhsa_next_free_vgpr 1
		.amdhsa_next_free_sgpr 1
		.amdhsa_reserve_vcc 0
		.amdhsa_reserve_flat_scratch 0
		.amdhsa_float_round_mode_32 0
		.amdhsa_float_round_mode_16_64 0
		.amdhsa_float_denorm_mode_32 3
		.amdhsa_float_denorm_mode_16_64 3
		.amdhsa_dx10_clamp 1
		.amdhsa_ieee_mode 1
		.amdhsa_fp16_overflow 0
		.amdhsa_workgroup_processor_mode 1
		.amdhsa_memory_ordered 1
		.amdhsa_forward_progress 1
		.amdhsa_shared_vgpr_count 0
		.amdhsa_exception_fp_ieee_invalid_op 0
		.amdhsa_exception_fp_denorm_src 0
		.amdhsa_exception_fp_ieee_div_zero 0
		.amdhsa_exception_fp_ieee_overflow 0
		.amdhsa_exception_fp_ieee_underflow 0
		.amdhsa_exception_fp_ieee_inexact 0
		.amdhsa_exception_int_div_zero 0
	.end_amdhsa_kernel
	.section	.text._ZN7rocprim17ROCPRIM_400000_NS6detail17trampoline_kernelINS0_14default_configENS1_38merge_sort_block_merge_config_selectorIjN6thrust23THRUST_200600_302600_NS5tupleIffNS6_9null_typeES8_S8_S8_S8_S8_S8_S8_EEEEZZNS1_27merge_sort_block_merge_implIS3_NS6_6detail15normal_iteratorINS6_10device_ptrIjEEEENSD_INSE_IS9_EEEEjNS1_19radix_merge_compareILb0ELb0EjNS0_19identity_decomposerEEEEE10hipError_tT0_T1_T2_jT3_P12ihipStream_tbPNSt15iterator_traitsISN_E10value_typeEPNST_ISO_E10value_typeEPSP_NS1_7vsmem_tEENKUlT_SN_SO_SP_E_clISG_PjSI_PS9_EESM_S12_SN_SO_SP_EUlS12_E0_NS1_11comp_targetILNS1_3genE5ELNS1_11target_archE942ELNS1_3gpuE9ELNS1_3repE0EEENS1_38merge_mergepath_config_static_selectorELNS0_4arch9wavefront6targetE0EEEvSO_,"axG",@progbits,_ZN7rocprim17ROCPRIM_400000_NS6detail17trampoline_kernelINS0_14default_configENS1_38merge_sort_block_merge_config_selectorIjN6thrust23THRUST_200600_302600_NS5tupleIffNS6_9null_typeES8_S8_S8_S8_S8_S8_S8_EEEEZZNS1_27merge_sort_block_merge_implIS3_NS6_6detail15normal_iteratorINS6_10device_ptrIjEEEENSD_INSE_IS9_EEEEjNS1_19radix_merge_compareILb0ELb0EjNS0_19identity_decomposerEEEEE10hipError_tT0_T1_T2_jT3_P12ihipStream_tbPNSt15iterator_traitsISN_E10value_typeEPNST_ISO_E10value_typeEPSP_NS1_7vsmem_tEENKUlT_SN_SO_SP_E_clISG_PjSI_PS9_EESM_S12_SN_SO_SP_EUlS12_E0_NS1_11comp_targetILNS1_3genE5ELNS1_11target_archE942ELNS1_3gpuE9ELNS1_3repE0EEENS1_38merge_mergepath_config_static_selectorELNS0_4arch9wavefront6targetE0EEEvSO_,comdat
.Lfunc_end59:
	.size	_ZN7rocprim17ROCPRIM_400000_NS6detail17trampoline_kernelINS0_14default_configENS1_38merge_sort_block_merge_config_selectorIjN6thrust23THRUST_200600_302600_NS5tupleIffNS6_9null_typeES8_S8_S8_S8_S8_S8_S8_EEEEZZNS1_27merge_sort_block_merge_implIS3_NS6_6detail15normal_iteratorINS6_10device_ptrIjEEEENSD_INSE_IS9_EEEEjNS1_19radix_merge_compareILb0ELb0EjNS0_19identity_decomposerEEEEE10hipError_tT0_T1_T2_jT3_P12ihipStream_tbPNSt15iterator_traitsISN_E10value_typeEPNST_ISO_E10value_typeEPSP_NS1_7vsmem_tEENKUlT_SN_SO_SP_E_clISG_PjSI_PS9_EESM_S12_SN_SO_SP_EUlS12_E0_NS1_11comp_targetILNS1_3genE5ELNS1_11target_archE942ELNS1_3gpuE9ELNS1_3repE0EEENS1_38merge_mergepath_config_static_selectorELNS0_4arch9wavefront6targetE0EEEvSO_, .Lfunc_end59-_ZN7rocprim17ROCPRIM_400000_NS6detail17trampoline_kernelINS0_14default_configENS1_38merge_sort_block_merge_config_selectorIjN6thrust23THRUST_200600_302600_NS5tupleIffNS6_9null_typeES8_S8_S8_S8_S8_S8_S8_EEEEZZNS1_27merge_sort_block_merge_implIS3_NS6_6detail15normal_iteratorINS6_10device_ptrIjEEEENSD_INSE_IS9_EEEEjNS1_19radix_merge_compareILb0ELb0EjNS0_19identity_decomposerEEEEE10hipError_tT0_T1_T2_jT3_P12ihipStream_tbPNSt15iterator_traitsISN_E10value_typeEPNST_ISO_E10value_typeEPSP_NS1_7vsmem_tEENKUlT_SN_SO_SP_E_clISG_PjSI_PS9_EESM_S12_SN_SO_SP_EUlS12_E0_NS1_11comp_targetILNS1_3genE5ELNS1_11target_archE942ELNS1_3gpuE9ELNS1_3repE0EEENS1_38merge_mergepath_config_static_selectorELNS0_4arch9wavefront6targetE0EEEvSO_
                                        ; -- End function
	.set _ZN7rocprim17ROCPRIM_400000_NS6detail17trampoline_kernelINS0_14default_configENS1_38merge_sort_block_merge_config_selectorIjN6thrust23THRUST_200600_302600_NS5tupleIffNS6_9null_typeES8_S8_S8_S8_S8_S8_S8_EEEEZZNS1_27merge_sort_block_merge_implIS3_NS6_6detail15normal_iteratorINS6_10device_ptrIjEEEENSD_INSE_IS9_EEEEjNS1_19radix_merge_compareILb0ELb0EjNS0_19identity_decomposerEEEEE10hipError_tT0_T1_T2_jT3_P12ihipStream_tbPNSt15iterator_traitsISN_E10value_typeEPNST_ISO_E10value_typeEPSP_NS1_7vsmem_tEENKUlT_SN_SO_SP_E_clISG_PjSI_PS9_EESM_S12_SN_SO_SP_EUlS12_E0_NS1_11comp_targetILNS1_3genE5ELNS1_11target_archE942ELNS1_3gpuE9ELNS1_3repE0EEENS1_38merge_mergepath_config_static_selectorELNS0_4arch9wavefront6targetE0EEEvSO_.num_vgpr, 0
	.set _ZN7rocprim17ROCPRIM_400000_NS6detail17trampoline_kernelINS0_14default_configENS1_38merge_sort_block_merge_config_selectorIjN6thrust23THRUST_200600_302600_NS5tupleIffNS6_9null_typeES8_S8_S8_S8_S8_S8_S8_EEEEZZNS1_27merge_sort_block_merge_implIS3_NS6_6detail15normal_iteratorINS6_10device_ptrIjEEEENSD_INSE_IS9_EEEEjNS1_19radix_merge_compareILb0ELb0EjNS0_19identity_decomposerEEEEE10hipError_tT0_T1_T2_jT3_P12ihipStream_tbPNSt15iterator_traitsISN_E10value_typeEPNST_ISO_E10value_typeEPSP_NS1_7vsmem_tEENKUlT_SN_SO_SP_E_clISG_PjSI_PS9_EESM_S12_SN_SO_SP_EUlS12_E0_NS1_11comp_targetILNS1_3genE5ELNS1_11target_archE942ELNS1_3gpuE9ELNS1_3repE0EEENS1_38merge_mergepath_config_static_selectorELNS0_4arch9wavefront6targetE0EEEvSO_.num_agpr, 0
	.set _ZN7rocprim17ROCPRIM_400000_NS6detail17trampoline_kernelINS0_14default_configENS1_38merge_sort_block_merge_config_selectorIjN6thrust23THRUST_200600_302600_NS5tupleIffNS6_9null_typeES8_S8_S8_S8_S8_S8_S8_EEEEZZNS1_27merge_sort_block_merge_implIS3_NS6_6detail15normal_iteratorINS6_10device_ptrIjEEEENSD_INSE_IS9_EEEEjNS1_19radix_merge_compareILb0ELb0EjNS0_19identity_decomposerEEEEE10hipError_tT0_T1_T2_jT3_P12ihipStream_tbPNSt15iterator_traitsISN_E10value_typeEPNST_ISO_E10value_typeEPSP_NS1_7vsmem_tEENKUlT_SN_SO_SP_E_clISG_PjSI_PS9_EESM_S12_SN_SO_SP_EUlS12_E0_NS1_11comp_targetILNS1_3genE5ELNS1_11target_archE942ELNS1_3gpuE9ELNS1_3repE0EEENS1_38merge_mergepath_config_static_selectorELNS0_4arch9wavefront6targetE0EEEvSO_.numbered_sgpr, 0
	.set _ZN7rocprim17ROCPRIM_400000_NS6detail17trampoline_kernelINS0_14default_configENS1_38merge_sort_block_merge_config_selectorIjN6thrust23THRUST_200600_302600_NS5tupleIffNS6_9null_typeES8_S8_S8_S8_S8_S8_S8_EEEEZZNS1_27merge_sort_block_merge_implIS3_NS6_6detail15normal_iteratorINS6_10device_ptrIjEEEENSD_INSE_IS9_EEEEjNS1_19radix_merge_compareILb0ELb0EjNS0_19identity_decomposerEEEEE10hipError_tT0_T1_T2_jT3_P12ihipStream_tbPNSt15iterator_traitsISN_E10value_typeEPNST_ISO_E10value_typeEPSP_NS1_7vsmem_tEENKUlT_SN_SO_SP_E_clISG_PjSI_PS9_EESM_S12_SN_SO_SP_EUlS12_E0_NS1_11comp_targetILNS1_3genE5ELNS1_11target_archE942ELNS1_3gpuE9ELNS1_3repE0EEENS1_38merge_mergepath_config_static_selectorELNS0_4arch9wavefront6targetE0EEEvSO_.num_named_barrier, 0
	.set _ZN7rocprim17ROCPRIM_400000_NS6detail17trampoline_kernelINS0_14default_configENS1_38merge_sort_block_merge_config_selectorIjN6thrust23THRUST_200600_302600_NS5tupleIffNS6_9null_typeES8_S8_S8_S8_S8_S8_S8_EEEEZZNS1_27merge_sort_block_merge_implIS3_NS6_6detail15normal_iteratorINS6_10device_ptrIjEEEENSD_INSE_IS9_EEEEjNS1_19radix_merge_compareILb0ELb0EjNS0_19identity_decomposerEEEEE10hipError_tT0_T1_T2_jT3_P12ihipStream_tbPNSt15iterator_traitsISN_E10value_typeEPNST_ISO_E10value_typeEPSP_NS1_7vsmem_tEENKUlT_SN_SO_SP_E_clISG_PjSI_PS9_EESM_S12_SN_SO_SP_EUlS12_E0_NS1_11comp_targetILNS1_3genE5ELNS1_11target_archE942ELNS1_3gpuE9ELNS1_3repE0EEENS1_38merge_mergepath_config_static_selectorELNS0_4arch9wavefront6targetE0EEEvSO_.private_seg_size, 0
	.set _ZN7rocprim17ROCPRIM_400000_NS6detail17trampoline_kernelINS0_14default_configENS1_38merge_sort_block_merge_config_selectorIjN6thrust23THRUST_200600_302600_NS5tupleIffNS6_9null_typeES8_S8_S8_S8_S8_S8_S8_EEEEZZNS1_27merge_sort_block_merge_implIS3_NS6_6detail15normal_iteratorINS6_10device_ptrIjEEEENSD_INSE_IS9_EEEEjNS1_19radix_merge_compareILb0ELb0EjNS0_19identity_decomposerEEEEE10hipError_tT0_T1_T2_jT3_P12ihipStream_tbPNSt15iterator_traitsISN_E10value_typeEPNST_ISO_E10value_typeEPSP_NS1_7vsmem_tEENKUlT_SN_SO_SP_E_clISG_PjSI_PS9_EESM_S12_SN_SO_SP_EUlS12_E0_NS1_11comp_targetILNS1_3genE5ELNS1_11target_archE942ELNS1_3gpuE9ELNS1_3repE0EEENS1_38merge_mergepath_config_static_selectorELNS0_4arch9wavefront6targetE0EEEvSO_.uses_vcc, 0
	.set _ZN7rocprim17ROCPRIM_400000_NS6detail17trampoline_kernelINS0_14default_configENS1_38merge_sort_block_merge_config_selectorIjN6thrust23THRUST_200600_302600_NS5tupleIffNS6_9null_typeES8_S8_S8_S8_S8_S8_S8_EEEEZZNS1_27merge_sort_block_merge_implIS3_NS6_6detail15normal_iteratorINS6_10device_ptrIjEEEENSD_INSE_IS9_EEEEjNS1_19radix_merge_compareILb0ELb0EjNS0_19identity_decomposerEEEEE10hipError_tT0_T1_T2_jT3_P12ihipStream_tbPNSt15iterator_traitsISN_E10value_typeEPNST_ISO_E10value_typeEPSP_NS1_7vsmem_tEENKUlT_SN_SO_SP_E_clISG_PjSI_PS9_EESM_S12_SN_SO_SP_EUlS12_E0_NS1_11comp_targetILNS1_3genE5ELNS1_11target_archE942ELNS1_3gpuE9ELNS1_3repE0EEENS1_38merge_mergepath_config_static_selectorELNS0_4arch9wavefront6targetE0EEEvSO_.uses_flat_scratch, 0
	.set _ZN7rocprim17ROCPRIM_400000_NS6detail17trampoline_kernelINS0_14default_configENS1_38merge_sort_block_merge_config_selectorIjN6thrust23THRUST_200600_302600_NS5tupleIffNS6_9null_typeES8_S8_S8_S8_S8_S8_S8_EEEEZZNS1_27merge_sort_block_merge_implIS3_NS6_6detail15normal_iteratorINS6_10device_ptrIjEEEENSD_INSE_IS9_EEEEjNS1_19radix_merge_compareILb0ELb0EjNS0_19identity_decomposerEEEEE10hipError_tT0_T1_T2_jT3_P12ihipStream_tbPNSt15iterator_traitsISN_E10value_typeEPNST_ISO_E10value_typeEPSP_NS1_7vsmem_tEENKUlT_SN_SO_SP_E_clISG_PjSI_PS9_EESM_S12_SN_SO_SP_EUlS12_E0_NS1_11comp_targetILNS1_3genE5ELNS1_11target_archE942ELNS1_3gpuE9ELNS1_3repE0EEENS1_38merge_mergepath_config_static_selectorELNS0_4arch9wavefront6targetE0EEEvSO_.has_dyn_sized_stack, 0
	.set _ZN7rocprim17ROCPRIM_400000_NS6detail17trampoline_kernelINS0_14default_configENS1_38merge_sort_block_merge_config_selectorIjN6thrust23THRUST_200600_302600_NS5tupleIffNS6_9null_typeES8_S8_S8_S8_S8_S8_S8_EEEEZZNS1_27merge_sort_block_merge_implIS3_NS6_6detail15normal_iteratorINS6_10device_ptrIjEEEENSD_INSE_IS9_EEEEjNS1_19radix_merge_compareILb0ELb0EjNS0_19identity_decomposerEEEEE10hipError_tT0_T1_T2_jT3_P12ihipStream_tbPNSt15iterator_traitsISN_E10value_typeEPNST_ISO_E10value_typeEPSP_NS1_7vsmem_tEENKUlT_SN_SO_SP_E_clISG_PjSI_PS9_EESM_S12_SN_SO_SP_EUlS12_E0_NS1_11comp_targetILNS1_3genE5ELNS1_11target_archE942ELNS1_3gpuE9ELNS1_3repE0EEENS1_38merge_mergepath_config_static_selectorELNS0_4arch9wavefront6targetE0EEEvSO_.has_recursion, 0
	.set _ZN7rocprim17ROCPRIM_400000_NS6detail17trampoline_kernelINS0_14default_configENS1_38merge_sort_block_merge_config_selectorIjN6thrust23THRUST_200600_302600_NS5tupleIffNS6_9null_typeES8_S8_S8_S8_S8_S8_S8_EEEEZZNS1_27merge_sort_block_merge_implIS3_NS6_6detail15normal_iteratorINS6_10device_ptrIjEEEENSD_INSE_IS9_EEEEjNS1_19radix_merge_compareILb0ELb0EjNS0_19identity_decomposerEEEEE10hipError_tT0_T1_T2_jT3_P12ihipStream_tbPNSt15iterator_traitsISN_E10value_typeEPNST_ISO_E10value_typeEPSP_NS1_7vsmem_tEENKUlT_SN_SO_SP_E_clISG_PjSI_PS9_EESM_S12_SN_SO_SP_EUlS12_E0_NS1_11comp_targetILNS1_3genE5ELNS1_11target_archE942ELNS1_3gpuE9ELNS1_3repE0EEENS1_38merge_mergepath_config_static_selectorELNS0_4arch9wavefront6targetE0EEEvSO_.has_indirect_call, 0
	.section	.AMDGPU.csdata,"",@progbits
; Kernel info:
; codeLenInByte = 0
; TotalNumSgprs: 0
; NumVgprs: 0
; ScratchSize: 0
; MemoryBound: 0
; FloatMode: 240
; IeeeMode: 1
; LDSByteSize: 0 bytes/workgroup (compile time only)
; SGPRBlocks: 0
; VGPRBlocks: 0
; NumSGPRsForWavesPerEU: 1
; NumVGPRsForWavesPerEU: 1
; Occupancy: 16
; WaveLimiterHint : 0
; COMPUTE_PGM_RSRC2:SCRATCH_EN: 0
; COMPUTE_PGM_RSRC2:USER_SGPR: 6
; COMPUTE_PGM_RSRC2:TRAP_HANDLER: 0
; COMPUTE_PGM_RSRC2:TGID_X_EN: 1
; COMPUTE_PGM_RSRC2:TGID_Y_EN: 0
; COMPUTE_PGM_RSRC2:TGID_Z_EN: 0
; COMPUTE_PGM_RSRC2:TIDIG_COMP_CNT: 0
	.section	.text._ZN7rocprim17ROCPRIM_400000_NS6detail17trampoline_kernelINS0_14default_configENS1_38merge_sort_block_merge_config_selectorIjN6thrust23THRUST_200600_302600_NS5tupleIffNS6_9null_typeES8_S8_S8_S8_S8_S8_S8_EEEEZZNS1_27merge_sort_block_merge_implIS3_NS6_6detail15normal_iteratorINS6_10device_ptrIjEEEENSD_INSE_IS9_EEEEjNS1_19radix_merge_compareILb0ELb0EjNS0_19identity_decomposerEEEEE10hipError_tT0_T1_T2_jT3_P12ihipStream_tbPNSt15iterator_traitsISN_E10value_typeEPNST_ISO_E10value_typeEPSP_NS1_7vsmem_tEENKUlT_SN_SO_SP_E_clISG_PjSI_PS9_EESM_S12_SN_SO_SP_EUlS12_E0_NS1_11comp_targetILNS1_3genE4ELNS1_11target_archE910ELNS1_3gpuE8ELNS1_3repE0EEENS1_38merge_mergepath_config_static_selectorELNS0_4arch9wavefront6targetE0EEEvSO_,"axG",@progbits,_ZN7rocprim17ROCPRIM_400000_NS6detail17trampoline_kernelINS0_14default_configENS1_38merge_sort_block_merge_config_selectorIjN6thrust23THRUST_200600_302600_NS5tupleIffNS6_9null_typeES8_S8_S8_S8_S8_S8_S8_EEEEZZNS1_27merge_sort_block_merge_implIS3_NS6_6detail15normal_iteratorINS6_10device_ptrIjEEEENSD_INSE_IS9_EEEEjNS1_19radix_merge_compareILb0ELb0EjNS0_19identity_decomposerEEEEE10hipError_tT0_T1_T2_jT3_P12ihipStream_tbPNSt15iterator_traitsISN_E10value_typeEPNST_ISO_E10value_typeEPSP_NS1_7vsmem_tEENKUlT_SN_SO_SP_E_clISG_PjSI_PS9_EESM_S12_SN_SO_SP_EUlS12_E0_NS1_11comp_targetILNS1_3genE4ELNS1_11target_archE910ELNS1_3gpuE8ELNS1_3repE0EEENS1_38merge_mergepath_config_static_selectorELNS0_4arch9wavefront6targetE0EEEvSO_,comdat
	.protected	_ZN7rocprim17ROCPRIM_400000_NS6detail17trampoline_kernelINS0_14default_configENS1_38merge_sort_block_merge_config_selectorIjN6thrust23THRUST_200600_302600_NS5tupleIffNS6_9null_typeES8_S8_S8_S8_S8_S8_S8_EEEEZZNS1_27merge_sort_block_merge_implIS3_NS6_6detail15normal_iteratorINS6_10device_ptrIjEEEENSD_INSE_IS9_EEEEjNS1_19radix_merge_compareILb0ELb0EjNS0_19identity_decomposerEEEEE10hipError_tT0_T1_T2_jT3_P12ihipStream_tbPNSt15iterator_traitsISN_E10value_typeEPNST_ISO_E10value_typeEPSP_NS1_7vsmem_tEENKUlT_SN_SO_SP_E_clISG_PjSI_PS9_EESM_S12_SN_SO_SP_EUlS12_E0_NS1_11comp_targetILNS1_3genE4ELNS1_11target_archE910ELNS1_3gpuE8ELNS1_3repE0EEENS1_38merge_mergepath_config_static_selectorELNS0_4arch9wavefront6targetE0EEEvSO_ ; -- Begin function _ZN7rocprim17ROCPRIM_400000_NS6detail17trampoline_kernelINS0_14default_configENS1_38merge_sort_block_merge_config_selectorIjN6thrust23THRUST_200600_302600_NS5tupleIffNS6_9null_typeES8_S8_S8_S8_S8_S8_S8_EEEEZZNS1_27merge_sort_block_merge_implIS3_NS6_6detail15normal_iteratorINS6_10device_ptrIjEEEENSD_INSE_IS9_EEEEjNS1_19radix_merge_compareILb0ELb0EjNS0_19identity_decomposerEEEEE10hipError_tT0_T1_T2_jT3_P12ihipStream_tbPNSt15iterator_traitsISN_E10value_typeEPNST_ISO_E10value_typeEPSP_NS1_7vsmem_tEENKUlT_SN_SO_SP_E_clISG_PjSI_PS9_EESM_S12_SN_SO_SP_EUlS12_E0_NS1_11comp_targetILNS1_3genE4ELNS1_11target_archE910ELNS1_3gpuE8ELNS1_3repE0EEENS1_38merge_mergepath_config_static_selectorELNS0_4arch9wavefront6targetE0EEEvSO_
	.globl	_ZN7rocprim17ROCPRIM_400000_NS6detail17trampoline_kernelINS0_14default_configENS1_38merge_sort_block_merge_config_selectorIjN6thrust23THRUST_200600_302600_NS5tupleIffNS6_9null_typeES8_S8_S8_S8_S8_S8_S8_EEEEZZNS1_27merge_sort_block_merge_implIS3_NS6_6detail15normal_iteratorINS6_10device_ptrIjEEEENSD_INSE_IS9_EEEEjNS1_19radix_merge_compareILb0ELb0EjNS0_19identity_decomposerEEEEE10hipError_tT0_T1_T2_jT3_P12ihipStream_tbPNSt15iterator_traitsISN_E10value_typeEPNST_ISO_E10value_typeEPSP_NS1_7vsmem_tEENKUlT_SN_SO_SP_E_clISG_PjSI_PS9_EESM_S12_SN_SO_SP_EUlS12_E0_NS1_11comp_targetILNS1_3genE4ELNS1_11target_archE910ELNS1_3gpuE8ELNS1_3repE0EEENS1_38merge_mergepath_config_static_selectorELNS0_4arch9wavefront6targetE0EEEvSO_
	.p2align	8
	.type	_ZN7rocprim17ROCPRIM_400000_NS6detail17trampoline_kernelINS0_14default_configENS1_38merge_sort_block_merge_config_selectorIjN6thrust23THRUST_200600_302600_NS5tupleIffNS6_9null_typeES8_S8_S8_S8_S8_S8_S8_EEEEZZNS1_27merge_sort_block_merge_implIS3_NS6_6detail15normal_iteratorINS6_10device_ptrIjEEEENSD_INSE_IS9_EEEEjNS1_19radix_merge_compareILb0ELb0EjNS0_19identity_decomposerEEEEE10hipError_tT0_T1_T2_jT3_P12ihipStream_tbPNSt15iterator_traitsISN_E10value_typeEPNST_ISO_E10value_typeEPSP_NS1_7vsmem_tEENKUlT_SN_SO_SP_E_clISG_PjSI_PS9_EESM_S12_SN_SO_SP_EUlS12_E0_NS1_11comp_targetILNS1_3genE4ELNS1_11target_archE910ELNS1_3gpuE8ELNS1_3repE0EEENS1_38merge_mergepath_config_static_selectorELNS0_4arch9wavefront6targetE0EEEvSO_,@function
_ZN7rocprim17ROCPRIM_400000_NS6detail17trampoline_kernelINS0_14default_configENS1_38merge_sort_block_merge_config_selectorIjN6thrust23THRUST_200600_302600_NS5tupleIffNS6_9null_typeES8_S8_S8_S8_S8_S8_S8_EEEEZZNS1_27merge_sort_block_merge_implIS3_NS6_6detail15normal_iteratorINS6_10device_ptrIjEEEENSD_INSE_IS9_EEEEjNS1_19radix_merge_compareILb0ELb0EjNS0_19identity_decomposerEEEEE10hipError_tT0_T1_T2_jT3_P12ihipStream_tbPNSt15iterator_traitsISN_E10value_typeEPNST_ISO_E10value_typeEPSP_NS1_7vsmem_tEENKUlT_SN_SO_SP_E_clISG_PjSI_PS9_EESM_S12_SN_SO_SP_EUlS12_E0_NS1_11comp_targetILNS1_3genE4ELNS1_11target_archE910ELNS1_3gpuE8ELNS1_3repE0EEENS1_38merge_mergepath_config_static_selectorELNS0_4arch9wavefront6targetE0EEEvSO_: ; @_ZN7rocprim17ROCPRIM_400000_NS6detail17trampoline_kernelINS0_14default_configENS1_38merge_sort_block_merge_config_selectorIjN6thrust23THRUST_200600_302600_NS5tupleIffNS6_9null_typeES8_S8_S8_S8_S8_S8_S8_EEEEZZNS1_27merge_sort_block_merge_implIS3_NS6_6detail15normal_iteratorINS6_10device_ptrIjEEEENSD_INSE_IS9_EEEEjNS1_19radix_merge_compareILb0ELb0EjNS0_19identity_decomposerEEEEE10hipError_tT0_T1_T2_jT3_P12ihipStream_tbPNSt15iterator_traitsISN_E10value_typeEPNST_ISO_E10value_typeEPSP_NS1_7vsmem_tEENKUlT_SN_SO_SP_E_clISG_PjSI_PS9_EESM_S12_SN_SO_SP_EUlS12_E0_NS1_11comp_targetILNS1_3genE4ELNS1_11target_archE910ELNS1_3gpuE8ELNS1_3repE0EEENS1_38merge_mergepath_config_static_selectorELNS0_4arch9wavefront6targetE0EEEvSO_
; %bb.0:
	.section	.rodata,"a",@progbits
	.p2align	6, 0x0
	.amdhsa_kernel _ZN7rocprim17ROCPRIM_400000_NS6detail17trampoline_kernelINS0_14default_configENS1_38merge_sort_block_merge_config_selectorIjN6thrust23THRUST_200600_302600_NS5tupleIffNS6_9null_typeES8_S8_S8_S8_S8_S8_S8_EEEEZZNS1_27merge_sort_block_merge_implIS3_NS6_6detail15normal_iteratorINS6_10device_ptrIjEEEENSD_INSE_IS9_EEEEjNS1_19radix_merge_compareILb0ELb0EjNS0_19identity_decomposerEEEEE10hipError_tT0_T1_T2_jT3_P12ihipStream_tbPNSt15iterator_traitsISN_E10value_typeEPNST_ISO_E10value_typeEPSP_NS1_7vsmem_tEENKUlT_SN_SO_SP_E_clISG_PjSI_PS9_EESM_S12_SN_SO_SP_EUlS12_E0_NS1_11comp_targetILNS1_3genE4ELNS1_11target_archE910ELNS1_3gpuE8ELNS1_3repE0EEENS1_38merge_mergepath_config_static_selectorELNS0_4arch9wavefront6targetE0EEEvSO_
		.amdhsa_group_segment_fixed_size 0
		.amdhsa_private_segment_fixed_size 0
		.amdhsa_kernarg_size 64
		.amdhsa_user_sgpr_count 6
		.amdhsa_user_sgpr_private_segment_buffer 1
		.amdhsa_user_sgpr_dispatch_ptr 0
		.amdhsa_user_sgpr_queue_ptr 0
		.amdhsa_user_sgpr_kernarg_segment_ptr 1
		.amdhsa_user_sgpr_dispatch_id 0
		.amdhsa_user_sgpr_flat_scratch_init 0
		.amdhsa_user_sgpr_private_segment_size 0
		.amdhsa_wavefront_size32 1
		.amdhsa_uses_dynamic_stack 0
		.amdhsa_system_sgpr_private_segment_wavefront_offset 0
		.amdhsa_system_sgpr_workgroup_id_x 1
		.amdhsa_system_sgpr_workgroup_id_y 0
		.amdhsa_system_sgpr_workgroup_id_z 0
		.amdhsa_system_sgpr_workgroup_info 0
		.amdhsa_system_vgpr_workitem_id 0
		.amdhsa_next_free_vgpr 1
		.amdhsa_next_free_sgpr 1
		.amdhsa_reserve_vcc 0
		.amdhsa_reserve_flat_scratch 0
		.amdhsa_float_round_mode_32 0
		.amdhsa_float_round_mode_16_64 0
		.amdhsa_float_denorm_mode_32 3
		.amdhsa_float_denorm_mode_16_64 3
		.amdhsa_dx10_clamp 1
		.amdhsa_ieee_mode 1
		.amdhsa_fp16_overflow 0
		.amdhsa_workgroup_processor_mode 1
		.amdhsa_memory_ordered 1
		.amdhsa_forward_progress 1
		.amdhsa_shared_vgpr_count 0
		.amdhsa_exception_fp_ieee_invalid_op 0
		.amdhsa_exception_fp_denorm_src 0
		.amdhsa_exception_fp_ieee_div_zero 0
		.amdhsa_exception_fp_ieee_overflow 0
		.amdhsa_exception_fp_ieee_underflow 0
		.amdhsa_exception_fp_ieee_inexact 0
		.amdhsa_exception_int_div_zero 0
	.end_amdhsa_kernel
	.section	.text._ZN7rocprim17ROCPRIM_400000_NS6detail17trampoline_kernelINS0_14default_configENS1_38merge_sort_block_merge_config_selectorIjN6thrust23THRUST_200600_302600_NS5tupleIffNS6_9null_typeES8_S8_S8_S8_S8_S8_S8_EEEEZZNS1_27merge_sort_block_merge_implIS3_NS6_6detail15normal_iteratorINS6_10device_ptrIjEEEENSD_INSE_IS9_EEEEjNS1_19radix_merge_compareILb0ELb0EjNS0_19identity_decomposerEEEEE10hipError_tT0_T1_T2_jT3_P12ihipStream_tbPNSt15iterator_traitsISN_E10value_typeEPNST_ISO_E10value_typeEPSP_NS1_7vsmem_tEENKUlT_SN_SO_SP_E_clISG_PjSI_PS9_EESM_S12_SN_SO_SP_EUlS12_E0_NS1_11comp_targetILNS1_3genE4ELNS1_11target_archE910ELNS1_3gpuE8ELNS1_3repE0EEENS1_38merge_mergepath_config_static_selectorELNS0_4arch9wavefront6targetE0EEEvSO_,"axG",@progbits,_ZN7rocprim17ROCPRIM_400000_NS6detail17trampoline_kernelINS0_14default_configENS1_38merge_sort_block_merge_config_selectorIjN6thrust23THRUST_200600_302600_NS5tupleIffNS6_9null_typeES8_S8_S8_S8_S8_S8_S8_EEEEZZNS1_27merge_sort_block_merge_implIS3_NS6_6detail15normal_iteratorINS6_10device_ptrIjEEEENSD_INSE_IS9_EEEEjNS1_19radix_merge_compareILb0ELb0EjNS0_19identity_decomposerEEEEE10hipError_tT0_T1_T2_jT3_P12ihipStream_tbPNSt15iterator_traitsISN_E10value_typeEPNST_ISO_E10value_typeEPSP_NS1_7vsmem_tEENKUlT_SN_SO_SP_E_clISG_PjSI_PS9_EESM_S12_SN_SO_SP_EUlS12_E0_NS1_11comp_targetILNS1_3genE4ELNS1_11target_archE910ELNS1_3gpuE8ELNS1_3repE0EEENS1_38merge_mergepath_config_static_selectorELNS0_4arch9wavefront6targetE0EEEvSO_,comdat
.Lfunc_end60:
	.size	_ZN7rocprim17ROCPRIM_400000_NS6detail17trampoline_kernelINS0_14default_configENS1_38merge_sort_block_merge_config_selectorIjN6thrust23THRUST_200600_302600_NS5tupleIffNS6_9null_typeES8_S8_S8_S8_S8_S8_S8_EEEEZZNS1_27merge_sort_block_merge_implIS3_NS6_6detail15normal_iteratorINS6_10device_ptrIjEEEENSD_INSE_IS9_EEEEjNS1_19radix_merge_compareILb0ELb0EjNS0_19identity_decomposerEEEEE10hipError_tT0_T1_T2_jT3_P12ihipStream_tbPNSt15iterator_traitsISN_E10value_typeEPNST_ISO_E10value_typeEPSP_NS1_7vsmem_tEENKUlT_SN_SO_SP_E_clISG_PjSI_PS9_EESM_S12_SN_SO_SP_EUlS12_E0_NS1_11comp_targetILNS1_3genE4ELNS1_11target_archE910ELNS1_3gpuE8ELNS1_3repE0EEENS1_38merge_mergepath_config_static_selectorELNS0_4arch9wavefront6targetE0EEEvSO_, .Lfunc_end60-_ZN7rocprim17ROCPRIM_400000_NS6detail17trampoline_kernelINS0_14default_configENS1_38merge_sort_block_merge_config_selectorIjN6thrust23THRUST_200600_302600_NS5tupleIffNS6_9null_typeES8_S8_S8_S8_S8_S8_S8_EEEEZZNS1_27merge_sort_block_merge_implIS3_NS6_6detail15normal_iteratorINS6_10device_ptrIjEEEENSD_INSE_IS9_EEEEjNS1_19radix_merge_compareILb0ELb0EjNS0_19identity_decomposerEEEEE10hipError_tT0_T1_T2_jT3_P12ihipStream_tbPNSt15iterator_traitsISN_E10value_typeEPNST_ISO_E10value_typeEPSP_NS1_7vsmem_tEENKUlT_SN_SO_SP_E_clISG_PjSI_PS9_EESM_S12_SN_SO_SP_EUlS12_E0_NS1_11comp_targetILNS1_3genE4ELNS1_11target_archE910ELNS1_3gpuE8ELNS1_3repE0EEENS1_38merge_mergepath_config_static_selectorELNS0_4arch9wavefront6targetE0EEEvSO_
                                        ; -- End function
	.set _ZN7rocprim17ROCPRIM_400000_NS6detail17trampoline_kernelINS0_14default_configENS1_38merge_sort_block_merge_config_selectorIjN6thrust23THRUST_200600_302600_NS5tupleIffNS6_9null_typeES8_S8_S8_S8_S8_S8_S8_EEEEZZNS1_27merge_sort_block_merge_implIS3_NS6_6detail15normal_iteratorINS6_10device_ptrIjEEEENSD_INSE_IS9_EEEEjNS1_19radix_merge_compareILb0ELb0EjNS0_19identity_decomposerEEEEE10hipError_tT0_T1_T2_jT3_P12ihipStream_tbPNSt15iterator_traitsISN_E10value_typeEPNST_ISO_E10value_typeEPSP_NS1_7vsmem_tEENKUlT_SN_SO_SP_E_clISG_PjSI_PS9_EESM_S12_SN_SO_SP_EUlS12_E0_NS1_11comp_targetILNS1_3genE4ELNS1_11target_archE910ELNS1_3gpuE8ELNS1_3repE0EEENS1_38merge_mergepath_config_static_selectorELNS0_4arch9wavefront6targetE0EEEvSO_.num_vgpr, 0
	.set _ZN7rocprim17ROCPRIM_400000_NS6detail17trampoline_kernelINS0_14default_configENS1_38merge_sort_block_merge_config_selectorIjN6thrust23THRUST_200600_302600_NS5tupleIffNS6_9null_typeES8_S8_S8_S8_S8_S8_S8_EEEEZZNS1_27merge_sort_block_merge_implIS3_NS6_6detail15normal_iteratorINS6_10device_ptrIjEEEENSD_INSE_IS9_EEEEjNS1_19radix_merge_compareILb0ELb0EjNS0_19identity_decomposerEEEEE10hipError_tT0_T1_T2_jT3_P12ihipStream_tbPNSt15iterator_traitsISN_E10value_typeEPNST_ISO_E10value_typeEPSP_NS1_7vsmem_tEENKUlT_SN_SO_SP_E_clISG_PjSI_PS9_EESM_S12_SN_SO_SP_EUlS12_E0_NS1_11comp_targetILNS1_3genE4ELNS1_11target_archE910ELNS1_3gpuE8ELNS1_3repE0EEENS1_38merge_mergepath_config_static_selectorELNS0_4arch9wavefront6targetE0EEEvSO_.num_agpr, 0
	.set _ZN7rocprim17ROCPRIM_400000_NS6detail17trampoline_kernelINS0_14default_configENS1_38merge_sort_block_merge_config_selectorIjN6thrust23THRUST_200600_302600_NS5tupleIffNS6_9null_typeES8_S8_S8_S8_S8_S8_S8_EEEEZZNS1_27merge_sort_block_merge_implIS3_NS6_6detail15normal_iteratorINS6_10device_ptrIjEEEENSD_INSE_IS9_EEEEjNS1_19radix_merge_compareILb0ELb0EjNS0_19identity_decomposerEEEEE10hipError_tT0_T1_T2_jT3_P12ihipStream_tbPNSt15iterator_traitsISN_E10value_typeEPNST_ISO_E10value_typeEPSP_NS1_7vsmem_tEENKUlT_SN_SO_SP_E_clISG_PjSI_PS9_EESM_S12_SN_SO_SP_EUlS12_E0_NS1_11comp_targetILNS1_3genE4ELNS1_11target_archE910ELNS1_3gpuE8ELNS1_3repE0EEENS1_38merge_mergepath_config_static_selectorELNS0_4arch9wavefront6targetE0EEEvSO_.numbered_sgpr, 0
	.set _ZN7rocprim17ROCPRIM_400000_NS6detail17trampoline_kernelINS0_14default_configENS1_38merge_sort_block_merge_config_selectorIjN6thrust23THRUST_200600_302600_NS5tupleIffNS6_9null_typeES8_S8_S8_S8_S8_S8_S8_EEEEZZNS1_27merge_sort_block_merge_implIS3_NS6_6detail15normal_iteratorINS6_10device_ptrIjEEEENSD_INSE_IS9_EEEEjNS1_19radix_merge_compareILb0ELb0EjNS0_19identity_decomposerEEEEE10hipError_tT0_T1_T2_jT3_P12ihipStream_tbPNSt15iterator_traitsISN_E10value_typeEPNST_ISO_E10value_typeEPSP_NS1_7vsmem_tEENKUlT_SN_SO_SP_E_clISG_PjSI_PS9_EESM_S12_SN_SO_SP_EUlS12_E0_NS1_11comp_targetILNS1_3genE4ELNS1_11target_archE910ELNS1_3gpuE8ELNS1_3repE0EEENS1_38merge_mergepath_config_static_selectorELNS0_4arch9wavefront6targetE0EEEvSO_.num_named_barrier, 0
	.set _ZN7rocprim17ROCPRIM_400000_NS6detail17trampoline_kernelINS0_14default_configENS1_38merge_sort_block_merge_config_selectorIjN6thrust23THRUST_200600_302600_NS5tupleIffNS6_9null_typeES8_S8_S8_S8_S8_S8_S8_EEEEZZNS1_27merge_sort_block_merge_implIS3_NS6_6detail15normal_iteratorINS6_10device_ptrIjEEEENSD_INSE_IS9_EEEEjNS1_19radix_merge_compareILb0ELb0EjNS0_19identity_decomposerEEEEE10hipError_tT0_T1_T2_jT3_P12ihipStream_tbPNSt15iterator_traitsISN_E10value_typeEPNST_ISO_E10value_typeEPSP_NS1_7vsmem_tEENKUlT_SN_SO_SP_E_clISG_PjSI_PS9_EESM_S12_SN_SO_SP_EUlS12_E0_NS1_11comp_targetILNS1_3genE4ELNS1_11target_archE910ELNS1_3gpuE8ELNS1_3repE0EEENS1_38merge_mergepath_config_static_selectorELNS0_4arch9wavefront6targetE0EEEvSO_.private_seg_size, 0
	.set _ZN7rocprim17ROCPRIM_400000_NS6detail17trampoline_kernelINS0_14default_configENS1_38merge_sort_block_merge_config_selectorIjN6thrust23THRUST_200600_302600_NS5tupleIffNS6_9null_typeES8_S8_S8_S8_S8_S8_S8_EEEEZZNS1_27merge_sort_block_merge_implIS3_NS6_6detail15normal_iteratorINS6_10device_ptrIjEEEENSD_INSE_IS9_EEEEjNS1_19radix_merge_compareILb0ELb0EjNS0_19identity_decomposerEEEEE10hipError_tT0_T1_T2_jT3_P12ihipStream_tbPNSt15iterator_traitsISN_E10value_typeEPNST_ISO_E10value_typeEPSP_NS1_7vsmem_tEENKUlT_SN_SO_SP_E_clISG_PjSI_PS9_EESM_S12_SN_SO_SP_EUlS12_E0_NS1_11comp_targetILNS1_3genE4ELNS1_11target_archE910ELNS1_3gpuE8ELNS1_3repE0EEENS1_38merge_mergepath_config_static_selectorELNS0_4arch9wavefront6targetE0EEEvSO_.uses_vcc, 0
	.set _ZN7rocprim17ROCPRIM_400000_NS6detail17trampoline_kernelINS0_14default_configENS1_38merge_sort_block_merge_config_selectorIjN6thrust23THRUST_200600_302600_NS5tupleIffNS6_9null_typeES8_S8_S8_S8_S8_S8_S8_EEEEZZNS1_27merge_sort_block_merge_implIS3_NS6_6detail15normal_iteratorINS6_10device_ptrIjEEEENSD_INSE_IS9_EEEEjNS1_19radix_merge_compareILb0ELb0EjNS0_19identity_decomposerEEEEE10hipError_tT0_T1_T2_jT3_P12ihipStream_tbPNSt15iterator_traitsISN_E10value_typeEPNST_ISO_E10value_typeEPSP_NS1_7vsmem_tEENKUlT_SN_SO_SP_E_clISG_PjSI_PS9_EESM_S12_SN_SO_SP_EUlS12_E0_NS1_11comp_targetILNS1_3genE4ELNS1_11target_archE910ELNS1_3gpuE8ELNS1_3repE0EEENS1_38merge_mergepath_config_static_selectorELNS0_4arch9wavefront6targetE0EEEvSO_.uses_flat_scratch, 0
	.set _ZN7rocprim17ROCPRIM_400000_NS6detail17trampoline_kernelINS0_14default_configENS1_38merge_sort_block_merge_config_selectorIjN6thrust23THRUST_200600_302600_NS5tupleIffNS6_9null_typeES8_S8_S8_S8_S8_S8_S8_EEEEZZNS1_27merge_sort_block_merge_implIS3_NS6_6detail15normal_iteratorINS6_10device_ptrIjEEEENSD_INSE_IS9_EEEEjNS1_19radix_merge_compareILb0ELb0EjNS0_19identity_decomposerEEEEE10hipError_tT0_T1_T2_jT3_P12ihipStream_tbPNSt15iterator_traitsISN_E10value_typeEPNST_ISO_E10value_typeEPSP_NS1_7vsmem_tEENKUlT_SN_SO_SP_E_clISG_PjSI_PS9_EESM_S12_SN_SO_SP_EUlS12_E0_NS1_11comp_targetILNS1_3genE4ELNS1_11target_archE910ELNS1_3gpuE8ELNS1_3repE0EEENS1_38merge_mergepath_config_static_selectorELNS0_4arch9wavefront6targetE0EEEvSO_.has_dyn_sized_stack, 0
	.set _ZN7rocprim17ROCPRIM_400000_NS6detail17trampoline_kernelINS0_14default_configENS1_38merge_sort_block_merge_config_selectorIjN6thrust23THRUST_200600_302600_NS5tupleIffNS6_9null_typeES8_S8_S8_S8_S8_S8_S8_EEEEZZNS1_27merge_sort_block_merge_implIS3_NS6_6detail15normal_iteratorINS6_10device_ptrIjEEEENSD_INSE_IS9_EEEEjNS1_19radix_merge_compareILb0ELb0EjNS0_19identity_decomposerEEEEE10hipError_tT0_T1_T2_jT3_P12ihipStream_tbPNSt15iterator_traitsISN_E10value_typeEPNST_ISO_E10value_typeEPSP_NS1_7vsmem_tEENKUlT_SN_SO_SP_E_clISG_PjSI_PS9_EESM_S12_SN_SO_SP_EUlS12_E0_NS1_11comp_targetILNS1_3genE4ELNS1_11target_archE910ELNS1_3gpuE8ELNS1_3repE0EEENS1_38merge_mergepath_config_static_selectorELNS0_4arch9wavefront6targetE0EEEvSO_.has_recursion, 0
	.set _ZN7rocprim17ROCPRIM_400000_NS6detail17trampoline_kernelINS0_14default_configENS1_38merge_sort_block_merge_config_selectorIjN6thrust23THRUST_200600_302600_NS5tupleIffNS6_9null_typeES8_S8_S8_S8_S8_S8_S8_EEEEZZNS1_27merge_sort_block_merge_implIS3_NS6_6detail15normal_iteratorINS6_10device_ptrIjEEEENSD_INSE_IS9_EEEEjNS1_19radix_merge_compareILb0ELb0EjNS0_19identity_decomposerEEEEE10hipError_tT0_T1_T2_jT3_P12ihipStream_tbPNSt15iterator_traitsISN_E10value_typeEPNST_ISO_E10value_typeEPSP_NS1_7vsmem_tEENKUlT_SN_SO_SP_E_clISG_PjSI_PS9_EESM_S12_SN_SO_SP_EUlS12_E0_NS1_11comp_targetILNS1_3genE4ELNS1_11target_archE910ELNS1_3gpuE8ELNS1_3repE0EEENS1_38merge_mergepath_config_static_selectorELNS0_4arch9wavefront6targetE0EEEvSO_.has_indirect_call, 0
	.section	.AMDGPU.csdata,"",@progbits
; Kernel info:
; codeLenInByte = 0
; TotalNumSgprs: 0
; NumVgprs: 0
; ScratchSize: 0
; MemoryBound: 0
; FloatMode: 240
; IeeeMode: 1
; LDSByteSize: 0 bytes/workgroup (compile time only)
; SGPRBlocks: 0
; VGPRBlocks: 0
; NumSGPRsForWavesPerEU: 1
; NumVGPRsForWavesPerEU: 1
; Occupancy: 16
; WaveLimiterHint : 0
; COMPUTE_PGM_RSRC2:SCRATCH_EN: 0
; COMPUTE_PGM_RSRC2:USER_SGPR: 6
; COMPUTE_PGM_RSRC2:TRAP_HANDLER: 0
; COMPUTE_PGM_RSRC2:TGID_X_EN: 1
; COMPUTE_PGM_RSRC2:TGID_Y_EN: 0
; COMPUTE_PGM_RSRC2:TGID_Z_EN: 0
; COMPUTE_PGM_RSRC2:TIDIG_COMP_CNT: 0
	.section	.text._ZN7rocprim17ROCPRIM_400000_NS6detail17trampoline_kernelINS0_14default_configENS1_38merge_sort_block_merge_config_selectorIjN6thrust23THRUST_200600_302600_NS5tupleIffNS6_9null_typeES8_S8_S8_S8_S8_S8_S8_EEEEZZNS1_27merge_sort_block_merge_implIS3_NS6_6detail15normal_iteratorINS6_10device_ptrIjEEEENSD_INSE_IS9_EEEEjNS1_19radix_merge_compareILb0ELb0EjNS0_19identity_decomposerEEEEE10hipError_tT0_T1_T2_jT3_P12ihipStream_tbPNSt15iterator_traitsISN_E10value_typeEPNST_ISO_E10value_typeEPSP_NS1_7vsmem_tEENKUlT_SN_SO_SP_E_clISG_PjSI_PS9_EESM_S12_SN_SO_SP_EUlS12_E0_NS1_11comp_targetILNS1_3genE3ELNS1_11target_archE908ELNS1_3gpuE7ELNS1_3repE0EEENS1_38merge_mergepath_config_static_selectorELNS0_4arch9wavefront6targetE0EEEvSO_,"axG",@progbits,_ZN7rocprim17ROCPRIM_400000_NS6detail17trampoline_kernelINS0_14default_configENS1_38merge_sort_block_merge_config_selectorIjN6thrust23THRUST_200600_302600_NS5tupleIffNS6_9null_typeES8_S8_S8_S8_S8_S8_S8_EEEEZZNS1_27merge_sort_block_merge_implIS3_NS6_6detail15normal_iteratorINS6_10device_ptrIjEEEENSD_INSE_IS9_EEEEjNS1_19radix_merge_compareILb0ELb0EjNS0_19identity_decomposerEEEEE10hipError_tT0_T1_T2_jT3_P12ihipStream_tbPNSt15iterator_traitsISN_E10value_typeEPNST_ISO_E10value_typeEPSP_NS1_7vsmem_tEENKUlT_SN_SO_SP_E_clISG_PjSI_PS9_EESM_S12_SN_SO_SP_EUlS12_E0_NS1_11comp_targetILNS1_3genE3ELNS1_11target_archE908ELNS1_3gpuE7ELNS1_3repE0EEENS1_38merge_mergepath_config_static_selectorELNS0_4arch9wavefront6targetE0EEEvSO_,comdat
	.protected	_ZN7rocprim17ROCPRIM_400000_NS6detail17trampoline_kernelINS0_14default_configENS1_38merge_sort_block_merge_config_selectorIjN6thrust23THRUST_200600_302600_NS5tupleIffNS6_9null_typeES8_S8_S8_S8_S8_S8_S8_EEEEZZNS1_27merge_sort_block_merge_implIS3_NS6_6detail15normal_iteratorINS6_10device_ptrIjEEEENSD_INSE_IS9_EEEEjNS1_19radix_merge_compareILb0ELb0EjNS0_19identity_decomposerEEEEE10hipError_tT0_T1_T2_jT3_P12ihipStream_tbPNSt15iterator_traitsISN_E10value_typeEPNST_ISO_E10value_typeEPSP_NS1_7vsmem_tEENKUlT_SN_SO_SP_E_clISG_PjSI_PS9_EESM_S12_SN_SO_SP_EUlS12_E0_NS1_11comp_targetILNS1_3genE3ELNS1_11target_archE908ELNS1_3gpuE7ELNS1_3repE0EEENS1_38merge_mergepath_config_static_selectorELNS0_4arch9wavefront6targetE0EEEvSO_ ; -- Begin function _ZN7rocprim17ROCPRIM_400000_NS6detail17trampoline_kernelINS0_14default_configENS1_38merge_sort_block_merge_config_selectorIjN6thrust23THRUST_200600_302600_NS5tupleIffNS6_9null_typeES8_S8_S8_S8_S8_S8_S8_EEEEZZNS1_27merge_sort_block_merge_implIS3_NS6_6detail15normal_iteratorINS6_10device_ptrIjEEEENSD_INSE_IS9_EEEEjNS1_19radix_merge_compareILb0ELb0EjNS0_19identity_decomposerEEEEE10hipError_tT0_T1_T2_jT3_P12ihipStream_tbPNSt15iterator_traitsISN_E10value_typeEPNST_ISO_E10value_typeEPSP_NS1_7vsmem_tEENKUlT_SN_SO_SP_E_clISG_PjSI_PS9_EESM_S12_SN_SO_SP_EUlS12_E0_NS1_11comp_targetILNS1_3genE3ELNS1_11target_archE908ELNS1_3gpuE7ELNS1_3repE0EEENS1_38merge_mergepath_config_static_selectorELNS0_4arch9wavefront6targetE0EEEvSO_
	.globl	_ZN7rocprim17ROCPRIM_400000_NS6detail17trampoline_kernelINS0_14default_configENS1_38merge_sort_block_merge_config_selectorIjN6thrust23THRUST_200600_302600_NS5tupleIffNS6_9null_typeES8_S8_S8_S8_S8_S8_S8_EEEEZZNS1_27merge_sort_block_merge_implIS3_NS6_6detail15normal_iteratorINS6_10device_ptrIjEEEENSD_INSE_IS9_EEEEjNS1_19radix_merge_compareILb0ELb0EjNS0_19identity_decomposerEEEEE10hipError_tT0_T1_T2_jT3_P12ihipStream_tbPNSt15iterator_traitsISN_E10value_typeEPNST_ISO_E10value_typeEPSP_NS1_7vsmem_tEENKUlT_SN_SO_SP_E_clISG_PjSI_PS9_EESM_S12_SN_SO_SP_EUlS12_E0_NS1_11comp_targetILNS1_3genE3ELNS1_11target_archE908ELNS1_3gpuE7ELNS1_3repE0EEENS1_38merge_mergepath_config_static_selectorELNS0_4arch9wavefront6targetE0EEEvSO_
	.p2align	8
	.type	_ZN7rocprim17ROCPRIM_400000_NS6detail17trampoline_kernelINS0_14default_configENS1_38merge_sort_block_merge_config_selectorIjN6thrust23THRUST_200600_302600_NS5tupleIffNS6_9null_typeES8_S8_S8_S8_S8_S8_S8_EEEEZZNS1_27merge_sort_block_merge_implIS3_NS6_6detail15normal_iteratorINS6_10device_ptrIjEEEENSD_INSE_IS9_EEEEjNS1_19radix_merge_compareILb0ELb0EjNS0_19identity_decomposerEEEEE10hipError_tT0_T1_T2_jT3_P12ihipStream_tbPNSt15iterator_traitsISN_E10value_typeEPNST_ISO_E10value_typeEPSP_NS1_7vsmem_tEENKUlT_SN_SO_SP_E_clISG_PjSI_PS9_EESM_S12_SN_SO_SP_EUlS12_E0_NS1_11comp_targetILNS1_3genE3ELNS1_11target_archE908ELNS1_3gpuE7ELNS1_3repE0EEENS1_38merge_mergepath_config_static_selectorELNS0_4arch9wavefront6targetE0EEEvSO_,@function
_ZN7rocprim17ROCPRIM_400000_NS6detail17trampoline_kernelINS0_14default_configENS1_38merge_sort_block_merge_config_selectorIjN6thrust23THRUST_200600_302600_NS5tupleIffNS6_9null_typeES8_S8_S8_S8_S8_S8_S8_EEEEZZNS1_27merge_sort_block_merge_implIS3_NS6_6detail15normal_iteratorINS6_10device_ptrIjEEEENSD_INSE_IS9_EEEEjNS1_19radix_merge_compareILb0ELb0EjNS0_19identity_decomposerEEEEE10hipError_tT0_T1_T2_jT3_P12ihipStream_tbPNSt15iterator_traitsISN_E10value_typeEPNST_ISO_E10value_typeEPSP_NS1_7vsmem_tEENKUlT_SN_SO_SP_E_clISG_PjSI_PS9_EESM_S12_SN_SO_SP_EUlS12_E0_NS1_11comp_targetILNS1_3genE3ELNS1_11target_archE908ELNS1_3gpuE7ELNS1_3repE0EEENS1_38merge_mergepath_config_static_selectorELNS0_4arch9wavefront6targetE0EEEvSO_: ; @_ZN7rocprim17ROCPRIM_400000_NS6detail17trampoline_kernelINS0_14default_configENS1_38merge_sort_block_merge_config_selectorIjN6thrust23THRUST_200600_302600_NS5tupleIffNS6_9null_typeES8_S8_S8_S8_S8_S8_S8_EEEEZZNS1_27merge_sort_block_merge_implIS3_NS6_6detail15normal_iteratorINS6_10device_ptrIjEEEENSD_INSE_IS9_EEEEjNS1_19radix_merge_compareILb0ELb0EjNS0_19identity_decomposerEEEEE10hipError_tT0_T1_T2_jT3_P12ihipStream_tbPNSt15iterator_traitsISN_E10value_typeEPNST_ISO_E10value_typeEPSP_NS1_7vsmem_tEENKUlT_SN_SO_SP_E_clISG_PjSI_PS9_EESM_S12_SN_SO_SP_EUlS12_E0_NS1_11comp_targetILNS1_3genE3ELNS1_11target_archE908ELNS1_3gpuE7ELNS1_3repE0EEENS1_38merge_mergepath_config_static_selectorELNS0_4arch9wavefront6targetE0EEEvSO_
; %bb.0:
	.section	.rodata,"a",@progbits
	.p2align	6, 0x0
	.amdhsa_kernel _ZN7rocprim17ROCPRIM_400000_NS6detail17trampoline_kernelINS0_14default_configENS1_38merge_sort_block_merge_config_selectorIjN6thrust23THRUST_200600_302600_NS5tupleIffNS6_9null_typeES8_S8_S8_S8_S8_S8_S8_EEEEZZNS1_27merge_sort_block_merge_implIS3_NS6_6detail15normal_iteratorINS6_10device_ptrIjEEEENSD_INSE_IS9_EEEEjNS1_19radix_merge_compareILb0ELb0EjNS0_19identity_decomposerEEEEE10hipError_tT0_T1_T2_jT3_P12ihipStream_tbPNSt15iterator_traitsISN_E10value_typeEPNST_ISO_E10value_typeEPSP_NS1_7vsmem_tEENKUlT_SN_SO_SP_E_clISG_PjSI_PS9_EESM_S12_SN_SO_SP_EUlS12_E0_NS1_11comp_targetILNS1_3genE3ELNS1_11target_archE908ELNS1_3gpuE7ELNS1_3repE0EEENS1_38merge_mergepath_config_static_selectorELNS0_4arch9wavefront6targetE0EEEvSO_
		.amdhsa_group_segment_fixed_size 0
		.amdhsa_private_segment_fixed_size 0
		.amdhsa_kernarg_size 64
		.amdhsa_user_sgpr_count 6
		.amdhsa_user_sgpr_private_segment_buffer 1
		.amdhsa_user_sgpr_dispatch_ptr 0
		.amdhsa_user_sgpr_queue_ptr 0
		.amdhsa_user_sgpr_kernarg_segment_ptr 1
		.amdhsa_user_sgpr_dispatch_id 0
		.amdhsa_user_sgpr_flat_scratch_init 0
		.amdhsa_user_sgpr_private_segment_size 0
		.amdhsa_wavefront_size32 1
		.amdhsa_uses_dynamic_stack 0
		.amdhsa_system_sgpr_private_segment_wavefront_offset 0
		.amdhsa_system_sgpr_workgroup_id_x 1
		.amdhsa_system_sgpr_workgroup_id_y 0
		.amdhsa_system_sgpr_workgroup_id_z 0
		.amdhsa_system_sgpr_workgroup_info 0
		.amdhsa_system_vgpr_workitem_id 0
		.amdhsa_next_free_vgpr 1
		.amdhsa_next_free_sgpr 1
		.amdhsa_reserve_vcc 0
		.amdhsa_reserve_flat_scratch 0
		.amdhsa_float_round_mode_32 0
		.amdhsa_float_round_mode_16_64 0
		.amdhsa_float_denorm_mode_32 3
		.amdhsa_float_denorm_mode_16_64 3
		.amdhsa_dx10_clamp 1
		.amdhsa_ieee_mode 1
		.amdhsa_fp16_overflow 0
		.amdhsa_workgroup_processor_mode 1
		.amdhsa_memory_ordered 1
		.amdhsa_forward_progress 1
		.amdhsa_shared_vgpr_count 0
		.amdhsa_exception_fp_ieee_invalid_op 0
		.amdhsa_exception_fp_denorm_src 0
		.amdhsa_exception_fp_ieee_div_zero 0
		.amdhsa_exception_fp_ieee_overflow 0
		.amdhsa_exception_fp_ieee_underflow 0
		.amdhsa_exception_fp_ieee_inexact 0
		.amdhsa_exception_int_div_zero 0
	.end_amdhsa_kernel
	.section	.text._ZN7rocprim17ROCPRIM_400000_NS6detail17trampoline_kernelINS0_14default_configENS1_38merge_sort_block_merge_config_selectorIjN6thrust23THRUST_200600_302600_NS5tupleIffNS6_9null_typeES8_S8_S8_S8_S8_S8_S8_EEEEZZNS1_27merge_sort_block_merge_implIS3_NS6_6detail15normal_iteratorINS6_10device_ptrIjEEEENSD_INSE_IS9_EEEEjNS1_19radix_merge_compareILb0ELb0EjNS0_19identity_decomposerEEEEE10hipError_tT0_T1_T2_jT3_P12ihipStream_tbPNSt15iterator_traitsISN_E10value_typeEPNST_ISO_E10value_typeEPSP_NS1_7vsmem_tEENKUlT_SN_SO_SP_E_clISG_PjSI_PS9_EESM_S12_SN_SO_SP_EUlS12_E0_NS1_11comp_targetILNS1_3genE3ELNS1_11target_archE908ELNS1_3gpuE7ELNS1_3repE0EEENS1_38merge_mergepath_config_static_selectorELNS0_4arch9wavefront6targetE0EEEvSO_,"axG",@progbits,_ZN7rocprim17ROCPRIM_400000_NS6detail17trampoline_kernelINS0_14default_configENS1_38merge_sort_block_merge_config_selectorIjN6thrust23THRUST_200600_302600_NS5tupleIffNS6_9null_typeES8_S8_S8_S8_S8_S8_S8_EEEEZZNS1_27merge_sort_block_merge_implIS3_NS6_6detail15normal_iteratorINS6_10device_ptrIjEEEENSD_INSE_IS9_EEEEjNS1_19radix_merge_compareILb0ELb0EjNS0_19identity_decomposerEEEEE10hipError_tT0_T1_T2_jT3_P12ihipStream_tbPNSt15iterator_traitsISN_E10value_typeEPNST_ISO_E10value_typeEPSP_NS1_7vsmem_tEENKUlT_SN_SO_SP_E_clISG_PjSI_PS9_EESM_S12_SN_SO_SP_EUlS12_E0_NS1_11comp_targetILNS1_3genE3ELNS1_11target_archE908ELNS1_3gpuE7ELNS1_3repE0EEENS1_38merge_mergepath_config_static_selectorELNS0_4arch9wavefront6targetE0EEEvSO_,comdat
.Lfunc_end61:
	.size	_ZN7rocprim17ROCPRIM_400000_NS6detail17trampoline_kernelINS0_14default_configENS1_38merge_sort_block_merge_config_selectorIjN6thrust23THRUST_200600_302600_NS5tupleIffNS6_9null_typeES8_S8_S8_S8_S8_S8_S8_EEEEZZNS1_27merge_sort_block_merge_implIS3_NS6_6detail15normal_iteratorINS6_10device_ptrIjEEEENSD_INSE_IS9_EEEEjNS1_19radix_merge_compareILb0ELb0EjNS0_19identity_decomposerEEEEE10hipError_tT0_T1_T2_jT3_P12ihipStream_tbPNSt15iterator_traitsISN_E10value_typeEPNST_ISO_E10value_typeEPSP_NS1_7vsmem_tEENKUlT_SN_SO_SP_E_clISG_PjSI_PS9_EESM_S12_SN_SO_SP_EUlS12_E0_NS1_11comp_targetILNS1_3genE3ELNS1_11target_archE908ELNS1_3gpuE7ELNS1_3repE0EEENS1_38merge_mergepath_config_static_selectorELNS0_4arch9wavefront6targetE0EEEvSO_, .Lfunc_end61-_ZN7rocprim17ROCPRIM_400000_NS6detail17trampoline_kernelINS0_14default_configENS1_38merge_sort_block_merge_config_selectorIjN6thrust23THRUST_200600_302600_NS5tupleIffNS6_9null_typeES8_S8_S8_S8_S8_S8_S8_EEEEZZNS1_27merge_sort_block_merge_implIS3_NS6_6detail15normal_iteratorINS6_10device_ptrIjEEEENSD_INSE_IS9_EEEEjNS1_19radix_merge_compareILb0ELb0EjNS0_19identity_decomposerEEEEE10hipError_tT0_T1_T2_jT3_P12ihipStream_tbPNSt15iterator_traitsISN_E10value_typeEPNST_ISO_E10value_typeEPSP_NS1_7vsmem_tEENKUlT_SN_SO_SP_E_clISG_PjSI_PS9_EESM_S12_SN_SO_SP_EUlS12_E0_NS1_11comp_targetILNS1_3genE3ELNS1_11target_archE908ELNS1_3gpuE7ELNS1_3repE0EEENS1_38merge_mergepath_config_static_selectorELNS0_4arch9wavefront6targetE0EEEvSO_
                                        ; -- End function
	.set _ZN7rocprim17ROCPRIM_400000_NS6detail17trampoline_kernelINS0_14default_configENS1_38merge_sort_block_merge_config_selectorIjN6thrust23THRUST_200600_302600_NS5tupleIffNS6_9null_typeES8_S8_S8_S8_S8_S8_S8_EEEEZZNS1_27merge_sort_block_merge_implIS3_NS6_6detail15normal_iteratorINS6_10device_ptrIjEEEENSD_INSE_IS9_EEEEjNS1_19radix_merge_compareILb0ELb0EjNS0_19identity_decomposerEEEEE10hipError_tT0_T1_T2_jT3_P12ihipStream_tbPNSt15iterator_traitsISN_E10value_typeEPNST_ISO_E10value_typeEPSP_NS1_7vsmem_tEENKUlT_SN_SO_SP_E_clISG_PjSI_PS9_EESM_S12_SN_SO_SP_EUlS12_E0_NS1_11comp_targetILNS1_3genE3ELNS1_11target_archE908ELNS1_3gpuE7ELNS1_3repE0EEENS1_38merge_mergepath_config_static_selectorELNS0_4arch9wavefront6targetE0EEEvSO_.num_vgpr, 0
	.set _ZN7rocprim17ROCPRIM_400000_NS6detail17trampoline_kernelINS0_14default_configENS1_38merge_sort_block_merge_config_selectorIjN6thrust23THRUST_200600_302600_NS5tupleIffNS6_9null_typeES8_S8_S8_S8_S8_S8_S8_EEEEZZNS1_27merge_sort_block_merge_implIS3_NS6_6detail15normal_iteratorINS6_10device_ptrIjEEEENSD_INSE_IS9_EEEEjNS1_19radix_merge_compareILb0ELb0EjNS0_19identity_decomposerEEEEE10hipError_tT0_T1_T2_jT3_P12ihipStream_tbPNSt15iterator_traitsISN_E10value_typeEPNST_ISO_E10value_typeEPSP_NS1_7vsmem_tEENKUlT_SN_SO_SP_E_clISG_PjSI_PS9_EESM_S12_SN_SO_SP_EUlS12_E0_NS1_11comp_targetILNS1_3genE3ELNS1_11target_archE908ELNS1_3gpuE7ELNS1_3repE0EEENS1_38merge_mergepath_config_static_selectorELNS0_4arch9wavefront6targetE0EEEvSO_.num_agpr, 0
	.set _ZN7rocprim17ROCPRIM_400000_NS6detail17trampoline_kernelINS0_14default_configENS1_38merge_sort_block_merge_config_selectorIjN6thrust23THRUST_200600_302600_NS5tupleIffNS6_9null_typeES8_S8_S8_S8_S8_S8_S8_EEEEZZNS1_27merge_sort_block_merge_implIS3_NS6_6detail15normal_iteratorINS6_10device_ptrIjEEEENSD_INSE_IS9_EEEEjNS1_19radix_merge_compareILb0ELb0EjNS0_19identity_decomposerEEEEE10hipError_tT0_T1_T2_jT3_P12ihipStream_tbPNSt15iterator_traitsISN_E10value_typeEPNST_ISO_E10value_typeEPSP_NS1_7vsmem_tEENKUlT_SN_SO_SP_E_clISG_PjSI_PS9_EESM_S12_SN_SO_SP_EUlS12_E0_NS1_11comp_targetILNS1_3genE3ELNS1_11target_archE908ELNS1_3gpuE7ELNS1_3repE0EEENS1_38merge_mergepath_config_static_selectorELNS0_4arch9wavefront6targetE0EEEvSO_.numbered_sgpr, 0
	.set _ZN7rocprim17ROCPRIM_400000_NS6detail17trampoline_kernelINS0_14default_configENS1_38merge_sort_block_merge_config_selectorIjN6thrust23THRUST_200600_302600_NS5tupleIffNS6_9null_typeES8_S8_S8_S8_S8_S8_S8_EEEEZZNS1_27merge_sort_block_merge_implIS3_NS6_6detail15normal_iteratorINS6_10device_ptrIjEEEENSD_INSE_IS9_EEEEjNS1_19radix_merge_compareILb0ELb0EjNS0_19identity_decomposerEEEEE10hipError_tT0_T1_T2_jT3_P12ihipStream_tbPNSt15iterator_traitsISN_E10value_typeEPNST_ISO_E10value_typeEPSP_NS1_7vsmem_tEENKUlT_SN_SO_SP_E_clISG_PjSI_PS9_EESM_S12_SN_SO_SP_EUlS12_E0_NS1_11comp_targetILNS1_3genE3ELNS1_11target_archE908ELNS1_3gpuE7ELNS1_3repE0EEENS1_38merge_mergepath_config_static_selectorELNS0_4arch9wavefront6targetE0EEEvSO_.num_named_barrier, 0
	.set _ZN7rocprim17ROCPRIM_400000_NS6detail17trampoline_kernelINS0_14default_configENS1_38merge_sort_block_merge_config_selectorIjN6thrust23THRUST_200600_302600_NS5tupleIffNS6_9null_typeES8_S8_S8_S8_S8_S8_S8_EEEEZZNS1_27merge_sort_block_merge_implIS3_NS6_6detail15normal_iteratorINS6_10device_ptrIjEEEENSD_INSE_IS9_EEEEjNS1_19radix_merge_compareILb0ELb0EjNS0_19identity_decomposerEEEEE10hipError_tT0_T1_T2_jT3_P12ihipStream_tbPNSt15iterator_traitsISN_E10value_typeEPNST_ISO_E10value_typeEPSP_NS1_7vsmem_tEENKUlT_SN_SO_SP_E_clISG_PjSI_PS9_EESM_S12_SN_SO_SP_EUlS12_E0_NS1_11comp_targetILNS1_3genE3ELNS1_11target_archE908ELNS1_3gpuE7ELNS1_3repE0EEENS1_38merge_mergepath_config_static_selectorELNS0_4arch9wavefront6targetE0EEEvSO_.private_seg_size, 0
	.set _ZN7rocprim17ROCPRIM_400000_NS6detail17trampoline_kernelINS0_14default_configENS1_38merge_sort_block_merge_config_selectorIjN6thrust23THRUST_200600_302600_NS5tupleIffNS6_9null_typeES8_S8_S8_S8_S8_S8_S8_EEEEZZNS1_27merge_sort_block_merge_implIS3_NS6_6detail15normal_iteratorINS6_10device_ptrIjEEEENSD_INSE_IS9_EEEEjNS1_19radix_merge_compareILb0ELb0EjNS0_19identity_decomposerEEEEE10hipError_tT0_T1_T2_jT3_P12ihipStream_tbPNSt15iterator_traitsISN_E10value_typeEPNST_ISO_E10value_typeEPSP_NS1_7vsmem_tEENKUlT_SN_SO_SP_E_clISG_PjSI_PS9_EESM_S12_SN_SO_SP_EUlS12_E0_NS1_11comp_targetILNS1_3genE3ELNS1_11target_archE908ELNS1_3gpuE7ELNS1_3repE0EEENS1_38merge_mergepath_config_static_selectorELNS0_4arch9wavefront6targetE0EEEvSO_.uses_vcc, 0
	.set _ZN7rocprim17ROCPRIM_400000_NS6detail17trampoline_kernelINS0_14default_configENS1_38merge_sort_block_merge_config_selectorIjN6thrust23THRUST_200600_302600_NS5tupleIffNS6_9null_typeES8_S8_S8_S8_S8_S8_S8_EEEEZZNS1_27merge_sort_block_merge_implIS3_NS6_6detail15normal_iteratorINS6_10device_ptrIjEEEENSD_INSE_IS9_EEEEjNS1_19radix_merge_compareILb0ELb0EjNS0_19identity_decomposerEEEEE10hipError_tT0_T1_T2_jT3_P12ihipStream_tbPNSt15iterator_traitsISN_E10value_typeEPNST_ISO_E10value_typeEPSP_NS1_7vsmem_tEENKUlT_SN_SO_SP_E_clISG_PjSI_PS9_EESM_S12_SN_SO_SP_EUlS12_E0_NS1_11comp_targetILNS1_3genE3ELNS1_11target_archE908ELNS1_3gpuE7ELNS1_3repE0EEENS1_38merge_mergepath_config_static_selectorELNS0_4arch9wavefront6targetE0EEEvSO_.uses_flat_scratch, 0
	.set _ZN7rocprim17ROCPRIM_400000_NS6detail17trampoline_kernelINS0_14default_configENS1_38merge_sort_block_merge_config_selectorIjN6thrust23THRUST_200600_302600_NS5tupleIffNS6_9null_typeES8_S8_S8_S8_S8_S8_S8_EEEEZZNS1_27merge_sort_block_merge_implIS3_NS6_6detail15normal_iteratorINS6_10device_ptrIjEEEENSD_INSE_IS9_EEEEjNS1_19radix_merge_compareILb0ELb0EjNS0_19identity_decomposerEEEEE10hipError_tT0_T1_T2_jT3_P12ihipStream_tbPNSt15iterator_traitsISN_E10value_typeEPNST_ISO_E10value_typeEPSP_NS1_7vsmem_tEENKUlT_SN_SO_SP_E_clISG_PjSI_PS9_EESM_S12_SN_SO_SP_EUlS12_E0_NS1_11comp_targetILNS1_3genE3ELNS1_11target_archE908ELNS1_3gpuE7ELNS1_3repE0EEENS1_38merge_mergepath_config_static_selectorELNS0_4arch9wavefront6targetE0EEEvSO_.has_dyn_sized_stack, 0
	.set _ZN7rocprim17ROCPRIM_400000_NS6detail17trampoline_kernelINS0_14default_configENS1_38merge_sort_block_merge_config_selectorIjN6thrust23THRUST_200600_302600_NS5tupleIffNS6_9null_typeES8_S8_S8_S8_S8_S8_S8_EEEEZZNS1_27merge_sort_block_merge_implIS3_NS6_6detail15normal_iteratorINS6_10device_ptrIjEEEENSD_INSE_IS9_EEEEjNS1_19radix_merge_compareILb0ELb0EjNS0_19identity_decomposerEEEEE10hipError_tT0_T1_T2_jT3_P12ihipStream_tbPNSt15iterator_traitsISN_E10value_typeEPNST_ISO_E10value_typeEPSP_NS1_7vsmem_tEENKUlT_SN_SO_SP_E_clISG_PjSI_PS9_EESM_S12_SN_SO_SP_EUlS12_E0_NS1_11comp_targetILNS1_3genE3ELNS1_11target_archE908ELNS1_3gpuE7ELNS1_3repE0EEENS1_38merge_mergepath_config_static_selectorELNS0_4arch9wavefront6targetE0EEEvSO_.has_recursion, 0
	.set _ZN7rocprim17ROCPRIM_400000_NS6detail17trampoline_kernelINS0_14default_configENS1_38merge_sort_block_merge_config_selectorIjN6thrust23THRUST_200600_302600_NS5tupleIffNS6_9null_typeES8_S8_S8_S8_S8_S8_S8_EEEEZZNS1_27merge_sort_block_merge_implIS3_NS6_6detail15normal_iteratorINS6_10device_ptrIjEEEENSD_INSE_IS9_EEEEjNS1_19radix_merge_compareILb0ELb0EjNS0_19identity_decomposerEEEEE10hipError_tT0_T1_T2_jT3_P12ihipStream_tbPNSt15iterator_traitsISN_E10value_typeEPNST_ISO_E10value_typeEPSP_NS1_7vsmem_tEENKUlT_SN_SO_SP_E_clISG_PjSI_PS9_EESM_S12_SN_SO_SP_EUlS12_E0_NS1_11comp_targetILNS1_3genE3ELNS1_11target_archE908ELNS1_3gpuE7ELNS1_3repE0EEENS1_38merge_mergepath_config_static_selectorELNS0_4arch9wavefront6targetE0EEEvSO_.has_indirect_call, 0
	.section	.AMDGPU.csdata,"",@progbits
; Kernel info:
; codeLenInByte = 0
; TotalNumSgprs: 0
; NumVgprs: 0
; ScratchSize: 0
; MemoryBound: 0
; FloatMode: 240
; IeeeMode: 1
; LDSByteSize: 0 bytes/workgroup (compile time only)
; SGPRBlocks: 0
; VGPRBlocks: 0
; NumSGPRsForWavesPerEU: 1
; NumVGPRsForWavesPerEU: 1
; Occupancy: 16
; WaveLimiterHint : 0
; COMPUTE_PGM_RSRC2:SCRATCH_EN: 0
; COMPUTE_PGM_RSRC2:USER_SGPR: 6
; COMPUTE_PGM_RSRC2:TRAP_HANDLER: 0
; COMPUTE_PGM_RSRC2:TGID_X_EN: 1
; COMPUTE_PGM_RSRC2:TGID_Y_EN: 0
; COMPUTE_PGM_RSRC2:TGID_Z_EN: 0
; COMPUTE_PGM_RSRC2:TIDIG_COMP_CNT: 0
	.section	.text._ZN7rocprim17ROCPRIM_400000_NS6detail17trampoline_kernelINS0_14default_configENS1_38merge_sort_block_merge_config_selectorIjN6thrust23THRUST_200600_302600_NS5tupleIffNS6_9null_typeES8_S8_S8_S8_S8_S8_S8_EEEEZZNS1_27merge_sort_block_merge_implIS3_NS6_6detail15normal_iteratorINS6_10device_ptrIjEEEENSD_INSE_IS9_EEEEjNS1_19radix_merge_compareILb0ELb0EjNS0_19identity_decomposerEEEEE10hipError_tT0_T1_T2_jT3_P12ihipStream_tbPNSt15iterator_traitsISN_E10value_typeEPNST_ISO_E10value_typeEPSP_NS1_7vsmem_tEENKUlT_SN_SO_SP_E_clISG_PjSI_PS9_EESM_S12_SN_SO_SP_EUlS12_E0_NS1_11comp_targetILNS1_3genE2ELNS1_11target_archE906ELNS1_3gpuE6ELNS1_3repE0EEENS1_38merge_mergepath_config_static_selectorELNS0_4arch9wavefront6targetE0EEEvSO_,"axG",@progbits,_ZN7rocprim17ROCPRIM_400000_NS6detail17trampoline_kernelINS0_14default_configENS1_38merge_sort_block_merge_config_selectorIjN6thrust23THRUST_200600_302600_NS5tupleIffNS6_9null_typeES8_S8_S8_S8_S8_S8_S8_EEEEZZNS1_27merge_sort_block_merge_implIS3_NS6_6detail15normal_iteratorINS6_10device_ptrIjEEEENSD_INSE_IS9_EEEEjNS1_19radix_merge_compareILb0ELb0EjNS0_19identity_decomposerEEEEE10hipError_tT0_T1_T2_jT3_P12ihipStream_tbPNSt15iterator_traitsISN_E10value_typeEPNST_ISO_E10value_typeEPSP_NS1_7vsmem_tEENKUlT_SN_SO_SP_E_clISG_PjSI_PS9_EESM_S12_SN_SO_SP_EUlS12_E0_NS1_11comp_targetILNS1_3genE2ELNS1_11target_archE906ELNS1_3gpuE6ELNS1_3repE0EEENS1_38merge_mergepath_config_static_selectorELNS0_4arch9wavefront6targetE0EEEvSO_,comdat
	.protected	_ZN7rocprim17ROCPRIM_400000_NS6detail17trampoline_kernelINS0_14default_configENS1_38merge_sort_block_merge_config_selectorIjN6thrust23THRUST_200600_302600_NS5tupleIffNS6_9null_typeES8_S8_S8_S8_S8_S8_S8_EEEEZZNS1_27merge_sort_block_merge_implIS3_NS6_6detail15normal_iteratorINS6_10device_ptrIjEEEENSD_INSE_IS9_EEEEjNS1_19radix_merge_compareILb0ELb0EjNS0_19identity_decomposerEEEEE10hipError_tT0_T1_T2_jT3_P12ihipStream_tbPNSt15iterator_traitsISN_E10value_typeEPNST_ISO_E10value_typeEPSP_NS1_7vsmem_tEENKUlT_SN_SO_SP_E_clISG_PjSI_PS9_EESM_S12_SN_SO_SP_EUlS12_E0_NS1_11comp_targetILNS1_3genE2ELNS1_11target_archE906ELNS1_3gpuE6ELNS1_3repE0EEENS1_38merge_mergepath_config_static_selectorELNS0_4arch9wavefront6targetE0EEEvSO_ ; -- Begin function _ZN7rocprim17ROCPRIM_400000_NS6detail17trampoline_kernelINS0_14default_configENS1_38merge_sort_block_merge_config_selectorIjN6thrust23THRUST_200600_302600_NS5tupleIffNS6_9null_typeES8_S8_S8_S8_S8_S8_S8_EEEEZZNS1_27merge_sort_block_merge_implIS3_NS6_6detail15normal_iteratorINS6_10device_ptrIjEEEENSD_INSE_IS9_EEEEjNS1_19radix_merge_compareILb0ELb0EjNS0_19identity_decomposerEEEEE10hipError_tT0_T1_T2_jT3_P12ihipStream_tbPNSt15iterator_traitsISN_E10value_typeEPNST_ISO_E10value_typeEPSP_NS1_7vsmem_tEENKUlT_SN_SO_SP_E_clISG_PjSI_PS9_EESM_S12_SN_SO_SP_EUlS12_E0_NS1_11comp_targetILNS1_3genE2ELNS1_11target_archE906ELNS1_3gpuE6ELNS1_3repE0EEENS1_38merge_mergepath_config_static_selectorELNS0_4arch9wavefront6targetE0EEEvSO_
	.globl	_ZN7rocprim17ROCPRIM_400000_NS6detail17trampoline_kernelINS0_14default_configENS1_38merge_sort_block_merge_config_selectorIjN6thrust23THRUST_200600_302600_NS5tupleIffNS6_9null_typeES8_S8_S8_S8_S8_S8_S8_EEEEZZNS1_27merge_sort_block_merge_implIS3_NS6_6detail15normal_iteratorINS6_10device_ptrIjEEEENSD_INSE_IS9_EEEEjNS1_19radix_merge_compareILb0ELb0EjNS0_19identity_decomposerEEEEE10hipError_tT0_T1_T2_jT3_P12ihipStream_tbPNSt15iterator_traitsISN_E10value_typeEPNST_ISO_E10value_typeEPSP_NS1_7vsmem_tEENKUlT_SN_SO_SP_E_clISG_PjSI_PS9_EESM_S12_SN_SO_SP_EUlS12_E0_NS1_11comp_targetILNS1_3genE2ELNS1_11target_archE906ELNS1_3gpuE6ELNS1_3repE0EEENS1_38merge_mergepath_config_static_selectorELNS0_4arch9wavefront6targetE0EEEvSO_
	.p2align	8
	.type	_ZN7rocprim17ROCPRIM_400000_NS6detail17trampoline_kernelINS0_14default_configENS1_38merge_sort_block_merge_config_selectorIjN6thrust23THRUST_200600_302600_NS5tupleIffNS6_9null_typeES8_S8_S8_S8_S8_S8_S8_EEEEZZNS1_27merge_sort_block_merge_implIS3_NS6_6detail15normal_iteratorINS6_10device_ptrIjEEEENSD_INSE_IS9_EEEEjNS1_19radix_merge_compareILb0ELb0EjNS0_19identity_decomposerEEEEE10hipError_tT0_T1_T2_jT3_P12ihipStream_tbPNSt15iterator_traitsISN_E10value_typeEPNST_ISO_E10value_typeEPSP_NS1_7vsmem_tEENKUlT_SN_SO_SP_E_clISG_PjSI_PS9_EESM_S12_SN_SO_SP_EUlS12_E0_NS1_11comp_targetILNS1_3genE2ELNS1_11target_archE906ELNS1_3gpuE6ELNS1_3repE0EEENS1_38merge_mergepath_config_static_selectorELNS0_4arch9wavefront6targetE0EEEvSO_,@function
_ZN7rocprim17ROCPRIM_400000_NS6detail17trampoline_kernelINS0_14default_configENS1_38merge_sort_block_merge_config_selectorIjN6thrust23THRUST_200600_302600_NS5tupleIffNS6_9null_typeES8_S8_S8_S8_S8_S8_S8_EEEEZZNS1_27merge_sort_block_merge_implIS3_NS6_6detail15normal_iteratorINS6_10device_ptrIjEEEENSD_INSE_IS9_EEEEjNS1_19radix_merge_compareILb0ELb0EjNS0_19identity_decomposerEEEEE10hipError_tT0_T1_T2_jT3_P12ihipStream_tbPNSt15iterator_traitsISN_E10value_typeEPNST_ISO_E10value_typeEPSP_NS1_7vsmem_tEENKUlT_SN_SO_SP_E_clISG_PjSI_PS9_EESM_S12_SN_SO_SP_EUlS12_E0_NS1_11comp_targetILNS1_3genE2ELNS1_11target_archE906ELNS1_3gpuE6ELNS1_3repE0EEENS1_38merge_mergepath_config_static_selectorELNS0_4arch9wavefront6targetE0EEEvSO_: ; @_ZN7rocprim17ROCPRIM_400000_NS6detail17trampoline_kernelINS0_14default_configENS1_38merge_sort_block_merge_config_selectorIjN6thrust23THRUST_200600_302600_NS5tupleIffNS6_9null_typeES8_S8_S8_S8_S8_S8_S8_EEEEZZNS1_27merge_sort_block_merge_implIS3_NS6_6detail15normal_iteratorINS6_10device_ptrIjEEEENSD_INSE_IS9_EEEEjNS1_19radix_merge_compareILb0ELb0EjNS0_19identity_decomposerEEEEE10hipError_tT0_T1_T2_jT3_P12ihipStream_tbPNSt15iterator_traitsISN_E10value_typeEPNST_ISO_E10value_typeEPSP_NS1_7vsmem_tEENKUlT_SN_SO_SP_E_clISG_PjSI_PS9_EESM_S12_SN_SO_SP_EUlS12_E0_NS1_11comp_targetILNS1_3genE2ELNS1_11target_archE906ELNS1_3gpuE6ELNS1_3repE0EEENS1_38merge_mergepath_config_static_selectorELNS0_4arch9wavefront6targetE0EEEvSO_
; %bb.0:
	.section	.rodata,"a",@progbits
	.p2align	6, 0x0
	.amdhsa_kernel _ZN7rocprim17ROCPRIM_400000_NS6detail17trampoline_kernelINS0_14default_configENS1_38merge_sort_block_merge_config_selectorIjN6thrust23THRUST_200600_302600_NS5tupleIffNS6_9null_typeES8_S8_S8_S8_S8_S8_S8_EEEEZZNS1_27merge_sort_block_merge_implIS3_NS6_6detail15normal_iteratorINS6_10device_ptrIjEEEENSD_INSE_IS9_EEEEjNS1_19radix_merge_compareILb0ELb0EjNS0_19identity_decomposerEEEEE10hipError_tT0_T1_T2_jT3_P12ihipStream_tbPNSt15iterator_traitsISN_E10value_typeEPNST_ISO_E10value_typeEPSP_NS1_7vsmem_tEENKUlT_SN_SO_SP_E_clISG_PjSI_PS9_EESM_S12_SN_SO_SP_EUlS12_E0_NS1_11comp_targetILNS1_3genE2ELNS1_11target_archE906ELNS1_3gpuE6ELNS1_3repE0EEENS1_38merge_mergepath_config_static_selectorELNS0_4arch9wavefront6targetE0EEEvSO_
		.amdhsa_group_segment_fixed_size 0
		.amdhsa_private_segment_fixed_size 0
		.amdhsa_kernarg_size 64
		.amdhsa_user_sgpr_count 6
		.amdhsa_user_sgpr_private_segment_buffer 1
		.amdhsa_user_sgpr_dispatch_ptr 0
		.amdhsa_user_sgpr_queue_ptr 0
		.amdhsa_user_sgpr_kernarg_segment_ptr 1
		.amdhsa_user_sgpr_dispatch_id 0
		.amdhsa_user_sgpr_flat_scratch_init 0
		.amdhsa_user_sgpr_private_segment_size 0
		.amdhsa_wavefront_size32 1
		.amdhsa_uses_dynamic_stack 0
		.amdhsa_system_sgpr_private_segment_wavefront_offset 0
		.amdhsa_system_sgpr_workgroup_id_x 1
		.amdhsa_system_sgpr_workgroup_id_y 0
		.amdhsa_system_sgpr_workgroup_id_z 0
		.amdhsa_system_sgpr_workgroup_info 0
		.amdhsa_system_vgpr_workitem_id 0
		.amdhsa_next_free_vgpr 1
		.amdhsa_next_free_sgpr 1
		.amdhsa_reserve_vcc 0
		.amdhsa_reserve_flat_scratch 0
		.amdhsa_float_round_mode_32 0
		.amdhsa_float_round_mode_16_64 0
		.amdhsa_float_denorm_mode_32 3
		.amdhsa_float_denorm_mode_16_64 3
		.amdhsa_dx10_clamp 1
		.amdhsa_ieee_mode 1
		.amdhsa_fp16_overflow 0
		.amdhsa_workgroup_processor_mode 1
		.amdhsa_memory_ordered 1
		.amdhsa_forward_progress 1
		.amdhsa_shared_vgpr_count 0
		.amdhsa_exception_fp_ieee_invalid_op 0
		.amdhsa_exception_fp_denorm_src 0
		.amdhsa_exception_fp_ieee_div_zero 0
		.amdhsa_exception_fp_ieee_overflow 0
		.amdhsa_exception_fp_ieee_underflow 0
		.amdhsa_exception_fp_ieee_inexact 0
		.amdhsa_exception_int_div_zero 0
	.end_amdhsa_kernel
	.section	.text._ZN7rocprim17ROCPRIM_400000_NS6detail17trampoline_kernelINS0_14default_configENS1_38merge_sort_block_merge_config_selectorIjN6thrust23THRUST_200600_302600_NS5tupleIffNS6_9null_typeES8_S8_S8_S8_S8_S8_S8_EEEEZZNS1_27merge_sort_block_merge_implIS3_NS6_6detail15normal_iteratorINS6_10device_ptrIjEEEENSD_INSE_IS9_EEEEjNS1_19radix_merge_compareILb0ELb0EjNS0_19identity_decomposerEEEEE10hipError_tT0_T1_T2_jT3_P12ihipStream_tbPNSt15iterator_traitsISN_E10value_typeEPNST_ISO_E10value_typeEPSP_NS1_7vsmem_tEENKUlT_SN_SO_SP_E_clISG_PjSI_PS9_EESM_S12_SN_SO_SP_EUlS12_E0_NS1_11comp_targetILNS1_3genE2ELNS1_11target_archE906ELNS1_3gpuE6ELNS1_3repE0EEENS1_38merge_mergepath_config_static_selectorELNS0_4arch9wavefront6targetE0EEEvSO_,"axG",@progbits,_ZN7rocprim17ROCPRIM_400000_NS6detail17trampoline_kernelINS0_14default_configENS1_38merge_sort_block_merge_config_selectorIjN6thrust23THRUST_200600_302600_NS5tupleIffNS6_9null_typeES8_S8_S8_S8_S8_S8_S8_EEEEZZNS1_27merge_sort_block_merge_implIS3_NS6_6detail15normal_iteratorINS6_10device_ptrIjEEEENSD_INSE_IS9_EEEEjNS1_19radix_merge_compareILb0ELb0EjNS0_19identity_decomposerEEEEE10hipError_tT0_T1_T2_jT3_P12ihipStream_tbPNSt15iterator_traitsISN_E10value_typeEPNST_ISO_E10value_typeEPSP_NS1_7vsmem_tEENKUlT_SN_SO_SP_E_clISG_PjSI_PS9_EESM_S12_SN_SO_SP_EUlS12_E0_NS1_11comp_targetILNS1_3genE2ELNS1_11target_archE906ELNS1_3gpuE6ELNS1_3repE0EEENS1_38merge_mergepath_config_static_selectorELNS0_4arch9wavefront6targetE0EEEvSO_,comdat
.Lfunc_end62:
	.size	_ZN7rocprim17ROCPRIM_400000_NS6detail17trampoline_kernelINS0_14default_configENS1_38merge_sort_block_merge_config_selectorIjN6thrust23THRUST_200600_302600_NS5tupleIffNS6_9null_typeES8_S8_S8_S8_S8_S8_S8_EEEEZZNS1_27merge_sort_block_merge_implIS3_NS6_6detail15normal_iteratorINS6_10device_ptrIjEEEENSD_INSE_IS9_EEEEjNS1_19radix_merge_compareILb0ELb0EjNS0_19identity_decomposerEEEEE10hipError_tT0_T1_T2_jT3_P12ihipStream_tbPNSt15iterator_traitsISN_E10value_typeEPNST_ISO_E10value_typeEPSP_NS1_7vsmem_tEENKUlT_SN_SO_SP_E_clISG_PjSI_PS9_EESM_S12_SN_SO_SP_EUlS12_E0_NS1_11comp_targetILNS1_3genE2ELNS1_11target_archE906ELNS1_3gpuE6ELNS1_3repE0EEENS1_38merge_mergepath_config_static_selectorELNS0_4arch9wavefront6targetE0EEEvSO_, .Lfunc_end62-_ZN7rocprim17ROCPRIM_400000_NS6detail17trampoline_kernelINS0_14default_configENS1_38merge_sort_block_merge_config_selectorIjN6thrust23THRUST_200600_302600_NS5tupleIffNS6_9null_typeES8_S8_S8_S8_S8_S8_S8_EEEEZZNS1_27merge_sort_block_merge_implIS3_NS6_6detail15normal_iteratorINS6_10device_ptrIjEEEENSD_INSE_IS9_EEEEjNS1_19radix_merge_compareILb0ELb0EjNS0_19identity_decomposerEEEEE10hipError_tT0_T1_T2_jT3_P12ihipStream_tbPNSt15iterator_traitsISN_E10value_typeEPNST_ISO_E10value_typeEPSP_NS1_7vsmem_tEENKUlT_SN_SO_SP_E_clISG_PjSI_PS9_EESM_S12_SN_SO_SP_EUlS12_E0_NS1_11comp_targetILNS1_3genE2ELNS1_11target_archE906ELNS1_3gpuE6ELNS1_3repE0EEENS1_38merge_mergepath_config_static_selectorELNS0_4arch9wavefront6targetE0EEEvSO_
                                        ; -- End function
	.set _ZN7rocprim17ROCPRIM_400000_NS6detail17trampoline_kernelINS0_14default_configENS1_38merge_sort_block_merge_config_selectorIjN6thrust23THRUST_200600_302600_NS5tupleIffNS6_9null_typeES8_S8_S8_S8_S8_S8_S8_EEEEZZNS1_27merge_sort_block_merge_implIS3_NS6_6detail15normal_iteratorINS6_10device_ptrIjEEEENSD_INSE_IS9_EEEEjNS1_19radix_merge_compareILb0ELb0EjNS0_19identity_decomposerEEEEE10hipError_tT0_T1_T2_jT3_P12ihipStream_tbPNSt15iterator_traitsISN_E10value_typeEPNST_ISO_E10value_typeEPSP_NS1_7vsmem_tEENKUlT_SN_SO_SP_E_clISG_PjSI_PS9_EESM_S12_SN_SO_SP_EUlS12_E0_NS1_11comp_targetILNS1_3genE2ELNS1_11target_archE906ELNS1_3gpuE6ELNS1_3repE0EEENS1_38merge_mergepath_config_static_selectorELNS0_4arch9wavefront6targetE0EEEvSO_.num_vgpr, 0
	.set _ZN7rocprim17ROCPRIM_400000_NS6detail17trampoline_kernelINS0_14default_configENS1_38merge_sort_block_merge_config_selectorIjN6thrust23THRUST_200600_302600_NS5tupleIffNS6_9null_typeES8_S8_S8_S8_S8_S8_S8_EEEEZZNS1_27merge_sort_block_merge_implIS3_NS6_6detail15normal_iteratorINS6_10device_ptrIjEEEENSD_INSE_IS9_EEEEjNS1_19radix_merge_compareILb0ELb0EjNS0_19identity_decomposerEEEEE10hipError_tT0_T1_T2_jT3_P12ihipStream_tbPNSt15iterator_traitsISN_E10value_typeEPNST_ISO_E10value_typeEPSP_NS1_7vsmem_tEENKUlT_SN_SO_SP_E_clISG_PjSI_PS9_EESM_S12_SN_SO_SP_EUlS12_E0_NS1_11comp_targetILNS1_3genE2ELNS1_11target_archE906ELNS1_3gpuE6ELNS1_3repE0EEENS1_38merge_mergepath_config_static_selectorELNS0_4arch9wavefront6targetE0EEEvSO_.num_agpr, 0
	.set _ZN7rocprim17ROCPRIM_400000_NS6detail17trampoline_kernelINS0_14default_configENS1_38merge_sort_block_merge_config_selectorIjN6thrust23THRUST_200600_302600_NS5tupleIffNS6_9null_typeES8_S8_S8_S8_S8_S8_S8_EEEEZZNS1_27merge_sort_block_merge_implIS3_NS6_6detail15normal_iteratorINS6_10device_ptrIjEEEENSD_INSE_IS9_EEEEjNS1_19radix_merge_compareILb0ELb0EjNS0_19identity_decomposerEEEEE10hipError_tT0_T1_T2_jT3_P12ihipStream_tbPNSt15iterator_traitsISN_E10value_typeEPNST_ISO_E10value_typeEPSP_NS1_7vsmem_tEENKUlT_SN_SO_SP_E_clISG_PjSI_PS9_EESM_S12_SN_SO_SP_EUlS12_E0_NS1_11comp_targetILNS1_3genE2ELNS1_11target_archE906ELNS1_3gpuE6ELNS1_3repE0EEENS1_38merge_mergepath_config_static_selectorELNS0_4arch9wavefront6targetE0EEEvSO_.numbered_sgpr, 0
	.set _ZN7rocprim17ROCPRIM_400000_NS6detail17trampoline_kernelINS0_14default_configENS1_38merge_sort_block_merge_config_selectorIjN6thrust23THRUST_200600_302600_NS5tupleIffNS6_9null_typeES8_S8_S8_S8_S8_S8_S8_EEEEZZNS1_27merge_sort_block_merge_implIS3_NS6_6detail15normal_iteratorINS6_10device_ptrIjEEEENSD_INSE_IS9_EEEEjNS1_19radix_merge_compareILb0ELb0EjNS0_19identity_decomposerEEEEE10hipError_tT0_T1_T2_jT3_P12ihipStream_tbPNSt15iterator_traitsISN_E10value_typeEPNST_ISO_E10value_typeEPSP_NS1_7vsmem_tEENKUlT_SN_SO_SP_E_clISG_PjSI_PS9_EESM_S12_SN_SO_SP_EUlS12_E0_NS1_11comp_targetILNS1_3genE2ELNS1_11target_archE906ELNS1_3gpuE6ELNS1_3repE0EEENS1_38merge_mergepath_config_static_selectorELNS0_4arch9wavefront6targetE0EEEvSO_.num_named_barrier, 0
	.set _ZN7rocprim17ROCPRIM_400000_NS6detail17trampoline_kernelINS0_14default_configENS1_38merge_sort_block_merge_config_selectorIjN6thrust23THRUST_200600_302600_NS5tupleIffNS6_9null_typeES8_S8_S8_S8_S8_S8_S8_EEEEZZNS1_27merge_sort_block_merge_implIS3_NS6_6detail15normal_iteratorINS6_10device_ptrIjEEEENSD_INSE_IS9_EEEEjNS1_19radix_merge_compareILb0ELb0EjNS0_19identity_decomposerEEEEE10hipError_tT0_T1_T2_jT3_P12ihipStream_tbPNSt15iterator_traitsISN_E10value_typeEPNST_ISO_E10value_typeEPSP_NS1_7vsmem_tEENKUlT_SN_SO_SP_E_clISG_PjSI_PS9_EESM_S12_SN_SO_SP_EUlS12_E0_NS1_11comp_targetILNS1_3genE2ELNS1_11target_archE906ELNS1_3gpuE6ELNS1_3repE0EEENS1_38merge_mergepath_config_static_selectorELNS0_4arch9wavefront6targetE0EEEvSO_.private_seg_size, 0
	.set _ZN7rocprim17ROCPRIM_400000_NS6detail17trampoline_kernelINS0_14default_configENS1_38merge_sort_block_merge_config_selectorIjN6thrust23THRUST_200600_302600_NS5tupleIffNS6_9null_typeES8_S8_S8_S8_S8_S8_S8_EEEEZZNS1_27merge_sort_block_merge_implIS3_NS6_6detail15normal_iteratorINS6_10device_ptrIjEEEENSD_INSE_IS9_EEEEjNS1_19radix_merge_compareILb0ELb0EjNS0_19identity_decomposerEEEEE10hipError_tT0_T1_T2_jT3_P12ihipStream_tbPNSt15iterator_traitsISN_E10value_typeEPNST_ISO_E10value_typeEPSP_NS1_7vsmem_tEENKUlT_SN_SO_SP_E_clISG_PjSI_PS9_EESM_S12_SN_SO_SP_EUlS12_E0_NS1_11comp_targetILNS1_3genE2ELNS1_11target_archE906ELNS1_3gpuE6ELNS1_3repE0EEENS1_38merge_mergepath_config_static_selectorELNS0_4arch9wavefront6targetE0EEEvSO_.uses_vcc, 0
	.set _ZN7rocprim17ROCPRIM_400000_NS6detail17trampoline_kernelINS0_14default_configENS1_38merge_sort_block_merge_config_selectorIjN6thrust23THRUST_200600_302600_NS5tupleIffNS6_9null_typeES8_S8_S8_S8_S8_S8_S8_EEEEZZNS1_27merge_sort_block_merge_implIS3_NS6_6detail15normal_iteratorINS6_10device_ptrIjEEEENSD_INSE_IS9_EEEEjNS1_19radix_merge_compareILb0ELb0EjNS0_19identity_decomposerEEEEE10hipError_tT0_T1_T2_jT3_P12ihipStream_tbPNSt15iterator_traitsISN_E10value_typeEPNST_ISO_E10value_typeEPSP_NS1_7vsmem_tEENKUlT_SN_SO_SP_E_clISG_PjSI_PS9_EESM_S12_SN_SO_SP_EUlS12_E0_NS1_11comp_targetILNS1_3genE2ELNS1_11target_archE906ELNS1_3gpuE6ELNS1_3repE0EEENS1_38merge_mergepath_config_static_selectorELNS0_4arch9wavefront6targetE0EEEvSO_.uses_flat_scratch, 0
	.set _ZN7rocprim17ROCPRIM_400000_NS6detail17trampoline_kernelINS0_14default_configENS1_38merge_sort_block_merge_config_selectorIjN6thrust23THRUST_200600_302600_NS5tupleIffNS6_9null_typeES8_S8_S8_S8_S8_S8_S8_EEEEZZNS1_27merge_sort_block_merge_implIS3_NS6_6detail15normal_iteratorINS6_10device_ptrIjEEEENSD_INSE_IS9_EEEEjNS1_19radix_merge_compareILb0ELb0EjNS0_19identity_decomposerEEEEE10hipError_tT0_T1_T2_jT3_P12ihipStream_tbPNSt15iterator_traitsISN_E10value_typeEPNST_ISO_E10value_typeEPSP_NS1_7vsmem_tEENKUlT_SN_SO_SP_E_clISG_PjSI_PS9_EESM_S12_SN_SO_SP_EUlS12_E0_NS1_11comp_targetILNS1_3genE2ELNS1_11target_archE906ELNS1_3gpuE6ELNS1_3repE0EEENS1_38merge_mergepath_config_static_selectorELNS0_4arch9wavefront6targetE0EEEvSO_.has_dyn_sized_stack, 0
	.set _ZN7rocprim17ROCPRIM_400000_NS6detail17trampoline_kernelINS0_14default_configENS1_38merge_sort_block_merge_config_selectorIjN6thrust23THRUST_200600_302600_NS5tupleIffNS6_9null_typeES8_S8_S8_S8_S8_S8_S8_EEEEZZNS1_27merge_sort_block_merge_implIS3_NS6_6detail15normal_iteratorINS6_10device_ptrIjEEEENSD_INSE_IS9_EEEEjNS1_19radix_merge_compareILb0ELb0EjNS0_19identity_decomposerEEEEE10hipError_tT0_T1_T2_jT3_P12ihipStream_tbPNSt15iterator_traitsISN_E10value_typeEPNST_ISO_E10value_typeEPSP_NS1_7vsmem_tEENKUlT_SN_SO_SP_E_clISG_PjSI_PS9_EESM_S12_SN_SO_SP_EUlS12_E0_NS1_11comp_targetILNS1_3genE2ELNS1_11target_archE906ELNS1_3gpuE6ELNS1_3repE0EEENS1_38merge_mergepath_config_static_selectorELNS0_4arch9wavefront6targetE0EEEvSO_.has_recursion, 0
	.set _ZN7rocprim17ROCPRIM_400000_NS6detail17trampoline_kernelINS0_14default_configENS1_38merge_sort_block_merge_config_selectorIjN6thrust23THRUST_200600_302600_NS5tupleIffNS6_9null_typeES8_S8_S8_S8_S8_S8_S8_EEEEZZNS1_27merge_sort_block_merge_implIS3_NS6_6detail15normal_iteratorINS6_10device_ptrIjEEEENSD_INSE_IS9_EEEEjNS1_19radix_merge_compareILb0ELb0EjNS0_19identity_decomposerEEEEE10hipError_tT0_T1_T2_jT3_P12ihipStream_tbPNSt15iterator_traitsISN_E10value_typeEPNST_ISO_E10value_typeEPSP_NS1_7vsmem_tEENKUlT_SN_SO_SP_E_clISG_PjSI_PS9_EESM_S12_SN_SO_SP_EUlS12_E0_NS1_11comp_targetILNS1_3genE2ELNS1_11target_archE906ELNS1_3gpuE6ELNS1_3repE0EEENS1_38merge_mergepath_config_static_selectorELNS0_4arch9wavefront6targetE0EEEvSO_.has_indirect_call, 0
	.section	.AMDGPU.csdata,"",@progbits
; Kernel info:
; codeLenInByte = 0
; TotalNumSgprs: 0
; NumVgprs: 0
; ScratchSize: 0
; MemoryBound: 0
; FloatMode: 240
; IeeeMode: 1
; LDSByteSize: 0 bytes/workgroup (compile time only)
; SGPRBlocks: 0
; VGPRBlocks: 0
; NumSGPRsForWavesPerEU: 1
; NumVGPRsForWavesPerEU: 1
; Occupancy: 16
; WaveLimiterHint : 0
; COMPUTE_PGM_RSRC2:SCRATCH_EN: 0
; COMPUTE_PGM_RSRC2:USER_SGPR: 6
; COMPUTE_PGM_RSRC2:TRAP_HANDLER: 0
; COMPUTE_PGM_RSRC2:TGID_X_EN: 1
; COMPUTE_PGM_RSRC2:TGID_Y_EN: 0
; COMPUTE_PGM_RSRC2:TGID_Z_EN: 0
; COMPUTE_PGM_RSRC2:TIDIG_COMP_CNT: 0
	.section	.text._ZN7rocprim17ROCPRIM_400000_NS6detail17trampoline_kernelINS0_14default_configENS1_38merge_sort_block_merge_config_selectorIjN6thrust23THRUST_200600_302600_NS5tupleIffNS6_9null_typeES8_S8_S8_S8_S8_S8_S8_EEEEZZNS1_27merge_sort_block_merge_implIS3_NS6_6detail15normal_iteratorINS6_10device_ptrIjEEEENSD_INSE_IS9_EEEEjNS1_19radix_merge_compareILb0ELb0EjNS0_19identity_decomposerEEEEE10hipError_tT0_T1_T2_jT3_P12ihipStream_tbPNSt15iterator_traitsISN_E10value_typeEPNST_ISO_E10value_typeEPSP_NS1_7vsmem_tEENKUlT_SN_SO_SP_E_clISG_PjSI_PS9_EESM_S12_SN_SO_SP_EUlS12_E0_NS1_11comp_targetILNS1_3genE9ELNS1_11target_archE1100ELNS1_3gpuE3ELNS1_3repE0EEENS1_38merge_mergepath_config_static_selectorELNS0_4arch9wavefront6targetE0EEEvSO_,"axG",@progbits,_ZN7rocprim17ROCPRIM_400000_NS6detail17trampoline_kernelINS0_14default_configENS1_38merge_sort_block_merge_config_selectorIjN6thrust23THRUST_200600_302600_NS5tupleIffNS6_9null_typeES8_S8_S8_S8_S8_S8_S8_EEEEZZNS1_27merge_sort_block_merge_implIS3_NS6_6detail15normal_iteratorINS6_10device_ptrIjEEEENSD_INSE_IS9_EEEEjNS1_19radix_merge_compareILb0ELb0EjNS0_19identity_decomposerEEEEE10hipError_tT0_T1_T2_jT3_P12ihipStream_tbPNSt15iterator_traitsISN_E10value_typeEPNST_ISO_E10value_typeEPSP_NS1_7vsmem_tEENKUlT_SN_SO_SP_E_clISG_PjSI_PS9_EESM_S12_SN_SO_SP_EUlS12_E0_NS1_11comp_targetILNS1_3genE9ELNS1_11target_archE1100ELNS1_3gpuE3ELNS1_3repE0EEENS1_38merge_mergepath_config_static_selectorELNS0_4arch9wavefront6targetE0EEEvSO_,comdat
	.protected	_ZN7rocprim17ROCPRIM_400000_NS6detail17trampoline_kernelINS0_14default_configENS1_38merge_sort_block_merge_config_selectorIjN6thrust23THRUST_200600_302600_NS5tupleIffNS6_9null_typeES8_S8_S8_S8_S8_S8_S8_EEEEZZNS1_27merge_sort_block_merge_implIS3_NS6_6detail15normal_iteratorINS6_10device_ptrIjEEEENSD_INSE_IS9_EEEEjNS1_19radix_merge_compareILb0ELb0EjNS0_19identity_decomposerEEEEE10hipError_tT0_T1_T2_jT3_P12ihipStream_tbPNSt15iterator_traitsISN_E10value_typeEPNST_ISO_E10value_typeEPSP_NS1_7vsmem_tEENKUlT_SN_SO_SP_E_clISG_PjSI_PS9_EESM_S12_SN_SO_SP_EUlS12_E0_NS1_11comp_targetILNS1_3genE9ELNS1_11target_archE1100ELNS1_3gpuE3ELNS1_3repE0EEENS1_38merge_mergepath_config_static_selectorELNS0_4arch9wavefront6targetE0EEEvSO_ ; -- Begin function _ZN7rocprim17ROCPRIM_400000_NS6detail17trampoline_kernelINS0_14default_configENS1_38merge_sort_block_merge_config_selectorIjN6thrust23THRUST_200600_302600_NS5tupleIffNS6_9null_typeES8_S8_S8_S8_S8_S8_S8_EEEEZZNS1_27merge_sort_block_merge_implIS3_NS6_6detail15normal_iteratorINS6_10device_ptrIjEEEENSD_INSE_IS9_EEEEjNS1_19radix_merge_compareILb0ELb0EjNS0_19identity_decomposerEEEEE10hipError_tT0_T1_T2_jT3_P12ihipStream_tbPNSt15iterator_traitsISN_E10value_typeEPNST_ISO_E10value_typeEPSP_NS1_7vsmem_tEENKUlT_SN_SO_SP_E_clISG_PjSI_PS9_EESM_S12_SN_SO_SP_EUlS12_E0_NS1_11comp_targetILNS1_3genE9ELNS1_11target_archE1100ELNS1_3gpuE3ELNS1_3repE0EEENS1_38merge_mergepath_config_static_selectorELNS0_4arch9wavefront6targetE0EEEvSO_
	.globl	_ZN7rocprim17ROCPRIM_400000_NS6detail17trampoline_kernelINS0_14default_configENS1_38merge_sort_block_merge_config_selectorIjN6thrust23THRUST_200600_302600_NS5tupleIffNS6_9null_typeES8_S8_S8_S8_S8_S8_S8_EEEEZZNS1_27merge_sort_block_merge_implIS3_NS6_6detail15normal_iteratorINS6_10device_ptrIjEEEENSD_INSE_IS9_EEEEjNS1_19radix_merge_compareILb0ELb0EjNS0_19identity_decomposerEEEEE10hipError_tT0_T1_T2_jT3_P12ihipStream_tbPNSt15iterator_traitsISN_E10value_typeEPNST_ISO_E10value_typeEPSP_NS1_7vsmem_tEENKUlT_SN_SO_SP_E_clISG_PjSI_PS9_EESM_S12_SN_SO_SP_EUlS12_E0_NS1_11comp_targetILNS1_3genE9ELNS1_11target_archE1100ELNS1_3gpuE3ELNS1_3repE0EEENS1_38merge_mergepath_config_static_selectorELNS0_4arch9wavefront6targetE0EEEvSO_
	.p2align	8
	.type	_ZN7rocprim17ROCPRIM_400000_NS6detail17trampoline_kernelINS0_14default_configENS1_38merge_sort_block_merge_config_selectorIjN6thrust23THRUST_200600_302600_NS5tupleIffNS6_9null_typeES8_S8_S8_S8_S8_S8_S8_EEEEZZNS1_27merge_sort_block_merge_implIS3_NS6_6detail15normal_iteratorINS6_10device_ptrIjEEEENSD_INSE_IS9_EEEEjNS1_19radix_merge_compareILb0ELb0EjNS0_19identity_decomposerEEEEE10hipError_tT0_T1_T2_jT3_P12ihipStream_tbPNSt15iterator_traitsISN_E10value_typeEPNST_ISO_E10value_typeEPSP_NS1_7vsmem_tEENKUlT_SN_SO_SP_E_clISG_PjSI_PS9_EESM_S12_SN_SO_SP_EUlS12_E0_NS1_11comp_targetILNS1_3genE9ELNS1_11target_archE1100ELNS1_3gpuE3ELNS1_3repE0EEENS1_38merge_mergepath_config_static_selectorELNS0_4arch9wavefront6targetE0EEEvSO_,@function
_ZN7rocprim17ROCPRIM_400000_NS6detail17trampoline_kernelINS0_14default_configENS1_38merge_sort_block_merge_config_selectorIjN6thrust23THRUST_200600_302600_NS5tupleIffNS6_9null_typeES8_S8_S8_S8_S8_S8_S8_EEEEZZNS1_27merge_sort_block_merge_implIS3_NS6_6detail15normal_iteratorINS6_10device_ptrIjEEEENSD_INSE_IS9_EEEEjNS1_19radix_merge_compareILb0ELb0EjNS0_19identity_decomposerEEEEE10hipError_tT0_T1_T2_jT3_P12ihipStream_tbPNSt15iterator_traitsISN_E10value_typeEPNST_ISO_E10value_typeEPSP_NS1_7vsmem_tEENKUlT_SN_SO_SP_E_clISG_PjSI_PS9_EESM_S12_SN_SO_SP_EUlS12_E0_NS1_11comp_targetILNS1_3genE9ELNS1_11target_archE1100ELNS1_3gpuE3ELNS1_3repE0EEENS1_38merge_mergepath_config_static_selectorELNS0_4arch9wavefront6targetE0EEEvSO_: ; @_ZN7rocprim17ROCPRIM_400000_NS6detail17trampoline_kernelINS0_14default_configENS1_38merge_sort_block_merge_config_selectorIjN6thrust23THRUST_200600_302600_NS5tupleIffNS6_9null_typeES8_S8_S8_S8_S8_S8_S8_EEEEZZNS1_27merge_sort_block_merge_implIS3_NS6_6detail15normal_iteratorINS6_10device_ptrIjEEEENSD_INSE_IS9_EEEEjNS1_19radix_merge_compareILb0ELb0EjNS0_19identity_decomposerEEEEE10hipError_tT0_T1_T2_jT3_P12ihipStream_tbPNSt15iterator_traitsISN_E10value_typeEPNST_ISO_E10value_typeEPSP_NS1_7vsmem_tEENKUlT_SN_SO_SP_E_clISG_PjSI_PS9_EESM_S12_SN_SO_SP_EUlS12_E0_NS1_11comp_targetILNS1_3genE9ELNS1_11target_archE1100ELNS1_3gpuE3ELNS1_3repE0EEENS1_38merge_mergepath_config_static_selectorELNS0_4arch9wavefront6targetE0EEEvSO_
; %bb.0:
	.section	.rodata,"a",@progbits
	.p2align	6, 0x0
	.amdhsa_kernel _ZN7rocprim17ROCPRIM_400000_NS6detail17trampoline_kernelINS0_14default_configENS1_38merge_sort_block_merge_config_selectorIjN6thrust23THRUST_200600_302600_NS5tupleIffNS6_9null_typeES8_S8_S8_S8_S8_S8_S8_EEEEZZNS1_27merge_sort_block_merge_implIS3_NS6_6detail15normal_iteratorINS6_10device_ptrIjEEEENSD_INSE_IS9_EEEEjNS1_19radix_merge_compareILb0ELb0EjNS0_19identity_decomposerEEEEE10hipError_tT0_T1_T2_jT3_P12ihipStream_tbPNSt15iterator_traitsISN_E10value_typeEPNST_ISO_E10value_typeEPSP_NS1_7vsmem_tEENKUlT_SN_SO_SP_E_clISG_PjSI_PS9_EESM_S12_SN_SO_SP_EUlS12_E0_NS1_11comp_targetILNS1_3genE9ELNS1_11target_archE1100ELNS1_3gpuE3ELNS1_3repE0EEENS1_38merge_mergepath_config_static_selectorELNS0_4arch9wavefront6targetE0EEEvSO_
		.amdhsa_group_segment_fixed_size 0
		.amdhsa_private_segment_fixed_size 0
		.amdhsa_kernarg_size 64
		.amdhsa_user_sgpr_count 6
		.amdhsa_user_sgpr_private_segment_buffer 1
		.amdhsa_user_sgpr_dispatch_ptr 0
		.amdhsa_user_sgpr_queue_ptr 0
		.amdhsa_user_sgpr_kernarg_segment_ptr 1
		.amdhsa_user_sgpr_dispatch_id 0
		.amdhsa_user_sgpr_flat_scratch_init 0
		.amdhsa_user_sgpr_private_segment_size 0
		.amdhsa_wavefront_size32 1
		.amdhsa_uses_dynamic_stack 0
		.amdhsa_system_sgpr_private_segment_wavefront_offset 0
		.amdhsa_system_sgpr_workgroup_id_x 1
		.amdhsa_system_sgpr_workgroup_id_y 0
		.amdhsa_system_sgpr_workgroup_id_z 0
		.amdhsa_system_sgpr_workgroup_info 0
		.amdhsa_system_vgpr_workitem_id 0
		.amdhsa_next_free_vgpr 1
		.amdhsa_next_free_sgpr 1
		.amdhsa_reserve_vcc 0
		.amdhsa_reserve_flat_scratch 0
		.amdhsa_float_round_mode_32 0
		.amdhsa_float_round_mode_16_64 0
		.amdhsa_float_denorm_mode_32 3
		.amdhsa_float_denorm_mode_16_64 3
		.amdhsa_dx10_clamp 1
		.amdhsa_ieee_mode 1
		.amdhsa_fp16_overflow 0
		.amdhsa_workgroup_processor_mode 1
		.amdhsa_memory_ordered 1
		.amdhsa_forward_progress 1
		.amdhsa_shared_vgpr_count 0
		.amdhsa_exception_fp_ieee_invalid_op 0
		.amdhsa_exception_fp_denorm_src 0
		.amdhsa_exception_fp_ieee_div_zero 0
		.amdhsa_exception_fp_ieee_overflow 0
		.amdhsa_exception_fp_ieee_underflow 0
		.amdhsa_exception_fp_ieee_inexact 0
		.amdhsa_exception_int_div_zero 0
	.end_amdhsa_kernel
	.section	.text._ZN7rocprim17ROCPRIM_400000_NS6detail17trampoline_kernelINS0_14default_configENS1_38merge_sort_block_merge_config_selectorIjN6thrust23THRUST_200600_302600_NS5tupleIffNS6_9null_typeES8_S8_S8_S8_S8_S8_S8_EEEEZZNS1_27merge_sort_block_merge_implIS3_NS6_6detail15normal_iteratorINS6_10device_ptrIjEEEENSD_INSE_IS9_EEEEjNS1_19radix_merge_compareILb0ELb0EjNS0_19identity_decomposerEEEEE10hipError_tT0_T1_T2_jT3_P12ihipStream_tbPNSt15iterator_traitsISN_E10value_typeEPNST_ISO_E10value_typeEPSP_NS1_7vsmem_tEENKUlT_SN_SO_SP_E_clISG_PjSI_PS9_EESM_S12_SN_SO_SP_EUlS12_E0_NS1_11comp_targetILNS1_3genE9ELNS1_11target_archE1100ELNS1_3gpuE3ELNS1_3repE0EEENS1_38merge_mergepath_config_static_selectorELNS0_4arch9wavefront6targetE0EEEvSO_,"axG",@progbits,_ZN7rocprim17ROCPRIM_400000_NS6detail17trampoline_kernelINS0_14default_configENS1_38merge_sort_block_merge_config_selectorIjN6thrust23THRUST_200600_302600_NS5tupleIffNS6_9null_typeES8_S8_S8_S8_S8_S8_S8_EEEEZZNS1_27merge_sort_block_merge_implIS3_NS6_6detail15normal_iteratorINS6_10device_ptrIjEEEENSD_INSE_IS9_EEEEjNS1_19radix_merge_compareILb0ELb0EjNS0_19identity_decomposerEEEEE10hipError_tT0_T1_T2_jT3_P12ihipStream_tbPNSt15iterator_traitsISN_E10value_typeEPNST_ISO_E10value_typeEPSP_NS1_7vsmem_tEENKUlT_SN_SO_SP_E_clISG_PjSI_PS9_EESM_S12_SN_SO_SP_EUlS12_E0_NS1_11comp_targetILNS1_3genE9ELNS1_11target_archE1100ELNS1_3gpuE3ELNS1_3repE0EEENS1_38merge_mergepath_config_static_selectorELNS0_4arch9wavefront6targetE0EEEvSO_,comdat
.Lfunc_end63:
	.size	_ZN7rocprim17ROCPRIM_400000_NS6detail17trampoline_kernelINS0_14default_configENS1_38merge_sort_block_merge_config_selectorIjN6thrust23THRUST_200600_302600_NS5tupleIffNS6_9null_typeES8_S8_S8_S8_S8_S8_S8_EEEEZZNS1_27merge_sort_block_merge_implIS3_NS6_6detail15normal_iteratorINS6_10device_ptrIjEEEENSD_INSE_IS9_EEEEjNS1_19radix_merge_compareILb0ELb0EjNS0_19identity_decomposerEEEEE10hipError_tT0_T1_T2_jT3_P12ihipStream_tbPNSt15iterator_traitsISN_E10value_typeEPNST_ISO_E10value_typeEPSP_NS1_7vsmem_tEENKUlT_SN_SO_SP_E_clISG_PjSI_PS9_EESM_S12_SN_SO_SP_EUlS12_E0_NS1_11comp_targetILNS1_3genE9ELNS1_11target_archE1100ELNS1_3gpuE3ELNS1_3repE0EEENS1_38merge_mergepath_config_static_selectorELNS0_4arch9wavefront6targetE0EEEvSO_, .Lfunc_end63-_ZN7rocprim17ROCPRIM_400000_NS6detail17trampoline_kernelINS0_14default_configENS1_38merge_sort_block_merge_config_selectorIjN6thrust23THRUST_200600_302600_NS5tupleIffNS6_9null_typeES8_S8_S8_S8_S8_S8_S8_EEEEZZNS1_27merge_sort_block_merge_implIS3_NS6_6detail15normal_iteratorINS6_10device_ptrIjEEEENSD_INSE_IS9_EEEEjNS1_19radix_merge_compareILb0ELb0EjNS0_19identity_decomposerEEEEE10hipError_tT0_T1_T2_jT3_P12ihipStream_tbPNSt15iterator_traitsISN_E10value_typeEPNST_ISO_E10value_typeEPSP_NS1_7vsmem_tEENKUlT_SN_SO_SP_E_clISG_PjSI_PS9_EESM_S12_SN_SO_SP_EUlS12_E0_NS1_11comp_targetILNS1_3genE9ELNS1_11target_archE1100ELNS1_3gpuE3ELNS1_3repE0EEENS1_38merge_mergepath_config_static_selectorELNS0_4arch9wavefront6targetE0EEEvSO_
                                        ; -- End function
	.set _ZN7rocprim17ROCPRIM_400000_NS6detail17trampoline_kernelINS0_14default_configENS1_38merge_sort_block_merge_config_selectorIjN6thrust23THRUST_200600_302600_NS5tupleIffNS6_9null_typeES8_S8_S8_S8_S8_S8_S8_EEEEZZNS1_27merge_sort_block_merge_implIS3_NS6_6detail15normal_iteratorINS6_10device_ptrIjEEEENSD_INSE_IS9_EEEEjNS1_19radix_merge_compareILb0ELb0EjNS0_19identity_decomposerEEEEE10hipError_tT0_T1_T2_jT3_P12ihipStream_tbPNSt15iterator_traitsISN_E10value_typeEPNST_ISO_E10value_typeEPSP_NS1_7vsmem_tEENKUlT_SN_SO_SP_E_clISG_PjSI_PS9_EESM_S12_SN_SO_SP_EUlS12_E0_NS1_11comp_targetILNS1_3genE9ELNS1_11target_archE1100ELNS1_3gpuE3ELNS1_3repE0EEENS1_38merge_mergepath_config_static_selectorELNS0_4arch9wavefront6targetE0EEEvSO_.num_vgpr, 0
	.set _ZN7rocprim17ROCPRIM_400000_NS6detail17trampoline_kernelINS0_14default_configENS1_38merge_sort_block_merge_config_selectorIjN6thrust23THRUST_200600_302600_NS5tupleIffNS6_9null_typeES8_S8_S8_S8_S8_S8_S8_EEEEZZNS1_27merge_sort_block_merge_implIS3_NS6_6detail15normal_iteratorINS6_10device_ptrIjEEEENSD_INSE_IS9_EEEEjNS1_19radix_merge_compareILb0ELb0EjNS0_19identity_decomposerEEEEE10hipError_tT0_T1_T2_jT3_P12ihipStream_tbPNSt15iterator_traitsISN_E10value_typeEPNST_ISO_E10value_typeEPSP_NS1_7vsmem_tEENKUlT_SN_SO_SP_E_clISG_PjSI_PS9_EESM_S12_SN_SO_SP_EUlS12_E0_NS1_11comp_targetILNS1_3genE9ELNS1_11target_archE1100ELNS1_3gpuE3ELNS1_3repE0EEENS1_38merge_mergepath_config_static_selectorELNS0_4arch9wavefront6targetE0EEEvSO_.num_agpr, 0
	.set _ZN7rocprim17ROCPRIM_400000_NS6detail17trampoline_kernelINS0_14default_configENS1_38merge_sort_block_merge_config_selectorIjN6thrust23THRUST_200600_302600_NS5tupleIffNS6_9null_typeES8_S8_S8_S8_S8_S8_S8_EEEEZZNS1_27merge_sort_block_merge_implIS3_NS6_6detail15normal_iteratorINS6_10device_ptrIjEEEENSD_INSE_IS9_EEEEjNS1_19radix_merge_compareILb0ELb0EjNS0_19identity_decomposerEEEEE10hipError_tT0_T1_T2_jT3_P12ihipStream_tbPNSt15iterator_traitsISN_E10value_typeEPNST_ISO_E10value_typeEPSP_NS1_7vsmem_tEENKUlT_SN_SO_SP_E_clISG_PjSI_PS9_EESM_S12_SN_SO_SP_EUlS12_E0_NS1_11comp_targetILNS1_3genE9ELNS1_11target_archE1100ELNS1_3gpuE3ELNS1_3repE0EEENS1_38merge_mergepath_config_static_selectorELNS0_4arch9wavefront6targetE0EEEvSO_.numbered_sgpr, 0
	.set _ZN7rocprim17ROCPRIM_400000_NS6detail17trampoline_kernelINS0_14default_configENS1_38merge_sort_block_merge_config_selectorIjN6thrust23THRUST_200600_302600_NS5tupleIffNS6_9null_typeES8_S8_S8_S8_S8_S8_S8_EEEEZZNS1_27merge_sort_block_merge_implIS3_NS6_6detail15normal_iteratorINS6_10device_ptrIjEEEENSD_INSE_IS9_EEEEjNS1_19radix_merge_compareILb0ELb0EjNS0_19identity_decomposerEEEEE10hipError_tT0_T1_T2_jT3_P12ihipStream_tbPNSt15iterator_traitsISN_E10value_typeEPNST_ISO_E10value_typeEPSP_NS1_7vsmem_tEENKUlT_SN_SO_SP_E_clISG_PjSI_PS9_EESM_S12_SN_SO_SP_EUlS12_E0_NS1_11comp_targetILNS1_3genE9ELNS1_11target_archE1100ELNS1_3gpuE3ELNS1_3repE0EEENS1_38merge_mergepath_config_static_selectorELNS0_4arch9wavefront6targetE0EEEvSO_.num_named_barrier, 0
	.set _ZN7rocprim17ROCPRIM_400000_NS6detail17trampoline_kernelINS0_14default_configENS1_38merge_sort_block_merge_config_selectorIjN6thrust23THRUST_200600_302600_NS5tupleIffNS6_9null_typeES8_S8_S8_S8_S8_S8_S8_EEEEZZNS1_27merge_sort_block_merge_implIS3_NS6_6detail15normal_iteratorINS6_10device_ptrIjEEEENSD_INSE_IS9_EEEEjNS1_19radix_merge_compareILb0ELb0EjNS0_19identity_decomposerEEEEE10hipError_tT0_T1_T2_jT3_P12ihipStream_tbPNSt15iterator_traitsISN_E10value_typeEPNST_ISO_E10value_typeEPSP_NS1_7vsmem_tEENKUlT_SN_SO_SP_E_clISG_PjSI_PS9_EESM_S12_SN_SO_SP_EUlS12_E0_NS1_11comp_targetILNS1_3genE9ELNS1_11target_archE1100ELNS1_3gpuE3ELNS1_3repE0EEENS1_38merge_mergepath_config_static_selectorELNS0_4arch9wavefront6targetE0EEEvSO_.private_seg_size, 0
	.set _ZN7rocprim17ROCPRIM_400000_NS6detail17trampoline_kernelINS0_14default_configENS1_38merge_sort_block_merge_config_selectorIjN6thrust23THRUST_200600_302600_NS5tupleIffNS6_9null_typeES8_S8_S8_S8_S8_S8_S8_EEEEZZNS1_27merge_sort_block_merge_implIS3_NS6_6detail15normal_iteratorINS6_10device_ptrIjEEEENSD_INSE_IS9_EEEEjNS1_19radix_merge_compareILb0ELb0EjNS0_19identity_decomposerEEEEE10hipError_tT0_T1_T2_jT3_P12ihipStream_tbPNSt15iterator_traitsISN_E10value_typeEPNST_ISO_E10value_typeEPSP_NS1_7vsmem_tEENKUlT_SN_SO_SP_E_clISG_PjSI_PS9_EESM_S12_SN_SO_SP_EUlS12_E0_NS1_11comp_targetILNS1_3genE9ELNS1_11target_archE1100ELNS1_3gpuE3ELNS1_3repE0EEENS1_38merge_mergepath_config_static_selectorELNS0_4arch9wavefront6targetE0EEEvSO_.uses_vcc, 0
	.set _ZN7rocprim17ROCPRIM_400000_NS6detail17trampoline_kernelINS0_14default_configENS1_38merge_sort_block_merge_config_selectorIjN6thrust23THRUST_200600_302600_NS5tupleIffNS6_9null_typeES8_S8_S8_S8_S8_S8_S8_EEEEZZNS1_27merge_sort_block_merge_implIS3_NS6_6detail15normal_iteratorINS6_10device_ptrIjEEEENSD_INSE_IS9_EEEEjNS1_19radix_merge_compareILb0ELb0EjNS0_19identity_decomposerEEEEE10hipError_tT0_T1_T2_jT3_P12ihipStream_tbPNSt15iterator_traitsISN_E10value_typeEPNST_ISO_E10value_typeEPSP_NS1_7vsmem_tEENKUlT_SN_SO_SP_E_clISG_PjSI_PS9_EESM_S12_SN_SO_SP_EUlS12_E0_NS1_11comp_targetILNS1_3genE9ELNS1_11target_archE1100ELNS1_3gpuE3ELNS1_3repE0EEENS1_38merge_mergepath_config_static_selectorELNS0_4arch9wavefront6targetE0EEEvSO_.uses_flat_scratch, 0
	.set _ZN7rocprim17ROCPRIM_400000_NS6detail17trampoline_kernelINS0_14default_configENS1_38merge_sort_block_merge_config_selectorIjN6thrust23THRUST_200600_302600_NS5tupleIffNS6_9null_typeES8_S8_S8_S8_S8_S8_S8_EEEEZZNS1_27merge_sort_block_merge_implIS3_NS6_6detail15normal_iteratorINS6_10device_ptrIjEEEENSD_INSE_IS9_EEEEjNS1_19radix_merge_compareILb0ELb0EjNS0_19identity_decomposerEEEEE10hipError_tT0_T1_T2_jT3_P12ihipStream_tbPNSt15iterator_traitsISN_E10value_typeEPNST_ISO_E10value_typeEPSP_NS1_7vsmem_tEENKUlT_SN_SO_SP_E_clISG_PjSI_PS9_EESM_S12_SN_SO_SP_EUlS12_E0_NS1_11comp_targetILNS1_3genE9ELNS1_11target_archE1100ELNS1_3gpuE3ELNS1_3repE0EEENS1_38merge_mergepath_config_static_selectorELNS0_4arch9wavefront6targetE0EEEvSO_.has_dyn_sized_stack, 0
	.set _ZN7rocprim17ROCPRIM_400000_NS6detail17trampoline_kernelINS0_14default_configENS1_38merge_sort_block_merge_config_selectorIjN6thrust23THRUST_200600_302600_NS5tupleIffNS6_9null_typeES8_S8_S8_S8_S8_S8_S8_EEEEZZNS1_27merge_sort_block_merge_implIS3_NS6_6detail15normal_iteratorINS6_10device_ptrIjEEEENSD_INSE_IS9_EEEEjNS1_19radix_merge_compareILb0ELb0EjNS0_19identity_decomposerEEEEE10hipError_tT0_T1_T2_jT3_P12ihipStream_tbPNSt15iterator_traitsISN_E10value_typeEPNST_ISO_E10value_typeEPSP_NS1_7vsmem_tEENKUlT_SN_SO_SP_E_clISG_PjSI_PS9_EESM_S12_SN_SO_SP_EUlS12_E0_NS1_11comp_targetILNS1_3genE9ELNS1_11target_archE1100ELNS1_3gpuE3ELNS1_3repE0EEENS1_38merge_mergepath_config_static_selectorELNS0_4arch9wavefront6targetE0EEEvSO_.has_recursion, 0
	.set _ZN7rocprim17ROCPRIM_400000_NS6detail17trampoline_kernelINS0_14default_configENS1_38merge_sort_block_merge_config_selectorIjN6thrust23THRUST_200600_302600_NS5tupleIffNS6_9null_typeES8_S8_S8_S8_S8_S8_S8_EEEEZZNS1_27merge_sort_block_merge_implIS3_NS6_6detail15normal_iteratorINS6_10device_ptrIjEEEENSD_INSE_IS9_EEEEjNS1_19radix_merge_compareILb0ELb0EjNS0_19identity_decomposerEEEEE10hipError_tT0_T1_T2_jT3_P12ihipStream_tbPNSt15iterator_traitsISN_E10value_typeEPNST_ISO_E10value_typeEPSP_NS1_7vsmem_tEENKUlT_SN_SO_SP_E_clISG_PjSI_PS9_EESM_S12_SN_SO_SP_EUlS12_E0_NS1_11comp_targetILNS1_3genE9ELNS1_11target_archE1100ELNS1_3gpuE3ELNS1_3repE0EEENS1_38merge_mergepath_config_static_selectorELNS0_4arch9wavefront6targetE0EEEvSO_.has_indirect_call, 0
	.section	.AMDGPU.csdata,"",@progbits
; Kernel info:
; codeLenInByte = 0
; TotalNumSgprs: 0
; NumVgprs: 0
; ScratchSize: 0
; MemoryBound: 0
; FloatMode: 240
; IeeeMode: 1
; LDSByteSize: 0 bytes/workgroup (compile time only)
; SGPRBlocks: 0
; VGPRBlocks: 0
; NumSGPRsForWavesPerEU: 1
; NumVGPRsForWavesPerEU: 1
; Occupancy: 16
; WaveLimiterHint : 0
; COMPUTE_PGM_RSRC2:SCRATCH_EN: 0
; COMPUTE_PGM_RSRC2:USER_SGPR: 6
; COMPUTE_PGM_RSRC2:TRAP_HANDLER: 0
; COMPUTE_PGM_RSRC2:TGID_X_EN: 1
; COMPUTE_PGM_RSRC2:TGID_Y_EN: 0
; COMPUTE_PGM_RSRC2:TGID_Z_EN: 0
; COMPUTE_PGM_RSRC2:TIDIG_COMP_CNT: 0
	.section	.text._ZN7rocprim17ROCPRIM_400000_NS6detail17trampoline_kernelINS0_14default_configENS1_38merge_sort_block_merge_config_selectorIjN6thrust23THRUST_200600_302600_NS5tupleIffNS6_9null_typeES8_S8_S8_S8_S8_S8_S8_EEEEZZNS1_27merge_sort_block_merge_implIS3_NS6_6detail15normal_iteratorINS6_10device_ptrIjEEEENSD_INSE_IS9_EEEEjNS1_19radix_merge_compareILb0ELb0EjNS0_19identity_decomposerEEEEE10hipError_tT0_T1_T2_jT3_P12ihipStream_tbPNSt15iterator_traitsISN_E10value_typeEPNST_ISO_E10value_typeEPSP_NS1_7vsmem_tEENKUlT_SN_SO_SP_E_clISG_PjSI_PS9_EESM_S12_SN_SO_SP_EUlS12_E0_NS1_11comp_targetILNS1_3genE8ELNS1_11target_archE1030ELNS1_3gpuE2ELNS1_3repE0EEENS1_38merge_mergepath_config_static_selectorELNS0_4arch9wavefront6targetE0EEEvSO_,"axG",@progbits,_ZN7rocprim17ROCPRIM_400000_NS6detail17trampoline_kernelINS0_14default_configENS1_38merge_sort_block_merge_config_selectorIjN6thrust23THRUST_200600_302600_NS5tupleIffNS6_9null_typeES8_S8_S8_S8_S8_S8_S8_EEEEZZNS1_27merge_sort_block_merge_implIS3_NS6_6detail15normal_iteratorINS6_10device_ptrIjEEEENSD_INSE_IS9_EEEEjNS1_19radix_merge_compareILb0ELb0EjNS0_19identity_decomposerEEEEE10hipError_tT0_T1_T2_jT3_P12ihipStream_tbPNSt15iterator_traitsISN_E10value_typeEPNST_ISO_E10value_typeEPSP_NS1_7vsmem_tEENKUlT_SN_SO_SP_E_clISG_PjSI_PS9_EESM_S12_SN_SO_SP_EUlS12_E0_NS1_11comp_targetILNS1_3genE8ELNS1_11target_archE1030ELNS1_3gpuE2ELNS1_3repE0EEENS1_38merge_mergepath_config_static_selectorELNS0_4arch9wavefront6targetE0EEEvSO_,comdat
	.protected	_ZN7rocprim17ROCPRIM_400000_NS6detail17trampoline_kernelINS0_14default_configENS1_38merge_sort_block_merge_config_selectorIjN6thrust23THRUST_200600_302600_NS5tupleIffNS6_9null_typeES8_S8_S8_S8_S8_S8_S8_EEEEZZNS1_27merge_sort_block_merge_implIS3_NS6_6detail15normal_iteratorINS6_10device_ptrIjEEEENSD_INSE_IS9_EEEEjNS1_19radix_merge_compareILb0ELb0EjNS0_19identity_decomposerEEEEE10hipError_tT0_T1_T2_jT3_P12ihipStream_tbPNSt15iterator_traitsISN_E10value_typeEPNST_ISO_E10value_typeEPSP_NS1_7vsmem_tEENKUlT_SN_SO_SP_E_clISG_PjSI_PS9_EESM_S12_SN_SO_SP_EUlS12_E0_NS1_11comp_targetILNS1_3genE8ELNS1_11target_archE1030ELNS1_3gpuE2ELNS1_3repE0EEENS1_38merge_mergepath_config_static_selectorELNS0_4arch9wavefront6targetE0EEEvSO_ ; -- Begin function _ZN7rocprim17ROCPRIM_400000_NS6detail17trampoline_kernelINS0_14default_configENS1_38merge_sort_block_merge_config_selectorIjN6thrust23THRUST_200600_302600_NS5tupleIffNS6_9null_typeES8_S8_S8_S8_S8_S8_S8_EEEEZZNS1_27merge_sort_block_merge_implIS3_NS6_6detail15normal_iteratorINS6_10device_ptrIjEEEENSD_INSE_IS9_EEEEjNS1_19radix_merge_compareILb0ELb0EjNS0_19identity_decomposerEEEEE10hipError_tT0_T1_T2_jT3_P12ihipStream_tbPNSt15iterator_traitsISN_E10value_typeEPNST_ISO_E10value_typeEPSP_NS1_7vsmem_tEENKUlT_SN_SO_SP_E_clISG_PjSI_PS9_EESM_S12_SN_SO_SP_EUlS12_E0_NS1_11comp_targetILNS1_3genE8ELNS1_11target_archE1030ELNS1_3gpuE2ELNS1_3repE0EEENS1_38merge_mergepath_config_static_selectorELNS0_4arch9wavefront6targetE0EEEvSO_
	.globl	_ZN7rocprim17ROCPRIM_400000_NS6detail17trampoline_kernelINS0_14default_configENS1_38merge_sort_block_merge_config_selectorIjN6thrust23THRUST_200600_302600_NS5tupleIffNS6_9null_typeES8_S8_S8_S8_S8_S8_S8_EEEEZZNS1_27merge_sort_block_merge_implIS3_NS6_6detail15normal_iteratorINS6_10device_ptrIjEEEENSD_INSE_IS9_EEEEjNS1_19radix_merge_compareILb0ELb0EjNS0_19identity_decomposerEEEEE10hipError_tT0_T1_T2_jT3_P12ihipStream_tbPNSt15iterator_traitsISN_E10value_typeEPNST_ISO_E10value_typeEPSP_NS1_7vsmem_tEENKUlT_SN_SO_SP_E_clISG_PjSI_PS9_EESM_S12_SN_SO_SP_EUlS12_E0_NS1_11comp_targetILNS1_3genE8ELNS1_11target_archE1030ELNS1_3gpuE2ELNS1_3repE0EEENS1_38merge_mergepath_config_static_selectorELNS0_4arch9wavefront6targetE0EEEvSO_
	.p2align	8
	.type	_ZN7rocprim17ROCPRIM_400000_NS6detail17trampoline_kernelINS0_14default_configENS1_38merge_sort_block_merge_config_selectorIjN6thrust23THRUST_200600_302600_NS5tupleIffNS6_9null_typeES8_S8_S8_S8_S8_S8_S8_EEEEZZNS1_27merge_sort_block_merge_implIS3_NS6_6detail15normal_iteratorINS6_10device_ptrIjEEEENSD_INSE_IS9_EEEEjNS1_19radix_merge_compareILb0ELb0EjNS0_19identity_decomposerEEEEE10hipError_tT0_T1_T2_jT3_P12ihipStream_tbPNSt15iterator_traitsISN_E10value_typeEPNST_ISO_E10value_typeEPSP_NS1_7vsmem_tEENKUlT_SN_SO_SP_E_clISG_PjSI_PS9_EESM_S12_SN_SO_SP_EUlS12_E0_NS1_11comp_targetILNS1_3genE8ELNS1_11target_archE1030ELNS1_3gpuE2ELNS1_3repE0EEENS1_38merge_mergepath_config_static_selectorELNS0_4arch9wavefront6targetE0EEEvSO_,@function
_ZN7rocprim17ROCPRIM_400000_NS6detail17trampoline_kernelINS0_14default_configENS1_38merge_sort_block_merge_config_selectorIjN6thrust23THRUST_200600_302600_NS5tupleIffNS6_9null_typeES8_S8_S8_S8_S8_S8_S8_EEEEZZNS1_27merge_sort_block_merge_implIS3_NS6_6detail15normal_iteratorINS6_10device_ptrIjEEEENSD_INSE_IS9_EEEEjNS1_19radix_merge_compareILb0ELb0EjNS0_19identity_decomposerEEEEE10hipError_tT0_T1_T2_jT3_P12ihipStream_tbPNSt15iterator_traitsISN_E10value_typeEPNST_ISO_E10value_typeEPSP_NS1_7vsmem_tEENKUlT_SN_SO_SP_E_clISG_PjSI_PS9_EESM_S12_SN_SO_SP_EUlS12_E0_NS1_11comp_targetILNS1_3genE8ELNS1_11target_archE1030ELNS1_3gpuE2ELNS1_3repE0EEENS1_38merge_mergepath_config_static_selectorELNS0_4arch9wavefront6targetE0EEEvSO_: ; @_ZN7rocprim17ROCPRIM_400000_NS6detail17trampoline_kernelINS0_14default_configENS1_38merge_sort_block_merge_config_selectorIjN6thrust23THRUST_200600_302600_NS5tupleIffNS6_9null_typeES8_S8_S8_S8_S8_S8_S8_EEEEZZNS1_27merge_sort_block_merge_implIS3_NS6_6detail15normal_iteratorINS6_10device_ptrIjEEEENSD_INSE_IS9_EEEEjNS1_19radix_merge_compareILb0ELb0EjNS0_19identity_decomposerEEEEE10hipError_tT0_T1_T2_jT3_P12ihipStream_tbPNSt15iterator_traitsISN_E10value_typeEPNST_ISO_E10value_typeEPSP_NS1_7vsmem_tEENKUlT_SN_SO_SP_E_clISG_PjSI_PS9_EESM_S12_SN_SO_SP_EUlS12_E0_NS1_11comp_targetILNS1_3genE8ELNS1_11target_archE1030ELNS1_3gpuE2ELNS1_3repE0EEENS1_38merge_mergepath_config_static_selectorELNS0_4arch9wavefront6targetE0EEEvSO_
; %bb.0:
	s_clause 0x1
	s_load_dwordx2 s[0:1], s[4:5], 0x40
	s_load_dword s2, s[4:5], 0x30
	s_waitcnt lgkmcnt(0)
	s_mul_i32 s1, s1, s8
	s_add_i32 s1, s1, s7
	s_mul_i32 s0, s1, s0
	s_add_i32 s0, s0, s6
	s_cmp_ge_u32 s0, s2
	s_cbranch_scc1 .LBB64_29
; %bb.1:
	s_clause 0x1
	s_load_dwordx8 s[8:15], s[4:5], 0x10
	s_load_dwordx2 s[2:3], s[4:5], 0x38
	s_mov_b32 s1, 0
	s_load_dwordx2 s[22:23], s[4:5], 0x8
	v_lshlrev_b32_e32 v3, 2, v0
                                        ; implicit-def: $vgpr1_vgpr2
	s_waitcnt lgkmcnt(0)
	s_lshr_b32 s26, s14, 10
	s_cmp_lg_u32 s0, s26
	s_cselect_b32 s16, -1, 0
	s_lshl_b64 s[6:7], s[0:1], 2
	s_add_u32 s2, s2, s6
	s_addc_u32 s3, s3, s7
	s_load_dwordx2 s[6:7], s[2:3], 0x0
	s_lshr_b32 s2, s15, 9
	s_and_b32 s2, s2, 0x7ffffe
	s_sub_i32 s3, 0, s2
	s_lshl_b32 s2, s0, 10
	s_and_b32 s4, s0, s3
	s_or_b32 s3, s0, s3
	s_lshl_b32 s5, s4, 11
	s_lshl_b32 s4, s4, 10
	s_add_i32 s5, s5, s15
	s_sub_i32 s17, s2, s4
	s_sub_i32 s4, s5, s4
	s_add_i32 s5, s5, s17
	s_min_u32 s17, s14, s4
	s_add_i32 s15, s4, s15
	s_waitcnt lgkmcnt(0)
	s_sub_i32 s4, s5, s6
	s_sub_i32 s5, s5, s7
	s_min_u32 s4, s14, s4
	s_add_i32 s18, s5, 0x400
	s_cmp_eq_u32 s3, -1
	s_mov_b32 s5, s1
	s_cselect_b32 s17, s17, s7
	s_mov_b32 s7, s1
	s_cselect_b32 s3, s15, s18
	s_lshl_b64 s[20:21], s[6:7], 2
	s_min_u32 s15, s3, s14
	s_sub_i32 s3, s17, s6
	s_add_u32 s19, s22, s20
	s_addc_u32 s20, s23, s21
	s_lshl_b64 s[24:25], s[4:5], 2
	s_add_u32 s17, s22, s24
	s_addc_u32 s18, s23, s25
	s_cmp_eq_u32 s0, s26
	s_mov_b32 s0, -1
	s_cbranch_scc0 .LBB64_7
; %bb.2:
	s_andn2_b32 vcc_lo, exec_lo, s0
	s_sub_i32 s15, s15, s4
	s_cbranch_vccz .LBB64_8
.LBB64_3:
                                        ; implicit-def: $vgpr5
	s_and_saveexec_b32 s0, s1
	s_cbranch_execz .LBB64_5
.LBB64_4:
	global_load_dword v5, v[1:2], off
.LBB64_5:
	s_or_b32 exec_lo, exec_lo, s0
	s_lshl_b64 s[0:1], s[6:7], 3
	v_mov_b32_e32 v2, 0
	s_add_u32 s6, s10, s0
	s_addc_u32 s7, s11, s1
	s_lshl_b64 s[0:1], s[4:5], 3
	v_lshlrev_b32_e32 v4, 3, v0
	s_add_u32 s4, s10, s0
	s_addc_u32 s5, s11, s1
	s_andn2_b32 vcc_lo, exec_lo, s16
	s_waitcnt vmcnt(0)
	ds_write_b32 v3, v5
	s_cbranch_vccnz .LBB64_11
; %bb.6:
	v_sub_co_u32 v1, vcc_lo, v0, s3
	v_add_co_u32 v6, s0, s6, v4
	v_add_co_ci_u32_e64 v7, null, s7, 0, s0
	v_lshlrev_b64 v[1:2], 3, v[1:2]
	s_add_i32 s1, s15, s3
	v_add_co_u32 v1, s0, s4, v1
	v_add_co_ci_u32_e64 v2, null, s5, v2, s0
	v_cndmask_b32_e32 v1, v1, v6, vcc_lo
	v_cndmask_b32_e32 v2, v2, v7, vcc_lo
	global_load_dwordx2 v[1:2], v[1:2], off
	s_cbranch_execz .LBB64_12
	s_branch .LBB64_15
.LBB64_7:
	v_sub_co_u32 v1, vcc_lo, v0, s3
	v_mov_b32_e32 v2, 0
	v_add_co_u32 v4, s0, s19, v3
	v_add_co_ci_u32_e64 v5, null, s20, 0, s0
	v_lshlrev_b64 v[1:2], 2, v[1:2]
	s_mov_b32 s1, -1
	v_add_co_u32 v1, s0, s17, v1
	v_add_co_ci_u32_e64 v2, null, s18, v2, s0
	v_cndmask_b32_e32 v1, v1, v4, vcc_lo
	v_cndmask_b32_e32 v2, v2, v5, vcc_lo
	s_sub_i32 s15, s15, s4
	s_cbranch_execnz .LBB64_3
.LBB64_8:
	s_add_i32 s0, s15, s3
	s_mov_b32 s21, exec_lo
                                        ; implicit-def: $vgpr1_vgpr2
	v_cmpx_gt_u32_e64 s0, v0
	s_cbranch_execz .LBB64_10
; %bb.9:
	v_sub_co_u32 v1, vcc_lo, v0, s3
	v_mov_b32_e32 v2, 0
	v_add_co_u32 v4, s0, s19, v3
	v_add_co_ci_u32_e64 v5, null, s20, 0, s0
	v_lshlrev_b64 v[1:2], 2, v[1:2]
	s_or_b32 s1, s1, exec_lo
	v_add_co_u32 v1, s0, s17, v1
	v_add_co_ci_u32_e64 v2, null, s18, v2, s0
	v_cndmask_b32_e32 v1, v1, v4, vcc_lo
	v_cndmask_b32_e32 v2, v2, v5, vcc_lo
.LBB64_10:
	s_or_b32 exec_lo, exec_lo, s21
                                        ; implicit-def: $vgpr5
	s_and_saveexec_b32 s0, s1
	s_cbranch_execnz .LBB64_4
	s_branch .LBB64_5
.LBB64_11:
                                        ; implicit-def: $vgpr1
                                        ; implicit-def: $sgpr1
.LBB64_12:
	s_waitcnt vmcnt(0)
	v_mov_b32_e32 v1, 0
	v_mov_b32_e32 v2, 0
	s_add_i32 s1, s15, s3
	s_mov_b32 s10, exec_lo
	v_cmpx_gt_u32_e64 s1, v0
	s_cbranch_execz .LBB64_14
; %bb.13:
	v_sub_co_u32 v1, vcc_lo, v0, s3
	v_mov_b32_e32 v2, 0
	v_add_co_u32 v6, s0, s6, v4
	v_add_co_ci_u32_e64 v7, null, s7, 0, s0
	v_lshlrev_b64 v[1:2], 3, v[1:2]
	v_add_co_u32 v1, s0, s4, v1
	v_add_co_ci_u32_e64 v2, null, s5, v2, s0
	v_cndmask_b32_e32 v1, v1, v6, vcc_lo
	v_cndmask_b32_e32 v2, v2, v7, vcc_lo
	global_load_dwordx2 v[1:2], v[1:2], off
.LBB64_14:
	s_or_b32 exec_lo, exec_lo, s10
.LBB64_15:
	v_min_u32_e32 v7, s1, v0
	s_mov_b32 s0, exec_lo
	s_waitcnt vmcnt(0) lgkmcnt(0)
	s_barrier
	buffer_gl0_inv
	v_sub_nc_u32_e64 v6, v7, s15 clamp
	v_min_u32_e32 v8, s3, v7
	v_cmpx_lt_u32_e64 v6, v8
	s_cbranch_execz .LBB64_19
; %bb.16:
	v_lshlrev_b32_e32 v9, 2, v7
	s_mov_b32 s4, 0
	v_lshl_add_u32 v9, s3, 2, v9
	.p2align	6
.LBB64_17:                              ; =>This Inner Loop Header: Depth=1
	v_add_nc_u32_e32 v10, v8, v6
	v_lshrrev_b32_e32 v10, 1, v10
	v_not_b32_e32 v11, v10
	v_lshlrev_b32_e32 v12, 2, v10
	v_add_nc_u32_e32 v13, 1, v10
	v_lshl_add_u32 v11, v11, 2, v9
	ds_read_b32 v12, v12
	ds_read_b32 v11, v11
	s_waitcnt lgkmcnt(0)
	v_cmp_gt_u32_e32 vcc_lo, v12, v11
	v_cndmask_b32_e32 v8, v8, v10, vcc_lo
	v_cndmask_b32_e32 v6, v13, v6, vcc_lo
	v_cmp_ge_u32_e32 vcc_lo, v6, v8
	s_or_b32 s4, vcc_lo, s4
	s_andn2_b32 exec_lo, exec_lo, s4
	s_cbranch_execnz .LBB64_17
; %bb.18:
	s_or_b32 exec_lo, exec_lo, s4
.LBB64_19:
	s_or_b32 exec_lo, exec_lo, s0
	v_sub_nc_u32_e32 v7, v7, v6
	v_cmp_ge_u32_e32 vcc_lo, s3, v6
	v_mov_b32_e32 v8, 0
	v_add_nc_u32_e32 v7, s3, v7
	v_cmp_ge_u32_e64 s0, s1, v7
	s_or_b32 s0, vcc_lo, s0
	s_and_saveexec_b32 s4, s0
	s_cbranch_execz .LBB64_25
; %bb.20:
	v_cmp_gt_u32_e32 vcc_lo, s3, v6
                                        ; implicit-def: $vgpr5
	s_and_saveexec_b32 s0, vcc_lo
; %bb.21:
	v_lshlrev_b32_e32 v5, 2, v6
	ds_read_b32 v5, v5
; %bb.22:
	s_or_b32 exec_lo, exec_lo, s0
	v_cmp_le_u32_e64 s0, s1, v7
	s_mov_b32 s3, exec_lo
                                        ; implicit-def: $vgpr9
	v_cmpx_gt_u32_e64 s1, v7
; %bb.23:
	v_lshlrev_b32_e32 v8, 2, v7
	ds_read_b32 v9, v8
; %bb.24:
	s_or_b32 exec_lo, exec_lo, s3
	s_waitcnt lgkmcnt(0)
	v_cmp_le_u32_e64 s1, v5, v9
	s_and_b32 s1, vcc_lo, s1
	s_or_b32 vcc_lo, s0, s1
	v_cndmask_b32_e32 v8, v7, v6, vcc_lo
	v_cndmask_b32_e32 v5, v9, v5, vcc_lo
.LBB64_25:
	s_or_b32 exec_lo, exec_lo, s4
	v_add_nc_u32_e32 v6, v3, v3
	v_lshlrev_b32_e32 v7, 3, v8
	s_barrier
	buffer_gl0_inv
	ds_write_b64 v6, v[1:2]
	s_waitcnt lgkmcnt(0)
	s_barrier
	buffer_gl0_inv
	ds_read_b64 v[1:2], v7
	s_mov_b32 s3, 0
	s_mov_b32 s1, -1
	s_and_b32 vcc_lo, exec_lo, s16
	s_mov_b32 s0, s3
	s_waitcnt lgkmcnt(0)
	s_barrier
	buffer_gl0_inv
	s_barrier
	buffer_gl0_inv
	ds_write_b32 v3, v5
	s_waitcnt lgkmcnt(0)
	s_cbranch_vccnz .LBB64_30
; %bb.26:
	s_andn2_b32 vcc_lo, exec_lo, s1
	s_cbranch_vccz .LBB64_31
.LBB64_27:
	s_and_saveexec_b32 s1, s0
	s_cbranch_execz .LBB64_29
.LBB64_28:
	ds_read_b64 v[0:1], v6
	s_lshl_b64 s[0:1], s[2:3], 3
	s_add_u32 s0, s12, s0
	s_addc_u32 s1, s13, s1
	s_waitcnt lgkmcnt(0)
	global_store_dwordx2 v4, v[0:1], s[0:1]
.LBB64_29:
	s_endpgm
.LBB64_30:
	s_barrier
	buffer_gl0_inv
	ds_read_b32 v5, v3
	s_lshl_b64 s[4:5], s[2:3], 2
	s_add_u32 s4, s8, s4
	s_addc_u32 s5, s9, s5
	s_mov_b32 s0, -1
	s_waitcnt lgkmcnt(0)
	global_store_dword v3, v5, s[4:5]
	s_waitcnt_vscnt null, 0x0
	s_barrier
	buffer_gl0_inv
	ds_write_b64 v6, v[1:2]
	s_waitcnt lgkmcnt(0)
	s_barrier
	buffer_gl0_inv
	s_cbranch_execnz .LBB64_27
.LBB64_31:
	s_sub_i32 s0, s14, s2
	s_barrier
	v_cmp_gt_u32_e64 s0, s0, v0
	buffer_gl0_inv
	s_and_saveexec_b32 s1, s0
	s_cbranch_execz .LBB64_33
; %bb.32:
	ds_read_b32 v0, v3
	s_lshl_b64 s[4:5], s[2:3], 2
	s_add_u32 s4, s8, s4
	s_addc_u32 s5, s9, s5
	s_waitcnt lgkmcnt(0)
	global_store_dword v3, v0, s[4:5]
.LBB64_33:
	s_or_b32 exec_lo, exec_lo, s1
	s_waitcnt_vscnt null, 0x0
	s_barrier
	buffer_gl0_inv
	ds_write_b64 v6, v[1:2]
	s_waitcnt lgkmcnt(0)
	s_barrier
	buffer_gl0_inv
	s_and_saveexec_b32 s1, s0
	s_cbranch_execnz .LBB64_28
	s_branch .LBB64_29
	.section	.rodata,"a",@progbits
	.p2align	6, 0x0
	.amdhsa_kernel _ZN7rocprim17ROCPRIM_400000_NS6detail17trampoline_kernelINS0_14default_configENS1_38merge_sort_block_merge_config_selectorIjN6thrust23THRUST_200600_302600_NS5tupleIffNS6_9null_typeES8_S8_S8_S8_S8_S8_S8_EEEEZZNS1_27merge_sort_block_merge_implIS3_NS6_6detail15normal_iteratorINS6_10device_ptrIjEEEENSD_INSE_IS9_EEEEjNS1_19radix_merge_compareILb0ELb0EjNS0_19identity_decomposerEEEEE10hipError_tT0_T1_T2_jT3_P12ihipStream_tbPNSt15iterator_traitsISN_E10value_typeEPNST_ISO_E10value_typeEPSP_NS1_7vsmem_tEENKUlT_SN_SO_SP_E_clISG_PjSI_PS9_EESM_S12_SN_SO_SP_EUlS12_E0_NS1_11comp_targetILNS1_3genE8ELNS1_11target_archE1030ELNS1_3gpuE2ELNS1_3repE0EEENS1_38merge_mergepath_config_static_selectorELNS0_4arch9wavefront6targetE0EEEvSO_
		.amdhsa_group_segment_fixed_size 8208
		.amdhsa_private_segment_fixed_size 0
		.amdhsa_kernarg_size 320
		.amdhsa_user_sgpr_count 6
		.amdhsa_user_sgpr_private_segment_buffer 1
		.amdhsa_user_sgpr_dispatch_ptr 0
		.amdhsa_user_sgpr_queue_ptr 0
		.amdhsa_user_sgpr_kernarg_segment_ptr 1
		.amdhsa_user_sgpr_dispatch_id 0
		.amdhsa_user_sgpr_flat_scratch_init 0
		.amdhsa_user_sgpr_private_segment_size 0
		.amdhsa_wavefront_size32 1
		.amdhsa_uses_dynamic_stack 0
		.amdhsa_system_sgpr_private_segment_wavefront_offset 0
		.amdhsa_system_sgpr_workgroup_id_x 1
		.amdhsa_system_sgpr_workgroup_id_y 1
		.amdhsa_system_sgpr_workgroup_id_z 1
		.amdhsa_system_sgpr_workgroup_info 0
		.amdhsa_system_vgpr_workitem_id 0
		.amdhsa_next_free_vgpr 14
		.amdhsa_next_free_sgpr 27
		.amdhsa_reserve_vcc 1
		.amdhsa_reserve_flat_scratch 0
		.amdhsa_float_round_mode_32 0
		.amdhsa_float_round_mode_16_64 0
		.amdhsa_float_denorm_mode_32 3
		.amdhsa_float_denorm_mode_16_64 3
		.amdhsa_dx10_clamp 1
		.amdhsa_ieee_mode 1
		.amdhsa_fp16_overflow 0
		.amdhsa_workgroup_processor_mode 1
		.amdhsa_memory_ordered 1
		.amdhsa_forward_progress 1
		.amdhsa_shared_vgpr_count 0
		.amdhsa_exception_fp_ieee_invalid_op 0
		.amdhsa_exception_fp_denorm_src 0
		.amdhsa_exception_fp_ieee_div_zero 0
		.amdhsa_exception_fp_ieee_overflow 0
		.amdhsa_exception_fp_ieee_underflow 0
		.amdhsa_exception_fp_ieee_inexact 0
		.amdhsa_exception_int_div_zero 0
	.end_amdhsa_kernel
	.section	.text._ZN7rocprim17ROCPRIM_400000_NS6detail17trampoline_kernelINS0_14default_configENS1_38merge_sort_block_merge_config_selectorIjN6thrust23THRUST_200600_302600_NS5tupleIffNS6_9null_typeES8_S8_S8_S8_S8_S8_S8_EEEEZZNS1_27merge_sort_block_merge_implIS3_NS6_6detail15normal_iteratorINS6_10device_ptrIjEEEENSD_INSE_IS9_EEEEjNS1_19radix_merge_compareILb0ELb0EjNS0_19identity_decomposerEEEEE10hipError_tT0_T1_T2_jT3_P12ihipStream_tbPNSt15iterator_traitsISN_E10value_typeEPNST_ISO_E10value_typeEPSP_NS1_7vsmem_tEENKUlT_SN_SO_SP_E_clISG_PjSI_PS9_EESM_S12_SN_SO_SP_EUlS12_E0_NS1_11comp_targetILNS1_3genE8ELNS1_11target_archE1030ELNS1_3gpuE2ELNS1_3repE0EEENS1_38merge_mergepath_config_static_selectorELNS0_4arch9wavefront6targetE0EEEvSO_,"axG",@progbits,_ZN7rocprim17ROCPRIM_400000_NS6detail17trampoline_kernelINS0_14default_configENS1_38merge_sort_block_merge_config_selectorIjN6thrust23THRUST_200600_302600_NS5tupleIffNS6_9null_typeES8_S8_S8_S8_S8_S8_S8_EEEEZZNS1_27merge_sort_block_merge_implIS3_NS6_6detail15normal_iteratorINS6_10device_ptrIjEEEENSD_INSE_IS9_EEEEjNS1_19radix_merge_compareILb0ELb0EjNS0_19identity_decomposerEEEEE10hipError_tT0_T1_T2_jT3_P12ihipStream_tbPNSt15iterator_traitsISN_E10value_typeEPNST_ISO_E10value_typeEPSP_NS1_7vsmem_tEENKUlT_SN_SO_SP_E_clISG_PjSI_PS9_EESM_S12_SN_SO_SP_EUlS12_E0_NS1_11comp_targetILNS1_3genE8ELNS1_11target_archE1030ELNS1_3gpuE2ELNS1_3repE0EEENS1_38merge_mergepath_config_static_selectorELNS0_4arch9wavefront6targetE0EEEvSO_,comdat
.Lfunc_end64:
	.size	_ZN7rocprim17ROCPRIM_400000_NS6detail17trampoline_kernelINS0_14default_configENS1_38merge_sort_block_merge_config_selectorIjN6thrust23THRUST_200600_302600_NS5tupleIffNS6_9null_typeES8_S8_S8_S8_S8_S8_S8_EEEEZZNS1_27merge_sort_block_merge_implIS3_NS6_6detail15normal_iteratorINS6_10device_ptrIjEEEENSD_INSE_IS9_EEEEjNS1_19radix_merge_compareILb0ELb0EjNS0_19identity_decomposerEEEEE10hipError_tT0_T1_T2_jT3_P12ihipStream_tbPNSt15iterator_traitsISN_E10value_typeEPNST_ISO_E10value_typeEPSP_NS1_7vsmem_tEENKUlT_SN_SO_SP_E_clISG_PjSI_PS9_EESM_S12_SN_SO_SP_EUlS12_E0_NS1_11comp_targetILNS1_3genE8ELNS1_11target_archE1030ELNS1_3gpuE2ELNS1_3repE0EEENS1_38merge_mergepath_config_static_selectorELNS0_4arch9wavefront6targetE0EEEvSO_, .Lfunc_end64-_ZN7rocprim17ROCPRIM_400000_NS6detail17trampoline_kernelINS0_14default_configENS1_38merge_sort_block_merge_config_selectorIjN6thrust23THRUST_200600_302600_NS5tupleIffNS6_9null_typeES8_S8_S8_S8_S8_S8_S8_EEEEZZNS1_27merge_sort_block_merge_implIS3_NS6_6detail15normal_iteratorINS6_10device_ptrIjEEEENSD_INSE_IS9_EEEEjNS1_19radix_merge_compareILb0ELb0EjNS0_19identity_decomposerEEEEE10hipError_tT0_T1_T2_jT3_P12ihipStream_tbPNSt15iterator_traitsISN_E10value_typeEPNST_ISO_E10value_typeEPSP_NS1_7vsmem_tEENKUlT_SN_SO_SP_E_clISG_PjSI_PS9_EESM_S12_SN_SO_SP_EUlS12_E0_NS1_11comp_targetILNS1_3genE8ELNS1_11target_archE1030ELNS1_3gpuE2ELNS1_3repE0EEENS1_38merge_mergepath_config_static_selectorELNS0_4arch9wavefront6targetE0EEEvSO_
                                        ; -- End function
	.set _ZN7rocprim17ROCPRIM_400000_NS6detail17trampoline_kernelINS0_14default_configENS1_38merge_sort_block_merge_config_selectorIjN6thrust23THRUST_200600_302600_NS5tupleIffNS6_9null_typeES8_S8_S8_S8_S8_S8_S8_EEEEZZNS1_27merge_sort_block_merge_implIS3_NS6_6detail15normal_iteratorINS6_10device_ptrIjEEEENSD_INSE_IS9_EEEEjNS1_19radix_merge_compareILb0ELb0EjNS0_19identity_decomposerEEEEE10hipError_tT0_T1_T2_jT3_P12ihipStream_tbPNSt15iterator_traitsISN_E10value_typeEPNST_ISO_E10value_typeEPSP_NS1_7vsmem_tEENKUlT_SN_SO_SP_E_clISG_PjSI_PS9_EESM_S12_SN_SO_SP_EUlS12_E0_NS1_11comp_targetILNS1_3genE8ELNS1_11target_archE1030ELNS1_3gpuE2ELNS1_3repE0EEENS1_38merge_mergepath_config_static_selectorELNS0_4arch9wavefront6targetE0EEEvSO_.num_vgpr, 14
	.set _ZN7rocprim17ROCPRIM_400000_NS6detail17trampoline_kernelINS0_14default_configENS1_38merge_sort_block_merge_config_selectorIjN6thrust23THRUST_200600_302600_NS5tupleIffNS6_9null_typeES8_S8_S8_S8_S8_S8_S8_EEEEZZNS1_27merge_sort_block_merge_implIS3_NS6_6detail15normal_iteratorINS6_10device_ptrIjEEEENSD_INSE_IS9_EEEEjNS1_19radix_merge_compareILb0ELb0EjNS0_19identity_decomposerEEEEE10hipError_tT0_T1_T2_jT3_P12ihipStream_tbPNSt15iterator_traitsISN_E10value_typeEPNST_ISO_E10value_typeEPSP_NS1_7vsmem_tEENKUlT_SN_SO_SP_E_clISG_PjSI_PS9_EESM_S12_SN_SO_SP_EUlS12_E0_NS1_11comp_targetILNS1_3genE8ELNS1_11target_archE1030ELNS1_3gpuE2ELNS1_3repE0EEENS1_38merge_mergepath_config_static_selectorELNS0_4arch9wavefront6targetE0EEEvSO_.num_agpr, 0
	.set _ZN7rocprim17ROCPRIM_400000_NS6detail17trampoline_kernelINS0_14default_configENS1_38merge_sort_block_merge_config_selectorIjN6thrust23THRUST_200600_302600_NS5tupleIffNS6_9null_typeES8_S8_S8_S8_S8_S8_S8_EEEEZZNS1_27merge_sort_block_merge_implIS3_NS6_6detail15normal_iteratorINS6_10device_ptrIjEEEENSD_INSE_IS9_EEEEjNS1_19radix_merge_compareILb0ELb0EjNS0_19identity_decomposerEEEEE10hipError_tT0_T1_T2_jT3_P12ihipStream_tbPNSt15iterator_traitsISN_E10value_typeEPNST_ISO_E10value_typeEPSP_NS1_7vsmem_tEENKUlT_SN_SO_SP_E_clISG_PjSI_PS9_EESM_S12_SN_SO_SP_EUlS12_E0_NS1_11comp_targetILNS1_3genE8ELNS1_11target_archE1030ELNS1_3gpuE2ELNS1_3repE0EEENS1_38merge_mergepath_config_static_selectorELNS0_4arch9wavefront6targetE0EEEvSO_.numbered_sgpr, 27
	.set _ZN7rocprim17ROCPRIM_400000_NS6detail17trampoline_kernelINS0_14default_configENS1_38merge_sort_block_merge_config_selectorIjN6thrust23THRUST_200600_302600_NS5tupleIffNS6_9null_typeES8_S8_S8_S8_S8_S8_S8_EEEEZZNS1_27merge_sort_block_merge_implIS3_NS6_6detail15normal_iteratorINS6_10device_ptrIjEEEENSD_INSE_IS9_EEEEjNS1_19radix_merge_compareILb0ELb0EjNS0_19identity_decomposerEEEEE10hipError_tT0_T1_T2_jT3_P12ihipStream_tbPNSt15iterator_traitsISN_E10value_typeEPNST_ISO_E10value_typeEPSP_NS1_7vsmem_tEENKUlT_SN_SO_SP_E_clISG_PjSI_PS9_EESM_S12_SN_SO_SP_EUlS12_E0_NS1_11comp_targetILNS1_3genE8ELNS1_11target_archE1030ELNS1_3gpuE2ELNS1_3repE0EEENS1_38merge_mergepath_config_static_selectorELNS0_4arch9wavefront6targetE0EEEvSO_.num_named_barrier, 0
	.set _ZN7rocprim17ROCPRIM_400000_NS6detail17trampoline_kernelINS0_14default_configENS1_38merge_sort_block_merge_config_selectorIjN6thrust23THRUST_200600_302600_NS5tupleIffNS6_9null_typeES8_S8_S8_S8_S8_S8_S8_EEEEZZNS1_27merge_sort_block_merge_implIS3_NS6_6detail15normal_iteratorINS6_10device_ptrIjEEEENSD_INSE_IS9_EEEEjNS1_19radix_merge_compareILb0ELb0EjNS0_19identity_decomposerEEEEE10hipError_tT0_T1_T2_jT3_P12ihipStream_tbPNSt15iterator_traitsISN_E10value_typeEPNST_ISO_E10value_typeEPSP_NS1_7vsmem_tEENKUlT_SN_SO_SP_E_clISG_PjSI_PS9_EESM_S12_SN_SO_SP_EUlS12_E0_NS1_11comp_targetILNS1_3genE8ELNS1_11target_archE1030ELNS1_3gpuE2ELNS1_3repE0EEENS1_38merge_mergepath_config_static_selectorELNS0_4arch9wavefront6targetE0EEEvSO_.private_seg_size, 0
	.set _ZN7rocprim17ROCPRIM_400000_NS6detail17trampoline_kernelINS0_14default_configENS1_38merge_sort_block_merge_config_selectorIjN6thrust23THRUST_200600_302600_NS5tupleIffNS6_9null_typeES8_S8_S8_S8_S8_S8_S8_EEEEZZNS1_27merge_sort_block_merge_implIS3_NS6_6detail15normal_iteratorINS6_10device_ptrIjEEEENSD_INSE_IS9_EEEEjNS1_19radix_merge_compareILb0ELb0EjNS0_19identity_decomposerEEEEE10hipError_tT0_T1_T2_jT3_P12ihipStream_tbPNSt15iterator_traitsISN_E10value_typeEPNST_ISO_E10value_typeEPSP_NS1_7vsmem_tEENKUlT_SN_SO_SP_E_clISG_PjSI_PS9_EESM_S12_SN_SO_SP_EUlS12_E0_NS1_11comp_targetILNS1_3genE8ELNS1_11target_archE1030ELNS1_3gpuE2ELNS1_3repE0EEENS1_38merge_mergepath_config_static_selectorELNS0_4arch9wavefront6targetE0EEEvSO_.uses_vcc, 1
	.set _ZN7rocprim17ROCPRIM_400000_NS6detail17trampoline_kernelINS0_14default_configENS1_38merge_sort_block_merge_config_selectorIjN6thrust23THRUST_200600_302600_NS5tupleIffNS6_9null_typeES8_S8_S8_S8_S8_S8_S8_EEEEZZNS1_27merge_sort_block_merge_implIS3_NS6_6detail15normal_iteratorINS6_10device_ptrIjEEEENSD_INSE_IS9_EEEEjNS1_19radix_merge_compareILb0ELb0EjNS0_19identity_decomposerEEEEE10hipError_tT0_T1_T2_jT3_P12ihipStream_tbPNSt15iterator_traitsISN_E10value_typeEPNST_ISO_E10value_typeEPSP_NS1_7vsmem_tEENKUlT_SN_SO_SP_E_clISG_PjSI_PS9_EESM_S12_SN_SO_SP_EUlS12_E0_NS1_11comp_targetILNS1_3genE8ELNS1_11target_archE1030ELNS1_3gpuE2ELNS1_3repE0EEENS1_38merge_mergepath_config_static_selectorELNS0_4arch9wavefront6targetE0EEEvSO_.uses_flat_scratch, 0
	.set _ZN7rocprim17ROCPRIM_400000_NS6detail17trampoline_kernelINS0_14default_configENS1_38merge_sort_block_merge_config_selectorIjN6thrust23THRUST_200600_302600_NS5tupleIffNS6_9null_typeES8_S8_S8_S8_S8_S8_S8_EEEEZZNS1_27merge_sort_block_merge_implIS3_NS6_6detail15normal_iteratorINS6_10device_ptrIjEEEENSD_INSE_IS9_EEEEjNS1_19radix_merge_compareILb0ELb0EjNS0_19identity_decomposerEEEEE10hipError_tT0_T1_T2_jT3_P12ihipStream_tbPNSt15iterator_traitsISN_E10value_typeEPNST_ISO_E10value_typeEPSP_NS1_7vsmem_tEENKUlT_SN_SO_SP_E_clISG_PjSI_PS9_EESM_S12_SN_SO_SP_EUlS12_E0_NS1_11comp_targetILNS1_3genE8ELNS1_11target_archE1030ELNS1_3gpuE2ELNS1_3repE0EEENS1_38merge_mergepath_config_static_selectorELNS0_4arch9wavefront6targetE0EEEvSO_.has_dyn_sized_stack, 0
	.set _ZN7rocprim17ROCPRIM_400000_NS6detail17trampoline_kernelINS0_14default_configENS1_38merge_sort_block_merge_config_selectorIjN6thrust23THRUST_200600_302600_NS5tupleIffNS6_9null_typeES8_S8_S8_S8_S8_S8_S8_EEEEZZNS1_27merge_sort_block_merge_implIS3_NS6_6detail15normal_iteratorINS6_10device_ptrIjEEEENSD_INSE_IS9_EEEEjNS1_19radix_merge_compareILb0ELb0EjNS0_19identity_decomposerEEEEE10hipError_tT0_T1_T2_jT3_P12ihipStream_tbPNSt15iterator_traitsISN_E10value_typeEPNST_ISO_E10value_typeEPSP_NS1_7vsmem_tEENKUlT_SN_SO_SP_E_clISG_PjSI_PS9_EESM_S12_SN_SO_SP_EUlS12_E0_NS1_11comp_targetILNS1_3genE8ELNS1_11target_archE1030ELNS1_3gpuE2ELNS1_3repE0EEENS1_38merge_mergepath_config_static_selectorELNS0_4arch9wavefront6targetE0EEEvSO_.has_recursion, 0
	.set _ZN7rocprim17ROCPRIM_400000_NS6detail17trampoline_kernelINS0_14default_configENS1_38merge_sort_block_merge_config_selectorIjN6thrust23THRUST_200600_302600_NS5tupleIffNS6_9null_typeES8_S8_S8_S8_S8_S8_S8_EEEEZZNS1_27merge_sort_block_merge_implIS3_NS6_6detail15normal_iteratorINS6_10device_ptrIjEEEENSD_INSE_IS9_EEEEjNS1_19radix_merge_compareILb0ELb0EjNS0_19identity_decomposerEEEEE10hipError_tT0_T1_T2_jT3_P12ihipStream_tbPNSt15iterator_traitsISN_E10value_typeEPNST_ISO_E10value_typeEPSP_NS1_7vsmem_tEENKUlT_SN_SO_SP_E_clISG_PjSI_PS9_EESM_S12_SN_SO_SP_EUlS12_E0_NS1_11comp_targetILNS1_3genE8ELNS1_11target_archE1030ELNS1_3gpuE2ELNS1_3repE0EEENS1_38merge_mergepath_config_static_selectorELNS0_4arch9wavefront6targetE0EEEvSO_.has_indirect_call, 0
	.section	.AMDGPU.csdata,"",@progbits
; Kernel info:
; codeLenInByte = 1356
; TotalNumSgprs: 29
; NumVgprs: 14
; ScratchSize: 0
; MemoryBound: 0
; FloatMode: 240
; IeeeMode: 1
; LDSByteSize: 8208 bytes/workgroup (compile time only)
; SGPRBlocks: 0
; VGPRBlocks: 1
; NumSGPRsForWavesPerEU: 29
; NumVGPRsForWavesPerEU: 14
; Occupancy: 16
; WaveLimiterHint : 1
; COMPUTE_PGM_RSRC2:SCRATCH_EN: 0
; COMPUTE_PGM_RSRC2:USER_SGPR: 6
; COMPUTE_PGM_RSRC2:TRAP_HANDLER: 0
; COMPUTE_PGM_RSRC2:TGID_X_EN: 1
; COMPUTE_PGM_RSRC2:TGID_Y_EN: 1
; COMPUTE_PGM_RSRC2:TGID_Z_EN: 1
; COMPUTE_PGM_RSRC2:TIDIG_COMP_CNT: 0
	.section	.text._ZN7rocprim17ROCPRIM_400000_NS6detail17trampoline_kernelINS0_14default_configENS1_38merge_sort_block_merge_config_selectorIjN6thrust23THRUST_200600_302600_NS5tupleIffNS6_9null_typeES8_S8_S8_S8_S8_S8_S8_EEEEZZNS1_27merge_sort_block_merge_implIS3_NS6_6detail15normal_iteratorINS6_10device_ptrIjEEEENSD_INSE_IS9_EEEEjNS1_19radix_merge_compareILb0ELb0EjNS0_19identity_decomposerEEEEE10hipError_tT0_T1_T2_jT3_P12ihipStream_tbPNSt15iterator_traitsISN_E10value_typeEPNST_ISO_E10value_typeEPSP_NS1_7vsmem_tEENKUlT_SN_SO_SP_E_clISG_PjSI_PS9_EESM_S12_SN_SO_SP_EUlS12_E1_NS1_11comp_targetILNS1_3genE0ELNS1_11target_archE4294967295ELNS1_3gpuE0ELNS1_3repE0EEENS1_36merge_oddeven_config_static_selectorELNS0_4arch9wavefront6targetE0EEEvSO_,"axG",@progbits,_ZN7rocprim17ROCPRIM_400000_NS6detail17trampoline_kernelINS0_14default_configENS1_38merge_sort_block_merge_config_selectorIjN6thrust23THRUST_200600_302600_NS5tupleIffNS6_9null_typeES8_S8_S8_S8_S8_S8_S8_EEEEZZNS1_27merge_sort_block_merge_implIS3_NS6_6detail15normal_iteratorINS6_10device_ptrIjEEEENSD_INSE_IS9_EEEEjNS1_19radix_merge_compareILb0ELb0EjNS0_19identity_decomposerEEEEE10hipError_tT0_T1_T2_jT3_P12ihipStream_tbPNSt15iterator_traitsISN_E10value_typeEPNST_ISO_E10value_typeEPSP_NS1_7vsmem_tEENKUlT_SN_SO_SP_E_clISG_PjSI_PS9_EESM_S12_SN_SO_SP_EUlS12_E1_NS1_11comp_targetILNS1_3genE0ELNS1_11target_archE4294967295ELNS1_3gpuE0ELNS1_3repE0EEENS1_36merge_oddeven_config_static_selectorELNS0_4arch9wavefront6targetE0EEEvSO_,comdat
	.protected	_ZN7rocprim17ROCPRIM_400000_NS6detail17trampoline_kernelINS0_14default_configENS1_38merge_sort_block_merge_config_selectorIjN6thrust23THRUST_200600_302600_NS5tupleIffNS6_9null_typeES8_S8_S8_S8_S8_S8_S8_EEEEZZNS1_27merge_sort_block_merge_implIS3_NS6_6detail15normal_iteratorINS6_10device_ptrIjEEEENSD_INSE_IS9_EEEEjNS1_19radix_merge_compareILb0ELb0EjNS0_19identity_decomposerEEEEE10hipError_tT0_T1_T2_jT3_P12ihipStream_tbPNSt15iterator_traitsISN_E10value_typeEPNST_ISO_E10value_typeEPSP_NS1_7vsmem_tEENKUlT_SN_SO_SP_E_clISG_PjSI_PS9_EESM_S12_SN_SO_SP_EUlS12_E1_NS1_11comp_targetILNS1_3genE0ELNS1_11target_archE4294967295ELNS1_3gpuE0ELNS1_3repE0EEENS1_36merge_oddeven_config_static_selectorELNS0_4arch9wavefront6targetE0EEEvSO_ ; -- Begin function _ZN7rocprim17ROCPRIM_400000_NS6detail17trampoline_kernelINS0_14default_configENS1_38merge_sort_block_merge_config_selectorIjN6thrust23THRUST_200600_302600_NS5tupleIffNS6_9null_typeES8_S8_S8_S8_S8_S8_S8_EEEEZZNS1_27merge_sort_block_merge_implIS3_NS6_6detail15normal_iteratorINS6_10device_ptrIjEEEENSD_INSE_IS9_EEEEjNS1_19radix_merge_compareILb0ELb0EjNS0_19identity_decomposerEEEEE10hipError_tT0_T1_T2_jT3_P12ihipStream_tbPNSt15iterator_traitsISN_E10value_typeEPNST_ISO_E10value_typeEPSP_NS1_7vsmem_tEENKUlT_SN_SO_SP_E_clISG_PjSI_PS9_EESM_S12_SN_SO_SP_EUlS12_E1_NS1_11comp_targetILNS1_3genE0ELNS1_11target_archE4294967295ELNS1_3gpuE0ELNS1_3repE0EEENS1_36merge_oddeven_config_static_selectorELNS0_4arch9wavefront6targetE0EEEvSO_
	.globl	_ZN7rocprim17ROCPRIM_400000_NS6detail17trampoline_kernelINS0_14default_configENS1_38merge_sort_block_merge_config_selectorIjN6thrust23THRUST_200600_302600_NS5tupleIffNS6_9null_typeES8_S8_S8_S8_S8_S8_S8_EEEEZZNS1_27merge_sort_block_merge_implIS3_NS6_6detail15normal_iteratorINS6_10device_ptrIjEEEENSD_INSE_IS9_EEEEjNS1_19radix_merge_compareILb0ELb0EjNS0_19identity_decomposerEEEEE10hipError_tT0_T1_T2_jT3_P12ihipStream_tbPNSt15iterator_traitsISN_E10value_typeEPNST_ISO_E10value_typeEPSP_NS1_7vsmem_tEENKUlT_SN_SO_SP_E_clISG_PjSI_PS9_EESM_S12_SN_SO_SP_EUlS12_E1_NS1_11comp_targetILNS1_3genE0ELNS1_11target_archE4294967295ELNS1_3gpuE0ELNS1_3repE0EEENS1_36merge_oddeven_config_static_selectorELNS0_4arch9wavefront6targetE0EEEvSO_
	.p2align	8
	.type	_ZN7rocprim17ROCPRIM_400000_NS6detail17trampoline_kernelINS0_14default_configENS1_38merge_sort_block_merge_config_selectorIjN6thrust23THRUST_200600_302600_NS5tupleIffNS6_9null_typeES8_S8_S8_S8_S8_S8_S8_EEEEZZNS1_27merge_sort_block_merge_implIS3_NS6_6detail15normal_iteratorINS6_10device_ptrIjEEEENSD_INSE_IS9_EEEEjNS1_19radix_merge_compareILb0ELb0EjNS0_19identity_decomposerEEEEE10hipError_tT0_T1_T2_jT3_P12ihipStream_tbPNSt15iterator_traitsISN_E10value_typeEPNST_ISO_E10value_typeEPSP_NS1_7vsmem_tEENKUlT_SN_SO_SP_E_clISG_PjSI_PS9_EESM_S12_SN_SO_SP_EUlS12_E1_NS1_11comp_targetILNS1_3genE0ELNS1_11target_archE4294967295ELNS1_3gpuE0ELNS1_3repE0EEENS1_36merge_oddeven_config_static_selectorELNS0_4arch9wavefront6targetE0EEEvSO_,@function
_ZN7rocprim17ROCPRIM_400000_NS6detail17trampoline_kernelINS0_14default_configENS1_38merge_sort_block_merge_config_selectorIjN6thrust23THRUST_200600_302600_NS5tupleIffNS6_9null_typeES8_S8_S8_S8_S8_S8_S8_EEEEZZNS1_27merge_sort_block_merge_implIS3_NS6_6detail15normal_iteratorINS6_10device_ptrIjEEEENSD_INSE_IS9_EEEEjNS1_19radix_merge_compareILb0ELb0EjNS0_19identity_decomposerEEEEE10hipError_tT0_T1_T2_jT3_P12ihipStream_tbPNSt15iterator_traitsISN_E10value_typeEPNST_ISO_E10value_typeEPSP_NS1_7vsmem_tEENKUlT_SN_SO_SP_E_clISG_PjSI_PS9_EESM_S12_SN_SO_SP_EUlS12_E1_NS1_11comp_targetILNS1_3genE0ELNS1_11target_archE4294967295ELNS1_3gpuE0ELNS1_3repE0EEENS1_36merge_oddeven_config_static_selectorELNS0_4arch9wavefront6targetE0EEEvSO_: ; @_ZN7rocprim17ROCPRIM_400000_NS6detail17trampoline_kernelINS0_14default_configENS1_38merge_sort_block_merge_config_selectorIjN6thrust23THRUST_200600_302600_NS5tupleIffNS6_9null_typeES8_S8_S8_S8_S8_S8_S8_EEEEZZNS1_27merge_sort_block_merge_implIS3_NS6_6detail15normal_iteratorINS6_10device_ptrIjEEEENSD_INSE_IS9_EEEEjNS1_19radix_merge_compareILb0ELb0EjNS0_19identity_decomposerEEEEE10hipError_tT0_T1_T2_jT3_P12ihipStream_tbPNSt15iterator_traitsISN_E10value_typeEPNST_ISO_E10value_typeEPSP_NS1_7vsmem_tEENKUlT_SN_SO_SP_E_clISG_PjSI_PS9_EESM_S12_SN_SO_SP_EUlS12_E1_NS1_11comp_targetILNS1_3genE0ELNS1_11target_archE4294967295ELNS1_3gpuE0ELNS1_3repE0EEENS1_36merge_oddeven_config_static_selectorELNS0_4arch9wavefront6targetE0EEEvSO_
; %bb.0:
	.section	.rodata,"a",@progbits
	.p2align	6, 0x0
	.amdhsa_kernel _ZN7rocprim17ROCPRIM_400000_NS6detail17trampoline_kernelINS0_14default_configENS1_38merge_sort_block_merge_config_selectorIjN6thrust23THRUST_200600_302600_NS5tupleIffNS6_9null_typeES8_S8_S8_S8_S8_S8_S8_EEEEZZNS1_27merge_sort_block_merge_implIS3_NS6_6detail15normal_iteratorINS6_10device_ptrIjEEEENSD_INSE_IS9_EEEEjNS1_19radix_merge_compareILb0ELb0EjNS0_19identity_decomposerEEEEE10hipError_tT0_T1_T2_jT3_P12ihipStream_tbPNSt15iterator_traitsISN_E10value_typeEPNST_ISO_E10value_typeEPSP_NS1_7vsmem_tEENKUlT_SN_SO_SP_E_clISG_PjSI_PS9_EESM_S12_SN_SO_SP_EUlS12_E1_NS1_11comp_targetILNS1_3genE0ELNS1_11target_archE4294967295ELNS1_3gpuE0ELNS1_3repE0EEENS1_36merge_oddeven_config_static_selectorELNS0_4arch9wavefront6targetE0EEEvSO_
		.amdhsa_group_segment_fixed_size 0
		.amdhsa_private_segment_fixed_size 0
		.amdhsa_kernarg_size 48
		.amdhsa_user_sgpr_count 6
		.amdhsa_user_sgpr_private_segment_buffer 1
		.amdhsa_user_sgpr_dispatch_ptr 0
		.amdhsa_user_sgpr_queue_ptr 0
		.amdhsa_user_sgpr_kernarg_segment_ptr 1
		.amdhsa_user_sgpr_dispatch_id 0
		.amdhsa_user_sgpr_flat_scratch_init 0
		.amdhsa_user_sgpr_private_segment_size 0
		.amdhsa_wavefront_size32 1
		.amdhsa_uses_dynamic_stack 0
		.amdhsa_system_sgpr_private_segment_wavefront_offset 0
		.amdhsa_system_sgpr_workgroup_id_x 1
		.amdhsa_system_sgpr_workgroup_id_y 0
		.amdhsa_system_sgpr_workgroup_id_z 0
		.amdhsa_system_sgpr_workgroup_info 0
		.amdhsa_system_vgpr_workitem_id 0
		.amdhsa_next_free_vgpr 1
		.amdhsa_next_free_sgpr 1
		.amdhsa_reserve_vcc 0
		.amdhsa_reserve_flat_scratch 0
		.amdhsa_float_round_mode_32 0
		.amdhsa_float_round_mode_16_64 0
		.amdhsa_float_denorm_mode_32 3
		.amdhsa_float_denorm_mode_16_64 3
		.amdhsa_dx10_clamp 1
		.amdhsa_ieee_mode 1
		.amdhsa_fp16_overflow 0
		.amdhsa_workgroup_processor_mode 1
		.amdhsa_memory_ordered 1
		.amdhsa_forward_progress 1
		.amdhsa_shared_vgpr_count 0
		.amdhsa_exception_fp_ieee_invalid_op 0
		.amdhsa_exception_fp_denorm_src 0
		.amdhsa_exception_fp_ieee_div_zero 0
		.amdhsa_exception_fp_ieee_overflow 0
		.amdhsa_exception_fp_ieee_underflow 0
		.amdhsa_exception_fp_ieee_inexact 0
		.amdhsa_exception_int_div_zero 0
	.end_amdhsa_kernel
	.section	.text._ZN7rocprim17ROCPRIM_400000_NS6detail17trampoline_kernelINS0_14default_configENS1_38merge_sort_block_merge_config_selectorIjN6thrust23THRUST_200600_302600_NS5tupleIffNS6_9null_typeES8_S8_S8_S8_S8_S8_S8_EEEEZZNS1_27merge_sort_block_merge_implIS3_NS6_6detail15normal_iteratorINS6_10device_ptrIjEEEENSD_INSE_IS9_EEEEjNS1_19radix_merge_compareILb0ELb0EjNS0_19identity_decomposerEEEEE10hipError_tT0_T1_T2_jT3_P12ihipStream_tbPNSt15iterator_traitsISN_E10value_typeEPNST_ISO_E10value_typeEPSP_NS1_7vsmem_tEENKUlT_SN_SO_SP_E_clISG_PjSI_PS9_EESM_S12_SN_SO_SP_EUlS12_E1_NS1_11comp_targetILNS1_3genE0ELNS1_11target_archE4294967295ELNS1_3gpuE0ELNS1_3repE0EEENS1_36merge_oddeven_config_static_selectorELNS0_4arch9wavefront6targetE0EEEvSO_,"axG",@progbits,_ZN7rocprim17ROCPRIM_400000_NS6detail17trampoline_kernelINS0_14default_configENS1_38merge_sort_block_merge_config_selectorIjN6thrust23THRUST_200600_302600_NS5tupleIffNS6_9null_typeES8_S8_S8_S8_S8_S8_S8_EEEEZZNS1_27merge_sort_block_merge_implIS3_NS6_6detail15normal_iteratorINS6_10device_ptrIjEEEENSD_INSE_IS9_EEEEjNS1_19radix_merge_compareILb0ELb0EjNS0_19identity_decomposerEEEEE10hipError_tT0_T1_T2_jT3_P12ihipStream_tbPNSt15iterator_traitsISN_E10value_typeEPNST_ISO_E10value_typeEPSP_NS1_7vsmem_tEENKUlT_SN_SO_SP_E_clISG_PjSI_PS9_EESM_S12_SN_SO_SP_EUlS12_E1_NS1_11comp_targetILNS1_3genE0ELNS1_11target_archE4294967295ELNS1_3gpuE0ELNS1_3repE0EEENS1_36merge_oddeven_config_static_selectorELNS0_4arch9wavefront6targetE0EEEvSO_,comdat
.Lfunc_end65:
	.size	_ZN7rocprim17ROCPRIM_400000_NS6detail17trampoline_kernelINS0_14default_configENS1_38merge_sort_block_merge_config_selectorIjN6thrust23THRUST_200600_302600_NS5tupleIffNS6_9null_typeES8_S8_S8_S8_S8_S8_S8_EEEEZZNS1_27merge_sort_block_merge_implIS3_NS6_6detail15normal_iteratorINS6_10device_ptrIjEEEENSD_INSE_IS9_EEEEjNS1_19radix_merge_compareILb0ELb0EjNS0_19identity_decomposerEEEEE10hipError_tT0_T1_T2_jT3_P12ihipStream_tbPNSt15iterator_traitsISN_E10value_typeEPNST_ISO_E10value_typeEPSP_NS1_7vsmem_tEENKUlT_SN_SO_SP_E_clISG_PjSI_PS9_EESM_S12_SN_SO_SP_EUlS12_E1_NS1_11comp_targetILNS1_3genE0ELNS1_11target_archE4294967295ELNS1_3gpuE0ELNS1_3repE0EEENS1_36merge_oddeven_config_static_selectorELNS0_4arch9wavefront6targetE0EEEvSO_, .Lfunc_end65-_ZN7rocprim17ROCPRIM_400000_NS6detail17trampoline_kernelINS0_14default_configENS1_38merge_sort_block_merge_config_selectorIjN6thrust23THRUST_200600_302600_NS5tupleIffNS6_9null_typeES8_S8_S8_S8_S8_S8_S8_EEEEZZNS1_27merge_sort_block_merge_implIS3_NS6_6detail15normal_iteratorINS6_10device_ptrIjEEEENSD_INSE_IS9_EEEEjNS1_19radix_merge_compareILb0ELb0EjNS0_19identity_decomposerEEEEE10hipError_tT0_T1_T2_jT3_P12ihipStream_tbPNSt15iterator_traitsISN_E10value_typeEPNST_ISO_E10value_typeEPSP_NS1_7vsmem_tEENKUlT_SN_SO_SP_E_clISG_PjSI_PS9_EESM_S12_SN_SO_SP_EUlS12_E1_NS1_11comp_targetILNS1_3genE0ELNS1_11target_archE4294967295ELNS1_3gpuE0ELNS1_3repE0EEENS1_36merge_oddeven_config_static_selectorELNS0_4arch9wavefront6targetE0EEEvSO_
                                        ; -- End function
	.set _ZN7rocprim17ROCPRIM_400000_NS6detail17trampoline_kernelINS0_14default_configENS1_38merge_sort_block_merge_config_selectorIjN6thrust23THRUST_200600_302600_NS5tupleIffNS6_9null_typeES8_S8_S8_S8_S8_S8_S8_EEEEZZNS1_27merge_sort_block_merge_implIS3_NS6_6detail15normal_iteratorINS6_10device_ptrIjEEEENSD_INSE_IS9_EEEEjNS1_19radix_merge_compareILb0ELb0EjNS0_19identity_decomposerEEEEE10hipError_tT0_T1_T2_jT3_P12ihipStream_tbPNSt15iterator_traitsISN_E10value_typeEPNST_ISO_E10value_typeEPSP_NS1_7vsmem_tEENKUlT_SN_SO_SP_E_clISG_PjSI_PS9_EESM_S12_SN_SO_SP_EUlS12_E1_NS1_11comp_targetILNS1_3genE0ELNS1_11target_archE4294967295ELNS1_3gpuE0ELNS1_3repE0EEENS1_36merge_oddeven_config_static_selectorELNS0_4arch9wavefront6targetE0EEEvSO_.num_vgpr, 0
	.set _ZN7rocprim17ROCPRIM_400000_NS6detail17trampoline_kernelINS0_14default_configENS1_38merge_sort_block_merge_config_selectorIjN6thrust23THRUST_200600_302600_NS5tupleIffNS6_9null_typeES8_S8_S8_S8_S8_S8_S8_EEEEZZNS1_27merge_sort_block_merge_implIS3_NS6_6detail15normal_iteratorINS6_10device_ptrIjEEEENSD_INSE_IS9_EEEEjNS1_19radix_merge_compareILb0ELb0EjNS0_19identity_decomposerEEEEE10hipError_tT0_T1_T2_jT3_P12ihipStream_tbPNSt15iterator_traitsISN_E10value_typeEPNST_ISO_E10value_typeEPSP_NS1_7vsmem_tEENKUlT_SN_SO_SP_E_clISG_PjSI_PS9_EESM_S12_SN_SO_SP_EUlS12_E1_NS1_11comp_targetILNS1_3genE0ELNS1_11target_archE4294967295ELNS1_3gpuE0ELNS1_3repE0EEENS1_36merge_oddeven_config_static_selectorELNS0_4arch9wavefront6targetE0EEEvSO_.num_agpr, 0
	.set _ZN7rocprim17ROCPRIM_400000_NS6detail17trampoline_kernelINS0_14default_configENS1_38merge_sort_block_merge_config_selectorIjN6thrust23THRUST_200600_302600_NS5tupleIffNS6_9null_typeES8_S8_S8_S8_S8_S8_S8_EEEEZZNS1_27merge_sort_block_merge_implIS3_NS6_6detail15normal_iteratorINS6_10device_ptrIjEEEENSD_INSE_IS9_EEEEjNS1_19radix_merge_compareILb0ELb0EjNS0_19identity_decomposerEEEEE10hipError_tT0_T1_T2_jT3_P12ihipStream_tbPNSt15iterator_traitsISN_E10value_typeEPNST_ISO_E10value_typeEPSP_NS1_7vsmem_tEENKUlT_SN_SO_SP_E_clISG_PjSI_PS9_EESM_S12_SN_SO_SP_EUlS12_E1_NS1_11comp_targetILNS1_3genE0ELNS1_11target_archE4294967295ELNS1_3gpuE0ELNS1_3repE0EEENS1_36merge_oddeven_config_static_selectorELNS0_4arch9wavefront6targetE0EEEvSO_.numbered_sgpr, 0
	.set _ZN7rocprim17ROCPRIM_400000_NS6detail17trampoline_kernelINS0_14default_configENS1_38merge_sort_block_merge_config_selectorIjN6thrust23THRUST_200600_302600_NS5tupleIffNS6_9null_typeES8_S8_S8_S8_S8_S8_S8_EEEEZZNS1_27merge_sort_block_merge_implIS3_NS6_6detail15normal_iteratorINS6_10device_ptrIjEEEENSD_INSE_IS9_EEEEjNS1_19radix_merge_compareILb0ELb0EjNS0_19identity_decomposerEEEEE10hipError_tT0_T1_T2_jT3_P12ihipStream_tbPNSt15iterator_traitsISN_E10value_typeEPNST_ISO_E10value_typeEPSP_NS1_7vsmem_tEENKUlT_SN_SO_SP_E_clISG_PjSI_PS9_EESM_S12_SN_SO_SP_EUlS12_E1_NS1_11comp_targetILNS1_3genE0ELNS1_11target_archE4294967295ELNS1_3gpuE0ELNS1_3repE0EEENS1_36merge_oddeven_config_static_selectorELNS0_4arch9wavefront6targetE0EEEvSO_.num_named_barrier, 0
	.set _ZN7rocprim17ROCPRIM_400000_NS6detail17trampoline_kernelINS0_14default_configENS1_38merge_sort_block_merge_config_selectorIjN6thrust23THRUST_200600_302600_NS5tupleIffNS6_9null_typeES8_S8_S8_S8_S8_S8_S8_EEEEZZNS1_27merge_sort_block_merge_implIS3_NS6_6detail15normal_iteratorINS6_10device_ptrIjEEEENSD_INSE_IS9_EEEEjNS1_19radix_merge_compareILb0ELb0EjNS0_19identity_decomposerEEEEE10hipError_tT0_T1_T2_jT3_P12ihipStream_tbPNSt15iterator_traitsISN_E10value_typeEPNST_ISO_E10value_typeEPSP_NS1_7vsmem_tEENKUlT_SN_SO_SP_E_clISG_PjSI_PS9_EESM_S12_SN_SO_SP_EUlS12_E1_NS1_11comp_targetILNS1_3genE0ELNS1_11target_archE4294967295ELNS1_3gpuE0ELNS1_3repE0EEENS1_36merge_oddeven_config_static_selectorELNS0_4arch9wavefront6targetE0EEEvSO_.private_seg_size, 0
	.set _ZN7rocprim17ROCPRIM_400000_NS6detail17trampoline_kernelINS0_14default_configENS1_38merge_sort_block_merge_config_selectorIjN6thrust23THRUST_200600_302600_NS5tupleIffNS6_9null_typeES8_S8_S8_S8_S8_S8_S8_EEEEZZNS1_27merge_sort_block_merge_implIS3_NS6_6detail15normal_iteratorINS6_10device_ptrIjEEEENSD_INSE_IS9_EEEEjNS1_19radix_merge_compareILb0ELb0EjNS0_19identity_decomposerEEEEE10hipError_tT0_T1_T2_jT3_P12ihipStream_tbPNSt15iterator_traitsISN_E10value_typeEPNST_ISO_E10value_typeEPSP_NS1_7vsmem_tEENKUlT_SN_SO_SP_E_clISG_PjSI_PS9_EESM_S12_SN_SO_SP_EUlS12_E1_NS1_11comp_targetILNS1_3genE0ELNS1_11target_archE4294967295ELNS1_3gpuE0ELNS1_3repE0EEENS1_36merge_oddeven_config_static_selectorELNS0_4arch9wavefront6targetE0EEEvSO_.uses_vcc, 0
	.set _ZN7rocprim17ROCPRIM_400000_NS6detail17trampoline_kernelINS0_14default_configENS1_38merge_sort_block_merge_config_selectorIjN6thrust23THRUST_200600_302600_NS5tupleIffNS6_9null_typeES8_S8_S8_S8_S8_S8_S8_EEEEZZNS1_27merge_sort_block_merge_implIS3_NS6_6detail15normal_iteratorINS6_10device_ptrIjEEEENSD_INSE_IS9_EEEEjNS1_19radix_merge_compareILb0ELb0EjNS0_19identity_decomposerEEEEE10hipError_tT0_T1_T2_jT3_P12ihipStream_tbPNSt15iterator_traitsISN_E10value_typeEPNST_ISO_E10value_typeEPSP_NS1_7vsmem_tEENKUlT_SN_SO_SP_E_clISG_PjSI_PS9_EESM_S12_SN_SO_SP_EUlS12_E1_NS1_11comp_targetILNS1_3genE0ELNS1_11target_archE4294967295ELNS1_3gpuE0ELNS1_3repE0EEENS1_36merge_oddeven_config_static_selectorELNS0_4arch9wavefront6targetE0EEEvSO_.uses_flat_scratch, 0
	.set _ZN7rocprim17ROCPRIM_400000_NS6detail17trampoline_kernelINS0_14default_configENS1_38merge_sort_block_merge_config_selectorIjN6thrust23THRUST_200600_302600_NS5tupleIffNS6_9null_typeES8_S8_S8_S8_S8_S8_S8_EEEEZZNS1_27merge_sort_block_merge_implIS3_NS6_6detail15normal_iteratorINS6_10device_ptrIjEEEENSD_INSE_IS9_EEEEjNS1_19radix_merge_compareILb0ELb0EjNS0_19identity_decomposerEEEEE10hipError_tT0_T1_T2_jT3_P12ihipStream_tbPNSt15iterator_traitsISN_E10value_typeEPNST_ISO_E10value_typeEPSP_NS1_7vsmem_tEENKUlT_SN_SO_SP_E_clISG_PjSI_PS9_EESM_S12_SN_SO_SP_EUlS12_E1_NS1_11comp_targetILNS1_3genE0ELNS1_11target_archE4294967295ELNS1_3gpuE0ELNS1_3repE0EEENS1_36merge_oddeven_config_static_selectorELNS0_4arch9wavefront6targetE0EEEvSO_.has_dyn_sized_stack, 0
	.set _ZN7rocprim17ROCPRIM_400000_NS6detail17trampoline_kernelINS0_14default_configENS1_38merge_sort_block_merge_config_selectorIjN6thrust23THRUST_200600_302600_NS5tupleIffNS6_9null_typeES8_S8_S8_S8_S8_S8_S8_EEEEZZNS1_27merge_sort_block_merge_implIS3_NS6_6detail15normal_iteratorINS6_10device_ptrIjEEEENSD_INSE_IS9_EEEEjNS1_19radix_merge_compareILb0ELb0EjNS0_19identity_decomposerEEEEE10hipError_tT0_T1_T2_jT3_P12ihipStream_tbPNSt15iterator_traitsISN_E10value_typeEPNST_ISO_E10value_typeEPSP_NS1_7vsmem_tEENKUlT_SN_SO_SP_E_clISG_PjSI_PS9_EESM_S12_SN_SO_SP_EUlS12_E1_NS1_11comp_targetILNS1_3genE0ELNS1_11target_archE4294967295ELNS1_3gpuE0ELNS1_3repE0EEENS1_36merge_oddeven_config_static_selectorELNS0_4arch9wavefront6targetE0EEEvSO_.has_recursion, 0
	.set _ZN7rocprim17ROCPRIM_400000_NS6detail17trampoline_kernelINS0_14default_configENS1_38merge_sort_block_merge_config_selectorIjN6thrust23THRUST_200600_302600_NS5tupleIffNS6_9null_typeES8_S8_S8_S8_S8_S8_S8_EEEEZZNS1_27merge_sort_block_merge_implIS3_NS6_6detail15normal_iteratorINS6_10device_ptrIjEEEENSD_INSE_IS9_EEEEjNS1_19radix_merge_compareILb0ELb0EjNS0_19identity_decomposerEEEEE10hipError_tT0_T1_T2_jT3_P12ihipStream_tbPNSt15iterator_traitsISN_E10value_typeEPNST_ISO_E10value_typeEPSP_NS1_7vsmem_tEENKUlT_SN_SO_SP_E_clISG_PjSI_PS9_EESM_S12_SN_SO_SP_EUlS12_E1_NS1_11comp_targetILNS1_3genE0ELNS1_11target_archE4294967295ELNS1_3gpuE0ELNS1_3repE0EEENS1_36merge_oddeven_config_static_selectorELNS0_4arch9wavefront6targetE0EEEvSO_.has_indirect_call, 0
	.section	.AMDGPU.csdata,"",@progbits
; Kernel info:
; codeLenInByte = 0
; TotalNumSgprs: 0
; NumVgprs: 0
; ScratchSize: 0
; MemoryBound: 0
; FloatMode: 240
; IeeeMode: 1
; LDSByteSize: 0 bytes/workgroup (compile time only)
; SGPRBlocks: 0
; VGPRBlocks: 0
; NumSGPRsForWavesPerEU: 1
; NumVGPRsForWavesPerEU: 1
; Occupancy: 16
; WaveLimiterHint : 0
; COMPUTE_PGM_RSRC2:SCRATCH_EN: 0
; COMPUTE_PGM_RSRC2:USER_SGPR: 6
; COMPUTE_PGM_RSRC2:TRAP_HANDLER: 0
; COMPUTE_PGM_RSRC2:TGID_X_EN: 1
; COMPUTE_PGM_RSRC2:TGID_Y_EN: 0
; COMPUTE_PGM_RSRC2:TGID_Z_EN: 0
; COMPUTE_PGM_RSRC2:TIDIG_COMP_CNT: 0
	.section	.text._ZN7rocprim17ROCPRIM_400000_NS6detail17trampoline_kernelINS0_14default_configENS1_38merge_sort_block_merge_config_selectorIjN6thrust23THRUST_200600_302600_NS5tupleIffNS6_9null_typeES8_S8_S8_S8_S8_S8_S8_EEEEZZNS1_27merge_sort_block_merge_implIS3_NS6_6detail15normal_iteratorINS6_10device_ptrIjEEEENSD_INSE_IS9_EEEEjNS1_19radix_merge_compareILb0ELb0EjNS0_19identity_decomposerEEEEE10hipError_tT0_T1_T2_jT3_P12ihipStream_tbPNSt15iterator_traitsISN_E10value_typeEPNST_ISO_E10value_typeEPSP_NS1_7vsmem_tEENKUlT_SN_SO_SP_E_clISG_PjSI_PS9_EESM_S12_SN_SO_SP_EUlS12_E1_NS1_11comp_targetILNS1_3genE10ELNS1_11target_archE1201ELNS1_3gpuE5ELNS1_3repE0EEENS1_36merge_oddeven_config_static_selectorELNS0_4arch9wavefront6targetE0EEEvSO_,"axG",@progbits,_ZN7rocprim17ROCPRIM_400000_NS6detail17trampoline_kernelINS0_14default_configENS1_38merge_sort_block_merge_config_selectorIjN6thrust23THRUST_200600_302600_NS5tupleIffNS6_9null_typeES8_S8_S8_S8_S8_S8_S8_EEEEZZNS1_27merge_sort_block_merge_implIS3_NS6_6detail15normal_iteratorINS6_10device_ptrIjEEEENSD_INSE_IS9_EEEEjNS1_19radix_merge_compareILb0ELb0EjNS0_19identity_decomposerEEEEE10hipError_tT0_T1_T2_jT3_P12ihipStream_tbPNSt15iterator_traitsISN_E10value_typeEPNST_ISO_E10value_typeEPSP_NS1_7vsmem_tEENKUlT_SN_SO_SP_E_clISG_PjSI_PS9_EESM_S12_SN_SO_SP_EUlS12_E1_NS1_11comp_targetILNS1_3genE10ELNS1_11target_archE1201ELNS1_3gpuE5ELNS1_3repE0EEENS1_36merge_oddeven_config_static_selectorELNS0_4arch9wavefront6targetE0EEEvSO_,comdat
	.protected	_ZN7rocprim17ROCPRIM_400000_NS6detail17trampoline_kernelINS0_14default_configENS1_38merge_sort_block_merge_config_selectorIjN6thrust23THRUST_200600_302600_NS5tupleIffNS6_9null_typeES8_S8_S8_S8_S8_S8_S8_EEEEZZNS1_27merge_sort_block_merge_implIS3_NS6_6detail15normal_iteratorINS6_10device_ptrIjEEEENSD_INSE_IS9_EEEEjNS1_19radix_merge_compareILb0ELb0EjNS0_19identity_decomposerEEEEE10hipError_tT0_T1_T2_jT3_P12ihipStream_tbPNSt15iterator_traitsISN_E10value_typeEPNST_ISO_E10value_typeEPSP_NS1_7vsmem_tEENKUlT_SN_SO_SP_E_clISG_PjSI_PS9_EESM_S12_SN_SO_SP_EUlS12_E1_NS1_11comp_targetILNS1_3genE10ELNS1_11target_archE1201ELNS1_3gpuE5ELNS1_3repE0EEENS1_36merge_oddeven_config_static_selectorELNS0_4arch9wavefront6targetE0EEEvSO_ ; -- Begin function _ZN7rocprim17ROCPRIM_400000_NS6detail17trampoline_kernelINS0_14default_configENS1_38merge_sort_block_merge_config_selectorIjN6thrust23THRUST_200600_302600_NS5tupleIffNS6_9null_typeES8_S8_S8_S8_S8_S8_S8_EEEEZZNS1_27merge_sort_block_merge_implIS3_NS6_6detail15normal_iteratorINS6_10device_ptrIjEEEENSD_INSE_IS9_EEEEjNS1_19radix_merge_compareILb0ELb0EjNS0_19identity_decomposerEEEEE10hipError_tT0_T1_T2_jT3_P12ihipStream_tbPNSt15iterator_traitsISN_E10value_typeEPNST_ISO_E10value_typeEPSP_NS1_7vsmem_tEENKUlT_SN_SO_SP_E_clISG_PjSI_PS9_EESM_S12_SN_SO_SP_EUlS12_E1_NS1_11comp_targetILNS1_3genE10ELNS1_11target_archE1201ELNS1_3gpuE5ELNS1_3repE0EEENS1_36merge_oddeven_config_static_selectorELNS0_4arch9wavefront6targetE0EEEvSO_
	.globl	_ZN7rocprim17ROCPRIM_400000_NS6detail17trampoline_kernelINS0_14default_configENS1_38merge_sort_block_merge_config_selectorIjN6thrust23THRUST_200600_302600_NS5tupleIffNS6_9null_typeES8_S8_S8_S8_S8_S8_S8_EEEEZZNS1_27merge_sort_block_merge_implIS3_NS6_6detail15normal_iteratorINS6_10device_ptrIjEEEENSD_INSE_IS9_EEEEjNS1_19radix_merge_compareILb0ELb0EjNS0_19identity_decomposerEEEEE10hipError_tT0_T1_T2_jT3_P12ihipStream_tbPNSt15iterator_traitsISN_E10value_typeEPNST_ISO_E10value_typeEPSP_NS1_7vsmem_tEENKUlT_SN_SO_SP_E_clISG_PjSI_PS9_EESM_S12_SN_SO_SP_EUlS12_E1_NS1_11comp_targetILNS1_3genE10ELNS1_11target_archE1201ELNS1_3gpuE5ELNS1_3repE0EEENS1_36merge_oddeven_config_static_selectorELNS0_4arch9wavefront6targetE0EEEvSO_
	.p2align	8
	.type	_ZN7rocprim17ROCPRIM_400000_NS6detail17trampoline_kernelINS0_14default_configENS1_38merge_sort_block_merge_config_selectorIjN6thrust23THRUST_200600_302600_NS5tupleIffNS6_9null_typeES8_S8_S8_S8_S8_S8_S8_EEEEZZNS1_27merge_sort_block_merge_implIS3_NS6_6detail15normal_iteratorINS6_10device_ptrIjEEEENSD_INSE_IS9_EEEEjNS1_19radix_merge_compareILb0ELb0EjNS0_19identity_decomposerEEEEE10hipError_tT0_T1_T2_jT3_P12ihipStream_tbPNSt15iterator_traitsISN_E10value_typeEPNST_ISO_E10value_typeEPSP_NS1_7vsmem_tEENKUlT_SN_SO_SP_E_clISG_PjSI_PS9_EESM_S12_SN_SO_SP_EUlS12_E1_NS1_11comp_targetILNS1_3genE10ELNS1_11target_archE1201ELNS1_3gpuE5ELNS1_3repE0EEENS1_36merge_oddeven_config_static_selectorELNS0_4arch9wavefront6targetE0EEEvSO_,@function
_ZN7rocprim17ROCPRIM_400000_NS6detail17trampoline_kernelINS0_14default_configENS1_38merge_sort_block_merge_config_selectorIjN6thrust23THRUST_200600_302600_NS5tupleIffNS6_9null_typeES8_S8_S8_S8_S8_S8_S8_EEEEZZNS1_27merge_sort_block_merge_implIS3_NS6_6detail15normal_iteratorINS6_10device_ptrIjEEEENSD_INSE_IS9_EEEEjNS1_19radix_merge_compareILb0ELb0EjNS0_19identity_decomposerEEEEE10hipError_tT0_T1_T2_jT3_P12ihipStream_tbPNSt15iterator_traitsISN_E10value_typeEPNST_ISO_E10value_typeEPSP_NS1_7vsmem_tEENKUlT_SN_SO_SP_E_clISG_PjSI_PS9_EESM_S12_SN_SO_SP_EUlS12_E1_NS1_11comp_targetILNS1_3genE10ELNS1_11target_archE1201ELNS1_3gpuE5ELNS1_3repE0EEENS1_36merge_oddeven_config_static_selectorELNS0_4arch9wavefront6targetE0EEEvSO_: ; @_ZN7rocprim17ROCPRIM_400000_NS6detail17trampoline_kernelINS0_14default_configENS1_38merge_sort_block_merge_config_selectorIjN6thrust23THRUST_200600_302600_NS5tupleIffNS6_9null_typeES8_S8_S8_S8_S8_S8_S8_EEEEZZNS1_27merge_sort_block_merge_implIS3_NS6_6detail15normal_iteratorINS6_10device_ptrIjEEEENSD_INSE_IS9_EEEEjNS1_19radix_merge_compareILb0ELb0EjNS0_19identity_decomposerEEEEE10hipError_tT0_T1_T2_jT3_P12ihipStream_tbPNSt15iterator_traitsISN_E10value_typeEPNST_ISO_E10value_typeEPSP_NS1_7vsmem_tEENKUlT_SN_SO_SP_E_clISG_PjSI_PS9_EESM_S12_SN_SO_SP_EUlS12_E1_NS1_11comp_targetILNS1_3genE10ELNS1_11target_archE1201ELNS1_3gpuE5ELNS1_3repE0EEENS1_36merge_oddeven_config_static_selectorELNS0_4arch9wavefront6targetE0EEEvSO_
; %bb.0:
	.section	.rodata,"a",@progbits
	.p2align	6, 0x0
	.amdhsa_kernel _ZN7rocprim17ROCPRIM_400000_NS6detail17trampoline_kernelINS0_14default_configENS1_38merge_sort_block_merge_config_selectorIjN6thrust23THRUST_200600_302600_NS5tupleIffNS6_9null_typeES8_S8_S8_S8_S8_S8_S8_EEEEZZNS1_27merge_sort_block_merge_implIS3_NS6_6detail15normal_iteratorINS6_10device_ptrIjEEEENSD_INSE_IS9_EEEEjNS1_19radix_merge_compareILb0ELb0EjNS0_19identity_decomposerEEEEE10hipError_tT0_T1_T2_jT3_P12ihipStream_tbPNSt15iterator_traitsISN_E10value_typeEPNST_ISO_E10value_typeEPSP_NS1_7vsmem_tEENKUlT_SN_SO_SP_E_clISG_PjSI_PS9_EESM_S12_SN_SO_SP_EUlS12_E1_NS1_11comp_targetILNS1_3genE10ELNS1_11target_archE1201ELNS1_3gpuE5ELNS1_3repE0EEENS1_36merge_oddeven_config_static_selectorELNS0_4arch9wavefront6targetE0EEEvSO_
		.amdhsa_group_segment_fixed_size 0
		.amdhsa_private_segment_fixed_size 0
		.amdhsa_kernarg_size 48
		.amdhsa_user_sgpr_count 6
		.amdhsa_user_sgpr_private_segment_buffer 1
		.amdhsa_user_sgpr_dispatch_ptr 0
		.amdhsa_user_sgpr_queue_ptr 0
		.amdhsa_user_sgpr_kernarg_segment_ptr 1
		.amdhsa_user_sgpr_dispatch_id 0
		.amdhsa_user_sgpr_flat_scratch_init 0
		.amdhsa_user_sgpr_private_segment_size 0
		.amdhsa_wavefront_size32 1
		.amdhsa_uses_dynamic_stack 0
		.amdhsa_system_sgpr_private_segment_wavefront_offset 0
		.amdhsa_system_sgpr_workgroup_id_x 1
		.amdhsa_system_sgpr_workgroup_id_y 0
		.amdhsa_system_sgpr_workgroup_id_z 0
		.amdhsa_system_sgpr_workgroup_info 0
		.amdhsa_system_vgpr_workitem_id 0
		.amdhsa_next_free_vgpr 1
		.amdhsa_next_free_sgpr 1
		.amdhsa_reserve_vcc 0
		.amdhsa_reserve_flat_scratch 0
		.amdhsa_float_round_mode_32 0
		.amdhsa_float_round_mode_16_64 0
		.amdhsa_float_denorm_mode_32 3
		.amdhsa_float_denorm_mode_16_64 3
		.amdhsa_dx10_clamp 1
		.amdhsa_ieee_mode 1
		.amdhsa_fp16_overflow 0
		.amdhsa_workgroup_processor_mode 1
		.amdhsa_memory_ordered 1
		.amdhsa_forward_progress 1
		.amdhsa_shared_vgpr_count 0
		.amdhsa_exception_fp_ieee_invalid_op 0
		.amdhsa_exception_fp_denorm_src 0
		.amdhsa_exception_fp_ieee_div_zero 0
		.amdhsa_exception_fp_ieee_overflow 0
		.amdhsa_exception_fp_ieee_underflow 0
		.amdhsa_exception_fp_ieee_inexact 0
		.amdhsa_exception_int_div_zero 0
	.end_amdhsa_kernel
	.section	.text._ZN7rocprim17ROCPRIM_400000_NS6detail17trampoline_kernelINS0_14default_configENS1_38merge_sort_block_merge_config_selectorIjN6thrust23THRUST_200600_302600_NS5tupleIffNS6_9null_typeES8_S8_S8_S8_S8_S8_S8_EEEEZZNS1_27merge_sort_block_merge_implIS3_NS6_6detail15normal_iteratorINS6_10device_ptrIjEEEENSD_INSE_IS9_EEEEjNS1_19radix_merge_compareILb0ELb0EjNS0_19identity_decomposerEEEEE10hipError_tT0_T1_T2_jT3_P12ihipStream_tbPNSt15iterator_traitsISN_E10value_typeEPNST_ISO_E10value_typeEPSP_NS1_7vsmem_tEENKUlT_SN_SO_SP_E_clISG_PjSI_PS9_EESM_S12_SN_SO_SP_EUlS12_E1_NS1_11comp_targetILNS1_3genE10ELNS1_11target_archE1201ELNS1_3gpuE5ELNS1_3repE0EEENS1_36merge_oddeven_config_static_selectorELNS0_4arch9wavefront6targetE0EEEvSO_,"axG",@progbits,_ZN7rocprim17ROCPRIM_400000_NS6detail17trampoline_kernelINS0_14default_configENS1_38merge_sort_block_merge_config_selectorIjN6thrust23THRUST_200600_302600_NS5tupleIffNS6_9null_typeES8_S8_S8_S8_S8_S8_S8_EEEEZZNS1_27merge_sort_block_merge_implIS3_NS6_6detail15normal_iteratorINS6_10device_ptrIjEEEENSD_INSE_IS9_EEEEjNS1_19radix_merge_compareILb0ELb0EjNS0_19identity_decomposerEEEEE10hipError_tT0_T1_T2_jT3_P12ihipStream_tbPNSt15iterator_traitsISN_E10value_typeEPNST_ISO_E10value_typeEPSP_NS1_7vsmem_tEENKUlT_SN_SO_SP_E_clISG_PjSI_PS9_EESM_S12_SN_SO_SP_EUlS12_E1_NS1_11comp_targetILNS1_3genE10ELNS1_11target_archE1201ELNS1_3gpuE5ELNS1_3repE0EEENS1_36merge_oddeven_config_static_selectorELNS0_4arch9wavefront6targetE0EEEvSO_,comdat
.Lfunc_end66:
	.size	_ZN7rocprim17ROCPRIM_400000_NS6detail17trampoline_kernelINS0_14default_configENS1_38merge_sort_block_merge_config_selectorIjN6thrust23THRUST_200600_302600_NS5tupleIffNS6_9null_typeES8_S8_S8_S8_S8_S8_S8_EEEEZZNS1_27merge_sort_block_merge_implIS3_NS6_6detail15normal_iteratorINS6_10device_ptrIjEEEENSD_INSE_IS9_EEEEjNS1_19radix_merge_compareILb0ELb0EjNS0_19identity_decomposerEEEEE10hipError_tT0_T1_T2_jT3_P12ihipStream_tbPNSt15iterator_traitsISN_E10value_typeEPNST_ISO_E10value_typeEPSP_NS1_7vsmem_tEENKUlT_SN_SO_SP_E_clISG_PjSI_PS9_EESM_S12_SN_SO_SP_EUlS12_E1_NS1_11comp_targetILNS1_3genE10ELNS1_11target_archE1201ELNS1_3gpuE5ELNS1_3repE0EEENS1_36merge_oddeven_config_static_selectorELNS0_4arch9wavefront6targetE0EEEvSO_, .Lfunc_end66-_ZN7rocprim17ROCPRIM_400000_NS6detail17trampoline_kernelINS0_14default_configENS1_38merge_sort_block_merge_config_selectorIjN6thrust23THRUST_200600_302600_NS5tupleIffNS6_9null_typeES8_S8_S8_S8_S8_S8_S8_EEEEZZNS1_27merge_sort_block_merge_implIS3_NS6_6detail15normal_iteratorINS6_10device_ptrIjEEEENSD_INSE_IS9_EEEEjNS1_19radix_merge_compareILb0ELb0EjNS0_19identity_decomposerEEEEE10hipError_tT0_T1_T2_jT3_P12ihipStream_tbPNSt15iterator_traitsISN_E10value_typeEPNST_ISO_E10value_typeEPSP_NS1_7vsmem_tEENKUlT_SN_SO_SP_E_clISG_PjSI_PS9_EESM_S12_SN_SO_SP_EUlS12_E1_NS1_11comp_targetILNS1_3genE10ELNS1_11target_archE1201ELNS1_3gpuE5ELNS1_3repE0EEENS1_36merge_oddeven_config_static_selectorELNS0_4arch9wavefront6targetE0EEEvSO_
                                        ; -- End function
	.set _ZN7rocprim17ROCPRIM_400000_NS6detail17trampoline_kernelINS0_14default_configENS1_38merge_sort_block_merge_config_selectorIjN6thrust23THRUST_200600_302600_NS5tupleIffNS6_9null_typeES8_S8_S8_S8_S8_S8_S8_EEEEZZNS1_27merge_sort_block_merge_implIS3_NS6_6detail15normal_iteratorINS6_10device_ptrIjEEEENSD_INSE_IS9_EEEEjNS1_19radix_merge_compareILb0ELb0EjNS0_19identity_decomposerEEEEE10hipError_tT0_T1_T2_jT3_P12ihipStream_tbPNSt15iterator_traitsISN_E10value_typeEPNST_ISO_E10value_typeEPSP_NS1_7vsmem_tEENKUlT_SN_SO_SP_E_clISG_PjSI_PS9_EESM_S12_SN_SO_SP_EUlS12_E1_NS1_11comp_targetILNS1_3genE10ELNS1_11target_archE1201ELNS1_3gpuE5ELNS1_3repE0EEENS1_36merge_oddeven_config_static_selectorELNS0_4arch9wavefront6targetE0EEEvSO_.num_vgpr, 0
	.set _ZN7rocprim17ROCPRIM_400000_NS6detail17trampoline_kernelINS0_14default_configENS1_38merge_sort_block_merge_config_selectorIjN6thrust23THRUST_200600_302600_NS5tupleIffNS6_9null_typeES8_S8_S8_S8_S8_S8_S8_EEEEZZNS1_27merge_sort_block_merge_implIS3_NS6_6detail15normal_iteratorINS6_10device_ptrIjEEEENSD_INSE_IS9_EEEEjNS1_19radix_merge_compareILb0ELb0EjNS0_19identity_decomposerEEEEE10hipError_tT0_T1_T2_jT3_P12ihipStream_tbPNSt15iterator_traitsISN_E10value_typeEPNST_ISO_E10value_typeEPSP_NS1_7vsmem_tEENKUlT_SN_SO_SP_E_clISG_PjSI_PS9_EESM_S12_SN_SO_SP_EUlS12_E1_NS1_11comp_targetILNS1_3genE10ELNS1_11target_archE1201ELNS1_3gpuE5ELNS1_3repE0EEENS1_36merge_oddeven_config_static_selectorELNS0_4arch9wavefront6targetE0EEEvSO_.num_agpr, 0
	.set _ZN7rocprim17ROCPRIM_400000_NS6detail17trampoline_kernelINS0_14default_configENS1_38merge_sort_block_merge_config_selectorIjN6thrust23THRUST_200600_302600_NS5tupleIffNS6_9null_typeES8_S8_S8_S8_S8_S8_S8_EEEEZZNS1_27merge_sort_block_merge_implIS3_NS6_6detail15normal_iteratorINS6_10device_ptrIjEEEENSD_INSE_IS9_EEEEjNS1_19radix_merge_compareILb0ELb0EjNS0_19identity_decomposerEEEEE10hipError_tT0_T1_T2_jT3_P12ihipStream_tbPNSt15iterator_traitsISN_E10value_typeEPNST_ISO_E10value_typeEPSP_NS1_7vsmem_tEENKUlT_SN_SO_SP_E_clISG_PjSI_PS9_EESM_S12_SN_SO_SP_EUlS12_E1_NS1_11comp_targetILNS1_3genE10ELNS1_11target_archE1201ELNS1_3gpuE5ELNS1_3repE0EEENS1_36merge_oddeven_config_static_selectorELNS0_4arch9wavefront6targetE0EEEvSO_.numbered_sgpr, 0
	.set _ZN7rocprim17ROCPRIM_400000_NS6detail17trampoline_kernelINS0_14default_configENS1_38merge_sort_block_merge_config_selectorIjN6thrust23THRUST_200600_302600_NS5tupleIffNS6_9null_typeES8_S8_S8_S8_S8_S8_S8_EEEEZZNS1_27merge_sort_block_merge_implIS3_NS6_6detail15normal_iteratorINS6_10device_ptrIjEEEENSD_INSE_IS9_EEEEjNS1_19radix_merge_compareILb0ELb0EjNS0_19identity_decomposerEEEEE10hipError_tT0_T1_T2_jT3_P12ihipStream_tbPNSt15iterator_traitsISN_E10value_typeEPNST_ISO_E10value_typeEPSP_NS1_7vsmem_tEENKUlT_SN_SO_SP_E_clISG_PjSI_PS9_EESM_S12_SN_SO_SP_EUlS12_E1_NS1_11comp_targetILNS1_3genE10ELNS1_11target_archE1201ELNS1_3gpuE5ELNS1_3repE0EEENS1_36merge_oddeven_config_static_selectorELNS0_4arch9wavefront6targetE0EEEvSO_.num_named_barrier, 0
	.set _ZN7rocprim17ROCPRIM_400000_NS6detail17trampoline_kernelINS0_14default_configENS1_38merge_sort_block_merge_config_selectorIjN6thrust23THRUST_200600_302600_NS5tupleIffNS6_9null_typeES8_S8_S8_S8_S8_S8_S8_EEEEZZNS1_27merge_sort_block_merge_implIS3_NS6_6detail15normal_iteratorINS6_10device_ptrIjEEEENSD_INSE_IS9_EEEEjNS1_19radix_merge_compareILb0ELb0EjNS0_19identity_decomposerEEEEE10hipError_tT0_T1_T2_jT3_P12ihipStream_tbPNSt15iterator_traitsISN_E10value_typeEPNST_ISO_E10value_typeEPSP_NS1_7vsmem_tEENKUlT_SN_SO_SP_E_clISG_PjSI_PS9_EESM_S12_SN_SO_SP_EUlS12_E1_NS1_11comp_targetILNS1_3genE10ELNS1_11target_archE1201ELNS1_3gpuE5ELNS1_3repE0EEENS1_36merge_oddeven_config_static_selectorELNS0_4arch9wavefront6targetE0EEEvSO_.private_seg_size, 0
	.set _ZN7rocprim17ROCPRIM_400000_NS6detail17trampoline_kernelINS0_14default_configENS1_38merge_sort_block_merge_config_selectorIjN6thrust23THRUST_200600_302600_NS5tupleIffNS6_9null_typeES8_S8_S8_S8_S8_S8_S8_EEEEZZNS1_27merge_sort_block_merge_implIS3_NS6_6detail15normal_iteratorINS6_10device_ptrIjEEEENSD_INSE_IS9_EEEEjNS1_19radix_merge_compareILb0ELb0EjNS0_19identity_decomposerEEEEE10hipError_tT0_T1_T2_jT3_P12ihipStream_tbPNSt15iterator_traitsISN_E10value_typeEPNST_ISO_E10value_typeEPSP_NS1_7vsmem_tEENKUlT_SN_SO_SP_E_clISG_PjSI_PS9_EESM_S12_SN_SO_SP_EUlS12_E1_NS1_11comp_targetILNS1_3genE10ELNS1_11target_archE1201ELNS1_3gpuE5ELNS1_3repE0EEENS1_36merge_oddeven_config_static_selectorELNS0_4arch9wavefront6targetE0EEEvSO_.uses_vcc, 0
	.set _ZN7rocprim17ROCPRIM_400000_NS6detail17trampoline_kernelINS0_14default_configENS1_38merge_sort_block_merge_config_selectorIjN6thrust23THRUST_200600_302600_NS5tupleIffNS6_9null_typeES8_S8_S8_S8_S8_S8_S8_EEEEZZNS1_27merge_sort_block_merge_implIS3_NS6_6detail15normal_iteratorINS6_10device_ptrIjEEEENSD_INSE_IS9_EEEEjNS1_19radix_merge_compareILb0ELb0EjNS0_19identity_decomposerEEEEE10hipError_tT0_T1_T2_jT3_P12ihipStream_tbPNSt15iterator_traitsISN_E10value_typeEPNST_ISO_E10value_typeEPSP_NS1_7vsmem_tEENKUlT_SN_SO_SP_E_clISG_PjSI_PS9_EESM_S12_SN_SO_SP_EUlS12_E1_NS1_11comp_targetILNS1_3genE10ELNS1_11target_archE1201ELNS1_3gpuE5ELNS1_3repE0EEENS1_36merge_oddeven_config_static_selectorELNS0_4arch9wavefront6targetE0EEEvSO_.uses_flat_scratch, 0
	.set _ZN7rocprim17ROCPRIM_400000_NS6detail17trampoline_kernelINS0_14default_configENS1_38merge_sort_block_merge_config_selectorIjN6thrust23THRUST_200600_302600_NS5tupleIffNS6_9null_typeES8_S8_S8_S8_S8_S8_S8_EEEEZZNS1_27merge_sort_block_merge_implIS3_NS6_6detail15normal_iteratorINS6_10device_ptrIjEEEENSD_INSE_IS9_EEEEjNS1_19radix_merge_compareILb0ELb0EjNS0_19identity_decomposerEEEEE10hipError_tT0_T1_T2_jT3_P12ihipStream_tbPNSt15iterator_traitsISN_E10value_typeEPNST_ISO_E10value_typeEPSP_NS1_7vsmem_tEENKUlT_SN_SO_SP_E_clISG_PjSI_PS9_EESM_S12_SN_SO_SP_EUlS12_E1_NS1_11comp_targetILNS1_3genE10ELNS1_11target_archE1201ELNS1_3gpuE5ELNS1_3repE0EEENS1_36merge_oddeven_config_static_selectorELNS0_4arch9wavefront6targetE0EEEvSO_.has_dyn_sized_stack, 0
	.set _ZN7rocprim17ROCPRIM_400000_NS6detail17trampoline_kernelINS0_14default_configENS1_38merge_sort_block_merge_config_selectorIjN6thrust23THRUST_200600_302600_NS5tupleIffNS6_9null_typeES8_S8_S8_S8_S8_S8_S8_EEEEZZNS1_27merge_sort_block_merge_implIS3_NS6_6detail15normal_iteratorINS6_10device_ptrIjEEEENSD_INSE_IS9_EEEEjNS1_19radix_merge_compareILb0ELb0EjNS0_19identity_decomposerEEEEE10hipError_tT0_T1_T2_jT3_P12ihipStream_tbPNSt15iterator_traitsISN_E10value_typeEPNST_ISO_E10value_typeEPSP_NS1_7vsmem_tEENKUlT_SN_SO_SP_E_clISG_PjSI_PS9_EESM_S12_SN_SO_SP_EUlS12_E1_NS1_11comp_targetILNS1_3genE10ELNS1_11target_archE1201ELNS1_3gpuE5ELNS1_3repE0EEENS1_36merge_oddeven_config_static_selectorELNS0_4arch9wavefront6targetE0EEEvSO_.has_recursion, 0
	.set _ZN7rocprim17ROCPRIM_400000_NS6detail17trampoline_kernelINS0_14default_configENS1_38merge_sort_block_merge_config_selectorIjN6thrust23THRUST_200600_302600_NS5tupleIffNS6_9null_typeES8_S8_S8_S8_S8_S8_S8_EEEEZZNS1_27merge_sort_block_merge_implIS3_NS6_6detail15normal_iteratorINS6_10device_ptrIjEEEENSD_INSE_IS9_EEEEjNS1_19radix_merge_compareILb0ELb0EjNS0_19identity_decomposerEEEEE10hipError_tT0_T1_T2_jT3_P12ihipStream_tbPNSt15iterator_traitsISN_E10value_typeEPNST_ISO_E10value_typeEPSP_NS1_7vsmem_tEENKUlT_SN_SO_SP_E_clISG_PjSI_PS9_EESM_S12_SN_SO_SP_EUlS12_E1_NS1_11comp_targetILNS1_3genE10ELNS1_11target_archE1201ELNS1_3gpuE5ELNS1_3repE0EEENS1_36merge_oddeven_config_static_selectorELNS0_4arch9wavefront6targetE0EEEvSO_.has_indirect_call, 0
	.section	.AMDGPU.csdata,"",@progbits
; Kernel info:
; codeLenInByte = 0
; TotalNumSgprs: 0
; NumVgprs: 0
; ScratchSize: 0
; MemoryBound: 0
; FloatMode: 240
; IeeeMode: 1
; LDSByteSize: 0 bytes/workgroup (compile time only)
; SGPRBlocks: 0
; VGPRBlocks: 0
; NumSGPRsForWavesPerEU: 1
; NumVGPRsForWavesPerEU: 1
; Occupancy: 16
; WaveLimiterHint : 0
; COMPUTE_PGM_RSRC2:SCRATCH_EN: 0
; COMPUTE_PGM_RSRC2:USER_SGPR: 6
; COMPUTE_PGM_RSRC2:TRAP_HANDLER: 0
; COMPUTE_PGM_RSRC2:TGID_X_EN: 1
; COMPUTE_PGM_RSRC2:TGID_Y_EN: 0
; COMPUTE_PGM_RSRC2:TGID_Z_EN: 0
; COMPUTE_PGM_RSRC2:TIDIG_COMP_CNT: 0
	.section	.text._ZN7rocprim17ROCPRIM_400000_NS6detail17trampoline_kernelINS0_14default_configENS1_38merge_sort_block_merge_config_selectorIjN6thrust23THRUST_200600_302600_NS5tupleIffNS6_9null_typeES8_S8_S8_S8_S8_S8_S8_EEEEZZNS1_27merge_sort_block_merge_implIS3_NS6_6detail15normal_iteratorINS6_10device_ptrIjEEEENSD_INSE_IS9_EEEEjNS1_19radix_merge_compareILb0ELb0EjNS0_19identity_decomposerEEEEE10hipError_tT0_T1_T2_jT3_P12ihipStream_tbPNSt15iterator_traitsISN_E10value_typeEPNST_ISO_E10value_typeEPSP_NS1_7vsmem_tEENKUlT_SN_SO_SP_E_clISG_PjSI_PS9_EESM_S12_SN_SO_SP_EUlS12_E1_NS1_11comp_targetILNS1_3genE5ELNS1_11target_archE942ELNS1_3gpuE9ELNS1_3repE0EEENS1_36merge_oddeven_config_static_selectorELNS0_4arch9wavefront6targetE0EEEvSO_,"axG",@progbits,_ZN7rocprim17ROCPRIM_400000_NS6detail17trampoline_kernelINS0_14default_configENS1_38merge_sort_block_merge_config_selectorIjN6thrust23THRUST_200600_302600_NS5tupleIffNS6_9null_typeES8_S8_S8_S8_S8_S8_S8_EEEEZZNS1_27merge_sort_block_merge_implIS3_NS6_6detail15normal_iteratorINS6_10device_ptrIjEEEENSD_INSE_IS9_EEEEjNS1_19radix_merge_compareILb0ELb0EjNS0_19identity_decomposerEEEEE10hipError_tT0_T1_T2_jT3_P12ihipStream_tbPNSt15iterator_traitsISN_E10value_typeEPNST_ISO_E10value_typeEPSP_NS1_7vsmem_tEENKUlT_SN_SO_SP_E_clISG_PjSI_PS9_EESM_S12_SN_SO_SP_EUlS12_E1_NS1_11comp_targetILNS1_3genE5ELNS1_11target_archE942ELNS1_3gpuE9ELNS1_3repE0EEENS1_36merge_oddeven_config_static_selectorELNS0_4arch9wavefront6targetE0EEEvSO_,comdat
	.protected	_ZN7rocprim17ROCPRIM_400000_NS6detail17trampoline_kernelINS0_14default_configENS1_38merge_sort_block_merge_config_selectorIjN6thrust23THRUST_200600_302600_NS5tupleIffNS6_9null_typeES8_S8_S8_S8_S8_S8_S8_EEEEZZNS1_27merge_sort_block_merge_implIS3_NS6_6detail15normal_iteratorINS6_10device_ptrIjEEEENSD_INSE_IS9_EEEEjNS1_19radix_merge_compareILb0ELb0EjNS0_19identity_decomposerEEEEE10hipError_tT0_T1_T2_jT3_P12ihipStream_tbPNSt15iterator_traitsISN_E10value_typeEPNST_ISO_E10value_typeEPSP_NS1_7vsmem_tEENKUlT_SN_SO_SP_E_clISG_PjSI_PS9_EESM_S12_SN_SO_SP_EUlS12_E1_NS1_11comp_targetILNS1_3genE5ELNS1_11target_archE942ELNS1_3gpuE9ELNS1_3repE0EEENS1_36merge_oddeven_config_static_selectorELNS0_4arch9wavefront6targetE0EEEvSO_ ; -- Begin function _ZN7rocprim17ROCPRIM_400000_NS6detail17trampoline_kernelINS0_14default_configENS1_38merge_sort_block_merge_config_selectorIjN6thrust23THRUST_200600_302600_NS5tupleIffNS6_9null_typeES8_S8_S8_S8_S8_S8_S8_EEEEZZNS1_27merge_sort_block_merge_implIS3_NS6_6detail15normal_iteratorINS6_10device_ptrIjEEEENSD_INSE_IS9_EEEEjNS1_19radix_merge_compareILb0ELb0EjNS0_19identity_decomposerEEEEE10hipError_tT0_T1_T2_jT3_P12ihipStream_tbPNSt15iterator_traitsISN_E10value_typeEPNST_ISO_E10value_typeEPSP_NS1_7vsmem_tEENKUlT_SN_SO_SP_E_clISG_PjSI_PS9_EESM_S12_SN_SO_SP_EUlS12_E1_NS1_11comp_targetILNS1_3genE5ELNS1_11target_archE942ELNS1_3gpuE9ELNS1_3repE0EEENS1_36merge_oddeven_config_static_selectorELNS0_4arch9wavefront6targetE0EEEvSO_
	.globl	_ZN7rocprim17ROCPRIM_400000_NS6detail17trampoline_kernelINS0_14default_configENS1_38merge_sort_block_merge_config_selectorIjN6thrust23THRUST_200600_302600_NS5tupleIffNS6_9null_typeES8_S8_S8_S8_S8_S8_S8_EEEEZZNS1_27merge_sort_block_merge_implIS3_NS6_6detail15normal_iteratorINS6_10device_ptrIjEEEENSD_INSE_IS9_EEEEjNS1_19radix_merge_compareILb0ELb0EjNS0_19identity_decomposerEEEEE10hipError_tT0_T1_T2_jT3_P12ihipStream_tbPNSt15iterator_traitsISN_E10value_typeEPNST_ISO_E10value_typeEPSP_NS1_7vsmem_tEENKUlT_SN_SO_SP_E_clISG_PjSI_PS9_EESM_S12_SN_SO_SP_EUlS12_E1_NS1_11comp_targetILNS1_3genE5ELNS1_11target_archE942ELNS1_3gpuE9ELNS1_3repE0EEENS1_36merge_oddeven_config_static_selectorELNS0_4arch9wavefront6targetE0EEEvSO_
	.p2align	8
	.type	_ZN7rocprim17ROCPRIM_400000_NS6detail17trampoline_kernelINS0_14default_configENS1_38merge_sort_block_merge_config_selectorIjN6thrust23THRUST_200600_302600_NS5tupleIffNS6_9null_typeES8_S8_S8_S8_S8_S8_S8_EEEEZZNS1_27merge_sort_block_merge_implIS3_NS6_6detail15normal_iteratorINS6_10device_ptrIjEEEENSD_INSE_IS9_EEEEjNS1_19radix_merge_compareILb0ELb0EjNS0_19identity_decomposerEEEEE10hipError_tT0_T1_T2_jT3_P12ihipStream_tbPNSt15iterator_traitsISN_E10value_typeEPNST_ISO_E10value_typeEPSP_NS1_7vsmem_tEENKUlT_SN_SO_SP_E_clISG_PjSI_PS9_EESM_S12_SN_SO_SP_EUlS12_E1_NS1_11comp_targetILNS1_3genE5ELNS1_11target_archE942ELNS1_3gpuE9ELNS1_3repE0EEENS1_36merge_oddeven_config_static_selectorELNS0_4arch9wavefront6targetE0EEEvSO_,@function
_ZN7rocprim17ROCPRIM_400000_NS6detail17trampoline_kernelINS0_14default_configENS1_38merge_sort_block_merge_config_selectorIjN6thrust23THRUST_200600_302600_NS5tupleIffNS6_9null_typeES8_S8_S8_S8_S8_S8_S8_EEEEZZNS1_27merge_sort_block_merge_implIS3_NS6_6detail15normal_iteratorINS6_10device_ptrIjEEEENSD_INSE_IS9_EEEEjNS1_19radix_merge_compareILb0ELb0EjNS0_19identity_decomposerEEEEE10hipError_tT0_T1_T2_jT3_P12ihipStream_tbPNSt15iterator_traitsISN_E10value_typeEPNST_ISO_E10value_typeEPSP_NS1_7vsmem_tEENKUlT_SN_SO_SP_E_clISG_PjSI_PS9_EESM_S12_SN_SO_SP_EUlS12_E1_NS1_11comp_targetILNS1_3genE5ELNS1_11target_archE942ELNS1_3gpuE9ELNS1_3repE0EEENS1_36merge_oddeven_config_static_selectorELNS0_4arch9wavefront6targetE0EEEvSO_: ; @_ZN7rocprim17ROCPRIM_400000_NS6detail17trampoline_kernelINS0_14default_configENS1_38merge_sort_block_merge_config_selectorIjN6thrust23THRUST_200600_302600_NS5tupleIffNS6_9null_typeES8_S8_S8_S8_S8_S8_S8_EEEEZZNS1_27merge_sort_block_merge_implIS3_NS6_6detail15normal_iteratorINS6_10device_ptrIjEEEENSD_INSE_IS9_EEEEjNS1_19radix_merge_compareILb0ELb0EjNS0_19identity_decomposerEEEEE10hipError_tT0_T1_T2_jT3_P12ihipStream_tbPNSt15iterator_traitsISN_E10value_typeEPNST_ISO_E10value_typeEPSP_NS1_7vsmem_tEENKUlT_SN_SO_SP_E_clISG_PjSI_PS9_EESM_S12_SN_SO_SP_EUlS12_E1_NS1_11comp_targetILNS1_3genE5ELNS1_11target_archE942ELNS1_3gpuE9ELNS1_3repE0EEENS1_36merge_oddeven_config_static_selectorELNS0_4arch9wavefront6targetE0EEEvSO_
; %bb.0:
	.section	.rodata,"a",@progbits
	.p2align	6, 0x0
	.amdhsa_kernel _ZN7rocprim17ROCPRIM_400000_NS6detail17trampoline_kernelINS0_14default_configENS1_38merge_sort_block_merge_config_selectorIjN6thrust23THRUST_200600_302600_NS5tupleIffNS6_9null_typeES8_S8_S8_S8_S8_S8_S8_EEEEZZNS1_27merge_sort_block_merge_implIS3_NS6_6detail15normal_iteratorINS6_10device_ptrIjEEEENSD_INSE_IS9_EEEEjNS1_19radix_merge_compareILb0ELb0EjNS0_19identity_decomposerEEEEE10hipError_tT0_T1_T2_jT3_P12ihipStream_tbPNSt15iterator_traitsISN_E10value_typeEPNST_ISO_E10value_typeEPSP_NS1_7vsmem_tEENKUlT_SN_SO_SP_E_clISG_PjSI_PS9_EESM_S12_SN_SO_SP_EUlS12_E1_NS1_11comp_targetILNS1_3genE5ELNS1_11target_archE942ELNS1_3gpuE9ELNS1_3repE0EEENS1_36merge_oddeven_config_static_selectorELNS0_4arch9wavefront6targetE0EEEvSO_
		.amdhsa_group_segment_fixed_size 0
		.amdhsa_private_segment_fixed_size 0
		.amdhsa_kernarg_size 48
		.amdhsa_user_sgpr_count 6
		.amdhsa_user_sgpr_private_segment_buffer 1
		.amdhsa_user_sgpr_dispatch_ptr 0
		.amdhsa_user_sgpr_queue_ptr 0
		.amdhsa_user_sgpr_kernarg_segment_ptr 1
		.amdhsa_user_sgpr_dispatch_id 0
		.amdhsa_user_sgpr_flat_scratch_init 0
		.amdhsa_user_sgpr_private_segment_size 0
		.amdhsa_wavefront_size32 1
		.amdhsa_uses_dynamic_stack 0
		.amdhsa_system_sgpr_private_segment_wavefront_offset 0
		.amdhsa_system_sgpr_workgroup_id_x 1
		.amdhsa_system_sgpr_workgroup_id_y 0
		.amdhsa_system_sgpr_workgroup_id_z 0
		.amdhsa_system_sgpr_workgroup_info 0
		.amdhsa_system_vgpr_workitem_id 0
		.amdhsa_next_free_vgpr 1
		.amdhsa_next_free_sgpr 1
		.amdhsa_reserve_vcc 0
		.amdhsa_reserve_flat_scratch 0
		.amdhsa_float_round_mode_32 0
		.amdhsa_float_round_mode_16_64 0
		.amdhsa_float_denorm_mode_32 3
		.amdhsa_float_denorm_mode_16_64 3
		.amdhsa_dx10_clamp 1
		.amdhsa_ieee_mode 1
		.amdhsa_fp16_overflow 0
		.amdhsa_workgroup_processor_mode 1
		.amdhsa_memory_ordered 1
		.amdhsa_forward_progress 1
		.amdhsa_shared_vgpr_count 0
		.amdhsa_exception_fp_ieee_invalid_op 0
		.amdhsa_exception_fp_denorm_src 0
		.amdhsa_exception_fp_ieee_div_zero 0
		.amdhsa_exception_fp_ieee_overflow 0
		.amdhsa_exception_fp_ieee_underflow 0
		.amdhsa_exception_fp_ieee_inexact 0
		.amdhsa_exception_int_div_zero 0
	.end_amdhsa_kernel
	.section	.text._ZN7rocprim17ROCPRIM_400000_NS6detail17trampoline_kernelINS0_14default_configENS1_38merge_sort_block_merge_config_selectorIjN6thrust23THRUST_200600_302600_NS5tupleIffNS6_9null_typeES8_S8_S8_S8_S8_S8_S8_EEEEZZNS1_27merge_sort_block_merge_implIS3_NS6_6detail15normal_iteratorINS6_10device_ptrIjEEEENSD_INSE_IS9_EEEEjNS1_19radix_merge_compareILb0ELb0EjNS0_19identity_decomposerEEEEE10hipError_tT0_T1_T2_jT3_P12ihipStream_tbPNSt15iterator_traitsISN_E10value_typeEPNST_ISO_E10value_typeEPSP_NS1_7vsmem_tEENKUlT_SN_SO_SP_E_clISG_PjSI_PS9_EESM_S12_SN_SO_SP_EUlS12_E1_NS1_11comp_targetILNS1_3genE5ELNS1_11target_archE942ELNS1_3gpuE9ELNS1_3repE0EEENS1_36merge_oddeven_config_static_selectorELNS0_4arch9wavefront6targetE0EEEvSO_,"axG",@progbits,_ZN7rocprim17ROCPRIM_400000_NS6detail17trampoline_kernelINS0_14default_configENS1_38merge_sort_block_merge_config_selectorIjN6thrust23THRUST_200600_302600_NS5tupleIffNS6_9null_typeES8_S8_S8_S8_S8_S8_S8_EEEEZZNS1_27merge_sort_block_merge_implIS3_NS6_6detail15normal_iteratorINS6_10device_ptrIjEEEENSD_INSE_IS9_EEEEjNS1_19radix_merge_compareILb0ELb0EjNS0_19identity_decomposerEEEEE10hipError_tT0_T1_T2_jT3_P12ihipStream_tbPNSt15iterator_traitsISN_E10value_typeEPNST_ISO_E10value_typeEPSP_NS1_7vsmem_tEENKUlT_SN_SO_SP_E_clISG_PjSI_PS9_EESM_S12_SN_SO_SP_EUlS12_E1_NS1_11comp_targetILNS1_3genE5ELNS1_11target_archE942ELNS1_3gpuE9ELNS1_3repE0EEENS1_36merge_oddeven_config_static_selectorELNS0_4arch9wavefront6targetE0EEEvSO_,comdat
.Lfunc_end67:
	.size	_ZN7rocprim17ROCPRIM_400000_NS6detail17trampoline_kernelINS0_14default_configENS1_38merge_sort_block_merge_config_selectorIjN6thrust23THRUST_200600_302600_NS5tupleIffNS6_9null_typeES8_S8_S8_S8_S8_S8_S8_EEEEZZNS1_27merge_sort_block_merge_implIS3_NS6_6detail15normal_iteratorINS6_10device_ptrIjEEEENSD_INSE_IS9_EEEEjNS1_19radix_merge_compareILb0ELb0EjNS0_19identity_decomposerEEEEE10hipError_tT0_T1_T2_jT3_P12ihipStream_tbPNSt15iterator_traitsISN_E10value_typeEPNST_ISO_E10value_typeEPSP_NS1_7vsmem_tEENKUlT_SN_SO_SP_E_clISG_PjSI_PS9_EESM_S12_SN_SO_SP_EUlS12_E1_NS1_11comp_targetILNS1_3genE5ELNS1_11target_archE942ELNS1_3gpuE9ELNS1_3repE0EEENS1_36merge_oddeven_config_static_selectorELNS0_4arch9wavefront6targetE0EEEvSO_, .Lfunc_end67-_ZN7rocprim17ROCPRIM_400000_NS6detail17trampoline_kernelINS0_14default_configENS1_38merge_sort_block_merge_config_selectorIjN6thrust23THRUST_200600_302600_NS5tupleIffNS6_9null_typeES8_S8_S8_S8_S8_S8_S8_EEEEZZNS1_27merge_sort_block_merge_implIS3_NS6_6detail15normal_iteratorINS6_10device_ptrIjEEEENSD_INSE_IS9_EEEEjNS1_19radix_merge_compareILb0ELb0EjNS0_19identity_decomposerEEEEE10hipError_tT0_T1_T2_jT3_P12ihipStream_tbPNSt15iterator_traitsISN_E10value_typeEPNST_ISO_E10value_typeEPSP_NS1_7vsmem_tEENKUlT_SN_SO_SP_E_clISG_PjSI_PS9_EESM_S12_SN_SO_SP_EUlS12_E1_NS1_11comp_targetILNS1_3genE5ELNS1_11target_archE942ELNS1_3gpuE9ELNS1_3repE0EEENS1_36merge_oddeven_config_static_selectorELNS0_4arch9wavefront6targetE0EEEvSO_
                                        ; -- End function
	.set _ZN7rocprim17ROCPRIM_400000_NS6detail17trampoline_kernelINS0_14default_configENS1_38merge_sort_block_merge_config_selectorIjN6thrust23THRUST_200600_302600_NS5tupleIffNS6_9null_typeES8_S8_S8_S8_S8_S8_S8_EEEEZZNS1_27merge_sort_block_merge_implIS3_NS6_6detail15normal_iteratorINS6_10device_ptrIjEEEENSD_INSE_IS9_EEEEjNS1_19radix_merge_compareILb0ELb0EjNS0_19identity_decomposerEEEEE10hipError_tT0_T1_T2_jT3_P12ihipStream_tbPNSt15iterator_traitsISN_E10value_typeEPNST_ISO_E10value_typeEPSP_NS1_7vsmem_tEENKUlT_SN_SO_SP_E_clISG_PjSI_PS9_EESM_S12_SN_SO_SP_EUlS12_E1_NS1_11comp_targetILNS1_3genE5ELNS1_11target_archE942ELNS1_3gpuE9ELNS1_3repE0EEENS1_36merge_oddeven_config_static_selectorELNS0_4arch9wavefront6targetE0EEEvSO_.num_vgpr, 0
	.set _ZN7rocprim17ROCPRIM_400000_NS6detail17trampoline_kernelINS0_14default_configENS1_38merge_sort_block_merge_config_selectorIjN6thrust23THRUST_200600_302600_NS5tupleIffNS6_9null_typeES8_S8_S8_S8_S8_S8_S8_EEEEZZNS1_27merge_sort_block_merge_implIS3_NS6_6detail15normal_iteratorINS6_10device_ptrIjEEEENSD_INSE_IS9_EEEEjNS1_19radix_merge_compareILb0ELb0EjNS0_19identity_decomposerEEEEE10hipError_tT0_T1_T2_jT3_P12ihipStream_tbPNSt15iterator_traitsISN_E10value_typeEPNST_ISO_E10value_typeEPSP_NS1_7vsmem_tEENKUlT_SN_SO_SP_E_clISG_PjSI_PS9_EESM_S12_SN_SO_SP_EUlS12_E1_NS1_11comp_targetILNS1_3genE5ELNS1_11target_archE942ELNS1_3gpuE9ELNS1_3repE0EEENS1_36merge_oddeven_config_static_selectorELNS0_4arch9wavefront6targetE0EEEvSO_.num_agpr, 0
	.set _ZN7rocprim17ROCPRIM_400000_NS6detail17trampoline_kernelINS0_14default_configENS1_38merge_sort_block_merge_config_selectorIjN6thrust23THRUST_200600_302600_NS5tupleIffNS6_9null_typeES8_S8_S8_S8_S8_S8_S8_EEEEZZNS1_27merge_sort_block_merge_implIS3_NS6_6detail15normal_iteratorINS6_10device_ptrIjEEEENSD_INSE_IS9_EEEEjNS1_19radix_merge_compareILb0ELb0EjNS0_19identity_decomposerEEEEE10hipError_tT0_T1_T2_jT3_P12ihipStream_tbPNSt15iterator_traitsISN_E10value_typeEPNST_ISO_E10value_typeEPSP_NS1_7vsmem_tEENKUlT_SN_SO_SP_E_clISG_PjSI_PS9_EESM_S12_SN_SO_SP_EUlS12_E1_NS1_11comp_targetILNS1_3genE5ELNS1_11target_archE942ELNS1_3gpuE9ELNS1_3repE0EEENS1_36merge_oddeven_config_static_selectorELNS0_4arch9wavefront6targetE0EEEvSO_.numbered_sgpr, 0
	.set _ZN7rocprim17ROCPRIM_400000_NS6detail17trampoline_kernelINS0_14default_configENS1_38merge_sort_block_merge_config_selectorIjN6thrust23THRUST_200600_302600_NS5tupleIffNS6_9null_typeES8_S8_S8_S8_S8_S8_S8_EEEEZZNS1_27merge_sort_block_merge_implIS3_NS6_6detail15normal_iteratorINS6_10device_ptrIjEEEENSD_INSE_IS9_EEEEjNS1_19radix_merge_compareILb0ELb0EjNS0_19identity_decomposerEEEEE10hipError_tT0_T1_T2_jT3_P12ihipStream_tbPNSt15iterator_traitsISN_E10value_typeEPNST_ISO_E10value_typeEPSP_NS1_7vsmem_tEENKUlT_SN_SO_SP_E_clISG_PjSI_PS9_EESM_S12_SN_SO_SP_EUlS12_E1_NS1_11comp_targetILNS1_3genE5ELNS1_11target_archE942ELNS1_3gpuE9ELNS1_3repE0EEENS1_36merge_oddeven_config_static_selectorELNS0_4arch9wavefront6targetE0EEEvSO_.num_named_barrier, 0
	.set _ZN7rocprim17ROCPRIM_400000_NS6detail17trampoline_kernelINS0_14default_configENS1_38merge_sort_block_merge_config_selectorIjN6thrust23THRUST_200600_302600_NS5tupleIffNS6_9null_typeES8_S8_S8_S8_S8_S8_S8_EEEEZZNS1_27merge_sort_block_merge_implIS3_NS6_6detail15normal_iteratorINS6_10device_ptrIjEEEENSD_INSE_IS9_EEEEjNS1_19radix_merge_compareILb0ELb0EjNS0_19identity_decomposerEEEEE10hipError_tT0_T1_T2_jT3_P12ihipStream_tbPNSt15iterator_traitsISN_E10value_typeEPNST_ISO_E10value_typeEPSP_NS1_7vsmem_tEENKUlT_SN_SO_SP_E_clISG_PjSI_PS9_EESM_S12_SN_SO_SP_EUlS12_E1_NS1_11comp_targetILNS1_3genE5ELNS1_11target_archE942ELNS1_3gpuE9ELNS1_3repE0EEENS1_36merge_oddeven_config_static_selectorELNS0_4arch9wavefront6targetE0EEEvSO_.private_seg_size, 0
	.set _ZN7rocprim17ROCPRIM_400000_NS6detail17trampoline_kernelINS0_14default_configENS1_38merge_sort_block_merge_config_selectorIjN6thrust23THRUST_200600_302600_NS5tupleIffNS6_9null_typeES8_S8_S8_S8_S8_S8_S8_EEEEZZNS1_27merge_sort_block_merge_implIS3_NS6_6detail15normal_iteratorINS6_10device_ptrIjEEEENSD_INSE_IS9_EEEEjNS1_19radix_merge_compareILb0ELb0EjNS0_19identity_decomposerEEEEE10hipError_tT0_T1_T2_jT3_P12ihipStream_tbPNSt15iterator_traitsISN_E10value_typeEPNST_ISO_E10value_typeEPSP_NS1_7vsmem_tEENKUlT_SN_SO_SP_E_clISG_PjSI_PS9_EESM_S12_SN_SO_SP_EUlS12_E1_NS1_11comp_targetILNS1_3genE5ELNS1_11target_archE942ELNS1_3gpuE9ELNS1_3repE0EEENS1_36merge_oddeven_config_static_selectorELNS0_4arch9wavefront6targetE0EEEvSO_.uses_vcc, 0
	.set _ZN7rocprim17ROCPRIM_400000_NS6detail17trampoline_kernelINS0_14default_configENS1_38merge_sort_block_merge_config_selectorIjN6thrust23THRUST_200600_302600_NS5tupleIffNS6_9null_typeES8_S8_S8_S8_S8_S8_S8_EEEEZZNS1_27merge_sort_block_merge_implIS3_NS6_6detail15normal_iteratorINS6_10device_ptrIjEEEENSD_INSE_IS9_EEEEjNS1_19radix_merge_compareILb0ELb0EjNS0_19identity_decomposerEEEEE10hipError_tT0_T1_T2_jT3_P12ihipStream_tbPNSt15iterator_traitsISN_E10value_typeEPNST_ISO_E10value_typeEPSP_NS1_7vsmem_tEENKUlT_SN_SO_SP_E_clISG_PjSI_PS9_EESM_S12_SN_SO_SP_EUlS12_E1_NS1_11comp_targetILNS1_3genE5ELNS1_11target_archE942ELNS1_3gpuE9ELNS1_3repE0EEENS1_36merge_oddeven_config_static_selectorELNS0_4arch9wavefront6targetE0EEEvSO_.uses_flat_scratch, 0
	.set _ZN7rocprim17ROCPRIM_400000_NS6detail17trampoline_kernelINS0_14default_configENS1_38merge_sort_block_merge_config_selectorIjN6thrust23THRUST_200600_302600_NS5tupleIffNS6_9null_typeES8_S8_S8_S8_S8_S8_S8_EEEEZZNS1_27merge_sort_block_merge_implIS3_NS6_6detail15normal_iteratorINS6_10device_ptrIjEEEENSD_INSE_IS9_EEEEjNS1_19radix_merge_compareILb0ELb0EjNS0_19identity_decomposerEEEEE10hipError_tT0_T1_T2_jT3_P12ihipStream_tbPNSt15iterator_traitsISN_E10value_typeEPNST_ISO_E10value_typeEPSP_NS1_7vsmem_tEENKUlT_SN_SO_SP_E_clISG_PjSI_PS9_EESM_S12_SN_SO_SP_EUlS12_E1_NS1_11comp_targetILNS1_3genE5ELNS1_11target_archE942ELNS1_3gpuE9ELNS1_3repE0EEENS1_36merge_oddeven_config_static_selectorELNS0_4arch9wavefront6targetE0EEEvSO_.has_dyn_sized_stack, 0
	.set _ZN7rocprim17ROCPRIM_400000_NS6detail17trampoline_kernelINS0_14default_configENS1_38merge_sort_block_merge_config_selectorIjN6thrust23THRUST_200600_302600_NS5tupleIffNS6_9null_typeES8_S8_S8_S8_S8_S8_S8_EEEEZZNS1_27merge_sort_block_merge_implIS3_NS6_6detail15normal_iteratorINS6_10device_ptrIjEEEENSD_INSE_IS9_EEEEjNS1_19radix_merge_compareILb0ELb0EjNS0_19identity_decomposerEEEEE10hipError_tT0_T1_T2_jT3_P12ihipStream_tbPNSt15iterator_traitsISN_E10value_typeEPNST_ISO_E10value_typeEPSP_NS1_7vsmem_tEENKUlT_SN_SO_SP_E_clISG_PjSI_PS9_EESM_S12_SN_SO_SP_EUlS12_E1_NS1_11comp_targetILNS1_3genE5ELNS1_11target_archE942ELNS1_3gpuE9ELNS1_3repE0EEENS1_36merge_oddeven_config_static_selectorELNS0_4arch9wavefront6targetE0EEEvSO_.has_recursion, 0
	.set _ZN7rocprim17ROCPRIM_400000_NS6detail17trampoline_kernelINS0_14default_configENS1_38merge_sort_block_merge_config_selectorIjN6thrust23THRUST_200600_302600_NS5tupleIffNS6_9null_typeES8_S8_S8_S8_S8_S8_S8_EEEEZZNS1_27merge_sort_block_merge_implIS3_NS6_6detail15normal_iteratorINS6_10device_ptrIjEEEENSD_INSE_IS9_EEEEjNS1_19radix_merge_compareILb0ELb0EjNS0_19identity_decomposerEEEEE10hipError_tT0_T1_T2_jT3_P12ihipStream_tbPNSt15iterator_traitsISN_E10value_typeEPNST_ISO_E10value_typeEPSP_NS1_7vsmem_tEENKUlT_SN_SO_SP_E_clISG_PjSI_PS9_EESM_S12_SN_SO_SP_EUlS12_E1_NS1_11comp_targetILNS1_3genE5ELNS1_11target_archE942ELNS1_3gpuE9ELNS1_3repE0EEENS1_36merge_oddeven_config_static_selectorELNS0_4arch9wavefront6targetE0EEEvSO_.has_indirect_call, 0
	.section	.AMDGPU.csdata,"",@progbits
; Kernel info:
; codeLenInByte = 0
; TotalNumSgprs: 0
; NumVgprs: 0
; ScratchSize: 0
; MemoryBound: 0
; FloatMode: 240
; IeeeMode: 1
; LDSByteSize: 0 bytes/workgroup (compile time only)
; SGPRBlocks: 0
; VGPRBlocks: 0
; NumSGPRsForWavesPerEU: 1
; NumVGPRsForWavesPerEU: 1
; Occupancy: 16
; WaveLimiterHint : 0
; COMPUTE_PGM_RSRC2:SCRATCH_EN: 0
; COMPUTE_PGM_RSRC2:USER_SGPR: 6
; COMPUTE_PGM_RSRC2:TRAP_HANDLER: 0
; COMPUTE_PGM_RSRC2:TGID_X_EN: 1
; COMPUTE_PGM_RSRC2:TGID_Y_EN: 0
; COMPUTE_PGM_RSRC2:TGID_Z_EN: 0
; COMPUTE_PGM_RSRC2:TIDIG_COMP_CNT: 0
	.section	.text._ZN7rocprim17ROCPRIM_400000_NS6detail17trampoline_kernelINS0_14default_configENS1_38merge_sort_block_merge_config_selectorIjN6thrust23THRUST_200600_302600_NS5tupleIffNS6_9null_typeES8_S8_S8_S8_S8_S8_S8_EEEEZZNS1_27merge_sort_block_merge_implIS3_NS6_6detail15normal_iteratorINS6_10device_ptrIjEEEENSD_INSE_IS9_EEEEjNS1_19radix_merge_compareILb0ELb0EjNS0_19identity_decomposerEEEEE10hipError_tT0_T1_T2_jT3_P12ihipStream_tbPNSt15iterator_traitsISN_E10value_typeEPNST_ISO_E10value_typeEPSP_NS1_7vsmem_tEENKUlT_SN_SO_SP_E_clISG_PjSI_PS9_EESM_S12_SN_SO_SP_EUlS12_E1_NS1_11comp_targetILNS1_3genE4ELNS1_11target_archE910ELNS1_3gpuE8ELNS1_3repE0EEENS1_36merge_oddeven_config_static_selectorELNS0_4arch9wavefront6targetE0EEEvSO_,"axG",@progbits,_ZN7rocprim17ROCPRIM_400000_NS6detail17trampoline_kernelINS0_14default_configENS1_38merge_sort_block_merge_config_selectorIjN6thrust23THRUST_200600_302600_NS5tupleIffNS6_9null_typeES8_S8_S8_S8_S8_S8_S8_EEEEZZNS1_27merge_sort_block_merge_implIS3_NS6_6detail15normal_iteratorINS6_10device_ptrIjEEEENSD_INSE_IS9_EEEEjNS1_19radix_merge_compareILb0ELb0EjNS0_19identity_decomposerEEEEE10hipError_tT0_T1_T2_jT3_P12ihipStream_tbPNSt15iterator_traitsISN_E10value_typeEPNST_ISO_E10value_typeEPSP_NS1_7vsmem_tEENKUlT_SN_SO_SP_E_clISG_PjSI_PS9_EESM_S12_SN_SO_SP_EUlS12_E1_NS1_11comp_targetILNS1_3genE4ELNS1_11target_archE910ELNS1_3gpuE8ELNS1_3repE0EEENS1_36merge_oddeven_config_static_selectorELNS0_4arch9wavefront6targetE0EEEvSO_,comdat
	.protected	_ZN7rocprim17ROCPRIM_400000_NS6detail17trampoline_kernelINS0_14default_configENS1_38merge_sort_block_merge_config_selectorIjN6thrust23THRUST_200600_302600_NS5tupleIffNS6_9null_typeES8_S8_S8_S8_S8_S8_S8_EEEEZZNS1_27merge_sort_block_merge_implIS3_NS6_6detail15normal_iteratorINS6_10device_ptrIjEEEENSD_INSE_IS9_EEEEjNS1_19radix_merge_compareILb0ELb0EjNS0_19identity_decomposerEEEEE10hipError_tT0_T1_T2_jT3_P12ihipStream_tbPNSt15iterator_traitsISN_E10value_typeEPNST_ISO_E10value_typeEPSP_NS1_7vsmem_tEENKUlT_SN_SO_SP_E_clISG_PjSI_PS9_EESM_S12_SN_SO_SP_EUlS12_E1_NS1_11comp_targetILNS1_3genE4ELNS1_11target_archE910ELNS1_3gpuE8ELNS1_3repE0EEENS1_36merge_oddeven_config_static_selectorELNS0_4arch9wavefront6targetE0EEEvSO_ ; -- Begin function _ZN7rocprim17ROCPRIM_400000_NS6detail17trampoline_kernelINS0_14default_configENS1_38merge_sort_block_merge_config_selectorIjN6thrust23THRUST_200600_302600_NS5tupleIffNS6_9null_typeES8_S8_S8_S8_S8_S8_S8_EEEEZZNS1_27merge_sort_block_merge_implIS3_NS6_6detail15normal_iteratorINS6_10device_ptrIjEEEENSD_INSE_IS9_EEEEjNS1_19radix_merge_compareILb0ELb0EjNS0_19identity_decomposerEEEEE10hipError_tT0_T1_T2_jT3_P12ihipStream_tbPNSt15iterator_traitsISN_E10value_typeEPNST_ISO_E10value_typeEPSP_NS1_7vsmem_tEENKUlT_SN_SO_SP_E_clISG_PjSI_PS9_EESM_S12_SN_SO_SP_EUlS12_E1_NS1_11comp_targetILNS1_3genE4ELNS1_11target_archE910ELNS1_3gpuE8ELNS1_3repE0EEENS1_36merge_oddeven_config_static_selectorELNS0_4arch9wavefront6targetE0EEEvSO_
	.globl	_ZN7rocprim17ROCPRIM_400000_NS6detail17trampoline_kernelINS0_14default_configENS1_38merge_sort_block_merge_config_selectorIjN6thrust23THRUST_200600_302600_NS5tupleIffNS6_9null_typeES8_S8_S8_S8_S8_S8_S8_EEEEZZNS1_27merge_sort_block_merge_implIS3_NS6_6detail15normal_iteratorINS6_10device_ptrIjEEEENSD_INSE_IS9_EEEEjNS1_19radix_merge_compareILb0ELb0EjNS0_19identity_decomposerEEEEE10hipError_tT0_T1_T2_jT3_P12ihipStream_tbPNSt15iterator_traitsISN_E10value_typeEPNST_ISO_E10value_typeEPSP_NS1_7vsmem_tEENKUlT_SN_SO_SP_E_clISG_PjSI_PS9_EESM_S12_SN_SO_SP_EUlS12_E1_NS1_11comp_targetILNS1_3genE4ELNS1_11target_archE910ELNS1_3gpuE8ELNS1_3repE0EEENS1_36merge_oddeven_config_static_selectorELNS0_4arch9wavefront6targetE0EEEvSO_
	.p2align	8
	.type	_ZN7rocprim17ROCPRIM_400000_NS6detail17trampoline_kernelINS0_14default_configENS1_38merge_sort_block_merge_config_selectorIjN6thrust23THRUST_200600_302600_NS5tupleIffNS6_9null_typeES8_S8_S8_S8_S8_S8_S8_EEEEZZNS1_27merge_sort_block_merge_implIS3_NS6_6detail15normal_iteratorINS6_10device_ptrIjEEEENSD_INSE_IS9_EEEEjNS1_19radix_merge_compareILb0ELb0EjNS0_19identity_decomposerEEEEE10hipError_tT0_T1_T2_jT3_P12ihipStream_tbPNSt15iterator_traitsISN_E10value_typeEPNST_ISO_E10value_typeEPSP_NS1_7vsmem_tEENKUlT_SN_SO_SP_E_clISG_PjSI_PS9_EESM_S12_SN_SO_SP_EUlS12_E1_NS1_11comp_targetILNS1_3genE4ELNS1_11target_archE910ELNS1_3gpuE8ELNS1_3repE0EEENS1_36merge_oddeven_config_static_selectorELNS0_4arch9wavefront6targetE0EEEvSO_,@function
_ZN7rocprim17ROCPRIM_400000_NS6detail17trampoline_kernelINS0_14default_configENS1_38merge_sort_block_merge_config_selectorIjN6thrust23THRUST_200600_302600_NS5tupleIffNS6_9null_typeES8_S8_S8_S8_S8_S8_S8_EEEEZZNS1_27merge_sort_block_merge_implIS3_NS6_6detail15normal_iteratorINS6_10device_ptrIjEEEENSD_INSE_IS9_EEEEjNS1_19radix_merge_compareILb0ELb0EjNS0_19identity_decomposerEEEEE10hipError_tT0_T1_T2_jT3_P12ihipStream_tbPNSt15iterator_traitsISN_E10value_typeEPNST_ISO_E10value_typeEPSP_NS1_7vsmem_tEENKUlT_SN_SO_SP_E_clISG_PjSI_PS9_EESM_S12_SN_SO_SP_EUlS12_E1_NS1_11comp_targetILNS1_3genE4ELNS1_11target_archE910ELNS1_3gpuE8ELNS1_3repE0EEENS1_36merge_oddeven_config_static_selectorELNS0_4arch9wavefront6targetE0EEEvSO_: ; @_ZN7rocprim17ROCPRIM_400000_NS6detail17trampoline_kernelINS0_14default_configENS1_38merge_sort_block_merge_config_selectorIjN6thrust23THRUST_200600_302600_NS5tupleIffNS6_9null_typeES8_S8_S8_S8_S8_S8_S8_EEEEZZNS1_27merge_sort_block_merge_implIS3_NS6_6detail15normal_iteratorINS6_10device_ptrIjEEEENSD_INSE_IS9_EEEEjNS1_19radix_merge_compareILb0ELb0EjNS0_19identity_decomposerEEEEE10hipError_tT0_T1_T2_jT3_P12ihipStream_tbPNSt15iterator_traitsISN_E10value_typeEPNST_ISO_E10value_typeEPSP_NS1_7vsmem_tEENKUlT_SN_SO_SP_E_clISG_PjSI_PS9_EESM_S12_SN_SO_SP_EUlS12_E1_NS1_11comp_targetILNS1_3genE4ELNS1_11target_archE910ELNS1_3gpuE8ELNS1_3repE0EEENS1_36merge_oddeven_config_static_selectorELNS0_4arch9wavefront6targetE0EEEvSO_
; %bb.0:
	.section	.rodata,"a",@progbits
	.p2align	6, 0x0
	.amdhsa_kernel _ZN7rocprim17ROCPRIM_400000_NS6detail17trampoline_kernelINS0_14default_configENS1_38merge_sort_block_merge_config_selectorIjN6thrust23THRUST_200600_302600_NS5tupleIffNS6_9null_typeES8_S8_S8_S8_S8_S8_S8_EEEEZZNS1_27merge_sort_block_merge_implIS3_NS6_6detail15normal_iteratorINS6_10device_ptrIjEEEENSD_INSE_IS9_EEEEjNS1_19radix_merge_compareILb0ELb0EjNS0_19identity_decomposerEEEEE10hipError_tT0_T1_T2_jT3_P12ihipStream_tbPNSt15iterator_traitsISN_E10value_typeEPNST_ISO_E10value_typeEPSP_NS1_7vsmem_tEENKUlT_SN_SO_SP_E_clISG_PjSI_PS9_EESM_S12_SN_SO_SP_EUlS12_E1_NS1_11comp_targetILNS1_3genE4ELNS1_11target_archE910ELNS1_3gpuE8ELNS1_3repE0EEENS1_36merge_oddeven_config_static_selectorELNS0_4arch9wavefront6targetE0EEEvSO_
		.amdhsa_group_segment_fixed_size 0
		.amdhsa_private_segment_fixed_size 0
		.amdhsa_kernarg_size 48
		.amdhsa_user_sgpr_count 6
		.amdhsa_user_sgpr_private_segment_buffer 1
		.amdhsa_user_sgpr_dispatch_ptr 0
		.amdhsa_user_sgpr_queue_ptr 0
		.amdhsa_user_sgpr_kernarg_segment_ptr 1
		.amdhsa_user_sgpr_dispatch_id 0
		.amdhsa_user_sgpr_flat_scratch_init 0
		.amdhsa_user_sgpr_private_segment_size 0
		.amdhsa_wavefront_size32 1
		.amdhsa_uses_dynamic_stack 0
		.amdhsa_system_sgpr_private_segment_wavefront_offset 0
		.amdhsa_system_sgpr_workgroup_id_x 1
		.amdhsa_system_sgpr_workgroup_id_y 0
		.amdhsa_system_sgpr_workgroup_id_z 0
		.amdhsa_system_sgpr_workgroup_info 0
		.amdhsa_system_vgpr_workitem_id 0
		.amdhsa_next_free_vgpr 1
		.amdhsa_next_free_sgpr 1
		.amdhsa_reserve_vcc 0
		.amdhsa_reserve_flat_scratch 0
		.amdhsa_float_round_mode_32 0
		.amdhsa_float_round_mode_16_64 0
		.amdhsa_float_denorm_mode_32 3
		.amdhsa_float_denorm_mode_16_64 3
		.amdhsa_dx10_clamp 1
		.amdhsa_ieee_mode 1
		.amdhsa_fp16_overflow 0
		.amdhsa_workgroup_processor_mode 1
		.amdhsa_memory_ordered 1
		.amdhsa_forward_progress 1
		.amdhsa_shared_vgpr_count 0
		.amdhsa_exception_fp_ieee_invalid_op 0
		.amdhsa_exception_fp_denorm_src 0
		.amdhsa_exception_fp_ieee_div_zero 0
		.amdhsa_exception_fp_ieee_overflow 0
		.amdhsa_exception_fp_ieee_underflow 0
		.amdhsa_exception_fp_ieee_inexact 0
		.amdhsa_exception_int_div_zero 0
	.end_amdhsa_kernel
	.section	.text._ZN7rocprim17ROCPRIM_400000_NS6detail17trampoline_kernelINS0_14default_configENS1_38merge_sort_block_merge_config_selectorIjN6thrust23THRUST_200600_302600_NS5tupleIffNS6_9null_typeES8_S8_S8_S8_S8_S8_S8_EEEEZZNS1_27merge_sort_block_merge_implIS3_NS6_6detail15normal_iteratorINS6_10device_ptrIjEEEENSD_INSE_IS9_EEEEjNS1_19radix_merge_compareILb0ELb0EjNS0_19identity_decomposerEEEEE10hipError_tT0_T1_T2_jT3_P12ihipStream_tbPNSt15iterator_traitsISN_E10value_typeEPNST_ISO_E10value_typeEPSP_NS1_7vsmem_tEENKUlT_SN_SO_SP_E_clISG_PjSI_PS9_EESM_S12_SN_SO_SP_EUlS12_E1_NS1_11comp_targetILNS1_3genE4ELNS1_11target_archE910ELNS1_3gpuE8ELNS1_3repE0EEENS1_36merge_oddeven_config_static_selectorELNS0_4arch9wavefront6targetE0EEEvSO_,"axG",@progbits,_ZN7rocprim17ROCPRIM_400000_NS6detail17trampoline_kernelINS0_14default_configENS1_38merge_sort_block_merge_config_selectorIjN6thrust23THRUST_200600_302600_NS5tupleIffNS6_9null_typeES8_S8_S8_S8_S8_S8_S8_EEEEZZNS1_27merge_sort_block_merge_implIS3_NS6_6detail15normal_iteratorINS6_10device_ptrIjEEEENSD_INSE_IS9_EEEEjNS1_19radix_merge_compareILb0ELb0EjNS0_19identity_decomposerEEEEE10hipError_tT0_T1_T2_jT3_P12ihipStream_tbPNSt15iterator_traitsISN_E10value_typeEPNST_ISO_E10value_typeEPSP_NS1_7vsmem_tEENKUlT_SN_SO_SP_E_clISG_PjSI_PS9_EESM_S12_SN_SO_SP_EUlS12_E1_NS1_11comp_targetILNS1_3genE4ELNS1_11target_archE910ELNS1_3gpuE8ELNS1_3repE0EEENS1_36merge_oddeven_config_static_selectorELNS0_4arch9wavefront6targetE0EEEvSO_,comdat
.Lfunc_end68:
	.size	_ZN7rocprim17ROCPRIM_400000_NS6detail17trampoline_kernelINS0_14default_configENS1_38merge_sort_block_merge_config_selectorIjN6thrust23THRUST_200600_302600_NS5tupleIffNS6_9null_typeES8_S8_S8_S8_S8_S8_S8_EEEEZZNS1_27merge_sort_block_merge_implIS3_NS6_6detail15normal_iteratorINS6_10device_ptrIjEEEENSD_INSE_IS9_EEEEjNS1_19radix_merge_compareILb0ELb0EjNS0_19identity_decomposerEEEEE10hipError_tT0_T1_T2_jT3_P12ihipStream_tbPNSt15iterator_traitsISN_E10value_typeEPNST_ISO_E10value_typeEPSP_NS1_7vsmem_tEENKUlT_SN_SO_SP_E_clISG_PjSI_PS9_EESM_S12_SN_SO_SP_EUlS12_E1_NS1_11comp_targetILNS1_3genE4ELNS1_11target_archE910ELNS1_3gpuE8ELNS1_3repE0EEENS1_36merge_oddeven_config_static_selectorELNS0_4arch9wavefront6targetE0EEEvSO_, .Lfunc_end68-_ZN7rocprim17ROCPRIM_400000_NS6detail17trampoline_kernelINS0_14default_configENS1_38merge_sort_block_merge_config_selectorIjN6thrust23THRUST_200600_302600_NS5tupleIffNS6_9null_typeES8_S8_S8_S8_S8_S8_S8_EEEEZZNS1_27merge_sort_block_merge_implIS3_NS6_6detail15normal_iteratorINS6_10device_ptrIjEEEENSD_INSE_IS9_EEEEjNS1_19radix_merge_compareILb0ELb0EjNS0_19identity_decomposerEEEEE10hipError_tT0_T1_T2_jT3_P12ihipStream_tbPNSt15iterator_traitsISN_E10value_typeEPNST_ISO_E10value_typeEPSP_NS1_7vsmem_tEENKUlT_SN_SO_SP_E_clISG_PjSI_PS9_EESM_S12_SN_SO_SP_EUlS12_E1_NS1_11comp_targetILNS1_3genE4ELNS1_11target_archE910ELNS1_3gpuE8ELNS1_3repE0EEENS1_36merge_oddeven_config_static_selectorELNS0_4arch9wavefront6targetE0EEEvSO_
                                        ; -- End function
	.set _ZN7rocprim17ROCPRIM_400000_NS6detail17trampoline_kernelINS0_14default_configENS1_38merge_sort_block_merge_config_selectorIjN6thrust23THRUST_200600_302600_NS5tupleIffNS6_9null_typeES8_S8_S8_S8_S8_S8_S8_EEEEZZNS1_27merge_sort_block_merge_implIS3_NS6_6detail15normal_iteratorINS6_10device_ptrIjEEEENSD_INSE_IS9_EEEEjNS1_19radix_merge_compareILb0ELb0EjNS0_19identity_decomposerEEEEE10hipError_tT0_T1_T2_jT3_P12ihipStream_tbPNSt15iterator_traitsISN_E10value_typeEPNST_ISO_E10value_typeEPSP_NS1_7vsmem_tEENKUlT_SN_SO_SP_E_clISG_PjSI_PS9_EESM_S12_SN_SO_SP_EUlS12_E1_NS1_11comp_targetILNS1_3genE4ELNS1_11target_archE910ELNS1_3gpuE8ELNS1_3repE0EEENS1_36merge_oddeven_config_static_selectorELNS0_4arch9wavefront6targetE0EEEvSO_.num_vgpr, 0
	.set _ZN7rocprim17ROCPRIM_400000_NS6detail17trampoline_kernelINS0_14default_configENS1_38merge_sort_block_merge_config_selectorIjN6thrust23THRUST_200600_302600_NS5tupleIffNS6_9null_typeES8_S8_S8_S8_S8_S8_S8_EEEEZZNS1_27merge_sort_block_merge_implIS3_NS6_6detail15normal_iteratorINS6_10device_ptrIjEEEENSD_INSE_IS9_EEEEjNS1_19radix_merge_compareILb0ELb0EjNS0_19identity_decomposerEEEEE10hipError_tT0_T1_T2_jT3_P12ihipStream_tbPNSt15iterator_traitsISN_E10value_typeEPNST_ISO_E10value_typeEPSP_NS1_7vsmem_tEENKUlT_SN_SO_SP_E_clISG_PjSI_PS9_EESM_S12_SN_SO_SP_EUlS12_E1_NS1_11comp_targetILNS1_3genE4ELNS1_11target_archE910ELNS1_3gpuE8ELNS1_3repE0EEENS1_36merge_oddeven_config_static_selectorELNS0_4arch9wavefront6targetE0EEEvSO_.num_agpr, 0
	.set _ZN7rocprim17ROCPRIM_400000_NS6detail17trampoline_kernelINS0_14default_configENS1_38merge_sort_block_merge_config_selectorIjN6thrust23THRUST_200600_302600_NS5tupleIffNS6_9null_typeES8_S8_S8_S8_S8_S8_S8_EEEEZZNS1_27merge_sort_block_merge_implIS3_NS6_6detail15normal_iteratorINS6_10device_ptrIjEEEENSD_INSE_IS9_EEEEjNS1_19radix_merge_compareILb0ELb0EjNS0_19identity_decomposerEEEEE10hipError_tT0_T1_T2_jT3_P12ihipStream_tbPNSt15iterator_traitsISN_E10value_typeEPNST_ISO_E10value_typeEPSP_NS1_7vsmem_tEENKUlT_SN_SO_SP_E_clISG_PjSI_PS9_EESM_S12_SN_SO_SP_EUlS12_E1_NS1_11comp_targetILNS1_3genE4ELNS1_11target_archE910ELNS1_3gpuE8ELNS1_3repE0EEENS1_36merge_oddeven_config_static_selectorELNS0_4arch9wavefront6targetE0EEEvSO_.numbered_sgpr, 0
	.set _ZN7rocprim17ROCPRIM_400000_NS6detail17trampoline_kernelINS0_14default_configENS1_38merge_sort_block_merge_config_selectorIjN6thrust23THRUST_200600_302600_NS5tupleIffNS6_9null_typeES8_S8_S8_S8_S8_S8_S8_EEEEZZNS1_27merge_sort_block_merge_implIS3_NS6_6detail15normal_iteratorINS6_10device_ptrIjEEEENSD_INSE_IS9_EEEEjNS1_19radix_merge_compareILb0ELb0EjNS0_19identity_decomposerEEEEE10hipError_tT0_T1_T2_jT3_P12ihipStream_tbPNSt15iterator_traitsISN_E10value_typeEPNST_ISO_E10value_typeEPSP_NS1_7vsmem_tEENKUlT_SN_SO_SP_E_clISG_PjSI_PS9_EESM_S12_SN_SO_SP_EUlS12_E1_NS1_11comp_targetILNS1_3genE4ELNS1_11target_archE910ELNS1_3gpuE8ELNS1_3repE0EEENS1_36merge_oddeven_config_static_selectorELNS0_4arch9wavefront6targetE0EEEvSO_.num_named_barrier, 0
	.set _ZN7rocprim17ROCPRIM_400000_NS6detail17trampoline_kernelINS0_14default_configENS1_38merge_sort_block_merge_config_selectorIjN6thrust23THRUST_200600_302600_NS5tupleIffNS6_9null_typeES8_S8_S8_S8_S8_S8_S8_EEEEZZNS1_27merge_sort_block_merge_implIS3_NS6_6detail15normal_iteratorINS6_10device_ptrIjEEEENSD_INSE_IS9_EEEEjNS1_19radix_merge_compareILb0ELb0EjNS0_19identity_decomposerEEEEE10hipError_tT0_T1_T2_jT3_P12ihipStream_tbPNSt15iterator_traitsISN_E10value_typeEPNST_ISO_E10value_typeEPSP_NS1_7vsmem_tEENKUlT_SN_SO_SP_E_clISG_PjSI_PS9_EESM_S12_SN_SO_SP_EUlS12_E1_NS1_11comp_targetILNS1_3genE4ELNS1_11target_archE910ELNS1_3gpuE8ELNS1_3repE0EEENS1_36merge_oddeven_config_static_selectorELNS0_4arch9wavefront6targetE0EEEvSO_.private_seg_size, 0
	.set _ZN7rocprim17ROCPRIM_400000_NS6detail17trampoline_kernelINS0_14default_configENS1_38merge_sort_block_merge_config_selectorIjN6thrust23THRUST_200600_302600_NS5tupleIffNS6_9null_typeES8_S8_S8_S8_S8_S8_S8_EEEEZZNS1_27merge_sort_block_merge_implIS3_NS6_6detail15normal_iteratorINS6_10device_ptrIjEEEENSD_INSE_IS9_EEEEjNS1_19radix_merge_compareILb0ELb0EjNS0_19identity_decomposerEEEEE10hipError_tT0_T1_T2_jT3_P12ihipStream_tbPNSt15iterator_traitsISN_E10value_typeEPNST_ISO_E10value_typeEPSP_NS1_7vsmem_tEENKUlT_SN_SO_SP_E_clISG_PjSI_PS9_EESM_S12_SN_SO_SP_EUlS12_E1_NS1_11comp_targetILNS1_3genE4ELNS1_11target_archE910ELNS1_3gpuE8ELNS1_3repE0EEENS1_36merge_oddeven_config_static_selectorELNS0_4arch9wavefront6targetE0EEEvSO_.uses_vcc, 0
	.set _ZN7rocprim17ROCPRIM_400000_NS6detail17trampoline_kernelINS0_14default_configENS1_38merge_sort_block_merge_config_selectorIjN6thrust23THRUST_200600_302600_NS5tupleIffNS6_9null_typeES8_S8_S8_S8_S8_S8_S8_EEEEZZNS1_27merge_sort_block_merge_implIS3_NS6_6detail15normal_iteratorINS6_10device_ptrIjEEEENSD_INSE_IS9_EEEEjNS1_19radix_merge_compareILb0ELb0EjNS0_19identity_decomposerEEEEE10hipError_tT0_T1_T2_jT3_P12ihipStream_tbPNSt15iterator_traitsISN_E10value_typeEPNST_ISO_E10value_typeEPSP_NS1_7vsmem_tEENKUlT_SN_SO_SP_E_clISG_PjSI_PS9_EESM_S12_SN_SO_SP_EUlS12_E1_NS1_11comp_targetILNS1_3genE4ELNS1_11target_archE910ELNS1_3gpuE8ELNS1_3repE0EEENS1_36merge_oddeven_config_static_selectorELNS0_4arch9wavefront6targetE0EEEvSO_.uses_flat_scratch, 0
	.set _ZN7rocprim17ROCPRIM_400000_NS6detail17trampoline_kernelINS0_14default_configENS1_38merge_sort_block_merge_config_selectorIjN6thrust23THRUST_200600_302600_NS5tupleIffNS6_9null_typeES8_S8_S8_S8_S8_S8_S8_EEEEZZNS1_27merge_sort_block_merge_implIS3_NS6_6detail15normal_iteratorINS6_10device_ptrIjEEEENSD_INSE_IS9_EEEEjNS1_19radix_merge_compareILb0ELb0EjNS0_19identity_decomposerEEEEE10hipError_tT0_T1_T2_jT3_P12ihipStream_tbPNSt15iterator_traitsISN_E10value_typeEPNST_ISO_E10value_typeEPSP_NS1_7vsmem_tEENKUlT_SN_SO_SP_E_clISG_PjSI_PS9_EESM_S12_SN_SO_SP_EUlS12_E1_NS1_11comp_targetILNS1_3genE4ELNS1_11target_archE910ELNS1_3gpuE8ELNS1_3repE0EEENS1_36merge_oddeven_config_static_selectorELNS0_4arch9wavefront6targetE0EEEvSO_.has_dyn_sized_stack, 0
	.set _ZN7rocprim17ROCPRIM_400000_NS6detail17trampoline_kernelINS0_14default_configENS1_38merge_sort_block_merge_config_selectorIjN6thrust23THRUST_200600_302600_NS5tupleIffNS6_9null_typeES8_S8_S8_S8_S8_S8_S8_EEEEZZNS1_27merge_sort_block_merge_implIS3_NS6_6detail15normal_iteratorINS6_10device_ptrIjEEEENSD_INSE_IS9_EEEEjNS1_19radix_merge_compareILb0ELb0EjNS0_19identity_decomposerEEEEE10hipError_tT0_T1_T2_jT3_P12ihipStream_tbPNSt15iterator_traitsISN_E10value_typeEPNST_ISO_E10value_typeEPSP_NS1_7vsmem_tEENKUlT_SN_SO_SP_E_clISG_PjSI_PS9_EESM_S12_SN_SO_SP_EUlS12_E1_NS1_11comp_targetILNS1_3genE4ELNS1_11target_archE910ELNS1_3gpuE8ELNS1_3repE0EEENS1_36merge_oddeven_config_static_selectorELNS0_4arch9wavefront6targetE0EEEvSO_.has_recursion, 0
	.set _ZN7rocprim17ROCPRIM_400000_NS6detail17trampoline_kernelINS0_14default_configENS1_38merge_sort_block_merge_config_selectorIjN6thrust23THRUST_200600_302600_NS5tupleIffNS6_9null_typeES8_S8_S8_S8_S8_S8_S8_EEEEZZNS1_27merge_sort_block_merge_implIS3_NS6_6detail15normal_iteratorINS6_10device_ptrIjEEEENSD_INSE_IS9_EEEEjNS1_19radix_merge_compareILb0ELb0EjNS0_19identity_decomposerEEEEE10hipError_tT0_T1_T2_jT3_P12ihipStream_tbPNSt15iterator_traitsISN_E10value_typeEPNST_ISO_E10value_typeEPSP_NS1_7vsmem_tEENKUlT_SN_SO_SP_E_clISG_PjSI_PS9_EESM_S12_SN_SO_SP_EUlS12_E1_NS1_11comp_targetILNS1_3genE4ELNS1_11target_archE910ELNS1_3gpuE8ELNS1_3repE0EEENS1_36merge_oddeven_config_static_selectorELNS0_4arch9wavefront6targetE0EEEvSO_.has_indirect_call, 0
	.section	.AMDGPU.csdata,"",@progbits
; Kernel info:
; codeLenInByte = 0
; TotalNumSgprs: 0
; NumVgprs: 0
; ScratchSize: 0
; MemoryBound: 0
; FloatMode: 240
; IeeeMode: 1
; LDSByteSize: 0 bytes/workgroup (compile time only)
; SGPRBlocks: 0
; VGPRBlocks: 0
; NumSGPRsForWavesPerEU: 1
; NumVGPRsForWavesPerEU: 1
; Occupancy: 16
; WaveLimiterHint : 0
; COMPUTE_PGM_RSRC2:SCRATCH_EN: 0
; COMPUTE_PGM_RSRC2:USER_SGPR: 6
; COMPUTE_PGM_RSRC2:TRAP_HANDLER: 0
; COMPUTE_PGM_RSRC2:TGID_X_EN: 1
; COMPUTE_PGM_RSRC2:TGID_Y_EN: 0
; COMPUTE_PGM_RSRC2:TGID_Z_EN: 0
; COMPUTE_PGM_RSRC2:TIDIG_COMP_CNT: 0
	.section	.text._ZN7rocprim17ROCPRIM_400000_NS6detail17trampoline_kernelINS0_14default_configENS1_38merge_sort_block_merge_config_selectorIjN6thrust23THRUST_200600_302600_NS5tupleIffNS6_9null_typeES8_S8_S8_S8_S8_S8_S8_EEEEZZNS1_27merge_sort_block_merge_implIS3_NS6_6detail15normal_iteratorINS6_10device_ptrIjEEEENSD_INSE_IS9_EEEEjNS1_19radix_merge_compareILb0ELb0EjNS0_19identity_decomposerEEEEE10hipError_tT0_T1_T2_jT3_P12ihipStream_tbPNSt15iterator_traitsISN_E10value_typeEPNST_ISO_E10value_typeEPSP_NS1_7vsmem_tEENKUlT_SN_SO_SP_E_clISG_PjSI_PS9_EESM_S12_SN_SO_SP_EUlS12_E1_NS1_11comp_targetILNS1_3genE3ELNS1_11target_archE908ELNS1_3gpuE7ELNS1_3repE0EEENS1_36merge_oddeven_config_static_selectorELNS0_4arch9wavefront6targetE0EEEvSO_,"axG",@progbits,_ZN7rocprim17ROCPRIM_400000_NS6detail17trampoline_kernelINS0_14default_configENS1_38merge_sort_block_merge_config_selectorIjN6thrust23THRUST_200600_302600_NS5tupleIffNS6_9null_typeES8_S8_S8_S8_S8_S8_S8_EEEEZZNS1_27merge_sort_block_merge_implIS3_NS6_6detail15normal_iteratorINS6_10device_ptrIjEEEENSD_INSE_IS9_EEEEjNS1_19radix_merge_compareILb0ELb0EjNS0_19identity_decomposerEEEEE10hipError_tT0_T1_T2_jT3_P12ihipStream_tbPNSt15iterator_traitsISN_E10value_typeEPNST_ISO_E10value_typeEPSP_NS1_7vsmem_tEENKUlT_SN_SO_SP_E_clISG_PjSI_PS9_EESM_S12_SN_SO_SP_EUlS12_E1_NS1_11comp_targetILNS1_3genE3ELNS1_11target_archE908ELNS1_3gpuE7ELNS1_3repE0EEENS1_36merge_oddeven_config_static_selectorELNS0_4arch9wavefront6targetE0EEEvSO_,comdat
	.protected	_ZN7rocprim17ROCPRIM_400000_NS6detail17trampoline_kernelINS0_14default_configENS1_38merge_sort_block_merge_config_selectorIjN6thrust23THRUST_200600_302600_NS5tupleIffNS6_9null_typeES8_S8_S8_S8_S8_S8_S8_EEEEZZNS1_27merge_sort_block_merge_implIS3_NS6_6detail15normal_iteratorINS6_10device_ptrIjEEEENSD_INSE_IS9_EEEEjNS1_19radix_merge_compareILb0ELb0EjNS0_19identity_decomposerEEEEE10hipError_tT0_T1_T2_jT3_P12ihipStream_tbPNSt15iterator_traitsISN_E10value_typeEPNST_ISO_E10value_typeEPSP_NS1_7vsmem_tEENKUlT_SN_SO_SP_E_clISG_PjSI_PS9_EESM_S12_SN_SO_SP_EUlS12_E1_NS1_11comp_targetILNS1_3genE3ELNS1_11target_archE908ELNS1_3gpuE7ELNS1_3repE0EEENS1_36merge_oddeven_config_static_selectorELNS0_4arch9wavefront6targetE0EEEvSO_ ; -- Begin function _ZN7rocprim17ROCPRIM_400000_NS6detail17trampoline_kernelINS0_14default_configENS1_38merge_sort_block_merge_config_selectorIjN6thrust23THRUST_200600_302600_NS5tupleIffNS6_9null_typeES8_S8_S8_S8_S8_S8_S8_EEEEZZNS1_27merge_sort_block_merge_implIS3_NS6_6detail15normal_iteratorINS6_10device_ptrIjEEEENSD_INSE_IS9_EEEEjNS1_19radix_merge_compareILb0ELb0EjNS0_19identity_decomposerEEEEE10hipError_tT0_T1_T2_jT3_P12ihipStream_tbPNSt15iterator_traitsISN_E10value_typeEPNST_ISO_E10value_typeEPSP_NS1_7vsmem_tEENKUlT_SN_SO_SP_E_clISG_PjSI_PS9_EESM_S12_SN_SO_SP_EUlS12_E1_NS1_11comp_targetILNS1_3genE3ELNS1_11target_archE908ELNS1_3gpuE7ELNS1_3repE0EEENS1_36merge_oddeven_config_static_selectorELNS0_4arch9wavefront6targetE0EEEvSO_
	.globl	_ZN7rocprim17ROCPRIM_400000_NS6detail17trampoline_kernelINS0_14default_configENS1_38merge_sort_block_merge_config_selectorIjN6thrust23THRUST_200600_302600_NS5tupleIffNS6_9null_typeES8_S8_S8_S8_S8_S8_S8_EEEEZZNS1_27merge_sort_block_merge_implIS3_NS6_6detail15normal_iteratorINS6_10device_ptrIjEEEENSD_INSE_IS9_EEEEjNS1_19radix_merge_compareILb0ELb0EjNS0_19identity_decomposerEEEEE10hipError_tT0_T1_T2_jT3_P12ihipStream_tbPNSt15iterator_traitsISN_E10value_typeEPNST_ISO_E10value_typeEPSP_NS1_7vsmem_tEENKUlT_SN_SO_SP_E_clISG_PjSI_PS9_EESM_S12_SN_SO_SP_EUlS12_E1_NS1_11comp_targetILNS1_3genE3ELNS1_11target_archE908ELNS1_3gpuE7ELNS1_3repE0EEENS1_36merge_oddeven_config_static_selectorELNS0_4arch9wavefront6targetE0EEEvSO_
	.p2align	8
	.type	_ZN7rocprim17ROCPRIM_400000_NS6detail17trampoline_kernelINS0_14default_configENS1_38merge_sort_block_merge_config_selectorIjN6thrust23THRUST_200600_302600_NS5tupleIffNS6_9null_typeES8_S8_S8_S8_S8_S8_S8_EEEEZZNS1_27merge_sort_block_merge_implIS3_NS6_6detail15normal_iteratorINS6_10device_ptrIjEEEENSD_INSE_IS9_EEEEjNS1_19radix_merge_compareILb0ELb0EjNS0_19identity_decomposerEEEEE10hipError_tT0_T1_T2_jT3_P12ihipStream_tbPNSt15iterator_traitsISN_E10value_typeEPNST_ISO_E10value_typeEPSP_NS1_7vsmem_tEENKUlT_SN_SO_SP_E_clISG_PjSI_PS9_EESM_S12_SN_SO_SP_EUlS12_E1_NS1_11comp_targetILNS1_3genE3ELNS1_11target_archE908ELNS1_3gpuE7ELNS1_3repE0EEENS1_36merge_oddeven_config_static_selectorELNS0_4arch9wavefront6targetE0EEEvSO_,@function
_ZN7rocprim17ROCPRIM_400000_NS6detail17trampoline_kernelINS0_14default_configENS1_38merge_sort_block_merge_config_selectorIjN6thrust23THRUST_200600_302600_NS5tupleIffNS6_9null_typeES8_S8_S8_S8_S8_S8_S8_EEEEZZNS1_27merge_sort_block_merge_implIS3_NS6_6detail15normal_iteratorINS6_10device_ptrIjEEEENSD_INSE_IS9_EEEEjNS1_19radix_merge_compareILb0ELb0EjNS0_19identity_decomposerEEEEE10hipError_tT0_T1_T2_jT3_P12ihipStream_tbPNSt15iterator_traitsISN_E10value_typeEPNST_ISO_E10value_typeEPSP_NS1_7vsmem_tEENKUlT_SN_SO_SP_E_clISG_PjSI_PS9_EESM_S12_SN_SO_SP_EUlS12_E1_NS1_11comp_targetILNS1_3genE3ELNS1_11target_archE908ELNS1_3gpuE7ELNS1_3repE0EEENS1_36merge_oddeven_config_static_selectorELNS0_4arch9wavefront6targetE0EEEvSO_: ; @_ZN7rocprim17ROCPRIM_400000_NS6detail17trampoline_kernelINS0_14default_configENS1_38merge_sort_block_merge_config_selectorIjN6thrust23THRUST_200600_302600_NS5tupleIffNS6_9null_typeES8_S8_S8_S8_S8_S8_S8_EEEEZZNS1_27merge_sort_block_merge_implIS3_NS6_6detail15normal_iteratorINS6_10device_ptrIjEEEENSD_INSE_IS9_EEEEjNS1_19radix_merge_compareILb0ELb0EjNS0_19identity_decomposerEEEEE10hipError_tT0_T1_T2_jT3_P12ihipStream_tbPNSt15iterator_traitsISN_E10value_typeEPNST_ISO_E10value_typeEPSP_NS1_7vsmem_tEENKUlT_SN_SO_SP_E_clISG_PjSI_PS9_EESM_S12_SN_SO_SP_EUlS12_E1_NS1_11comp_targetILNS1_3genE3ELNS1_11target_archE908ELNS1_3gpuE7ELNS1_3repE0EEENS1_36merge_oddeven_config_static_selectorELNS0_4arch9wavefront6targetE0EEEvSO_
; %bb.0:
	.section	.rodata,"a",@progbits
	.p2align	6, 0x0
	.amdhsa_kernel _ZN7rocprim17ROCPRIM_400000_NS6detail17trampoline_kernelINS0_14default_configENS1_38merge_sort_block_merge_config_selectorIjN6thrust23THRUST_200600_302600_NS5tupleIffNS6_9null_typeES8_S8_S8_S8_S8_S8_S8_EEEEZZNS1_27merge_sort_block_merge_implIS3_NS6_6detail15normal_iteratorINS6_10device_ptrIjEEEENSD_INSE_IS9_EEEEjNS1_19radix_merge_compareILb0ELb0EjNS0_19identity_decomposerEEEEE10hipError_tT0_T1_T2_jT3_P12ihipStream_tbPNSt15iterator_traitsISN_E10value_typeEPNST_ISO_E10value_typeEPSP_NS1_7vsmem_tEENKUlT_SN_SO_SP_E_clISG_PjSI_PS9_EESM_S12_SN_SO_SP_EUlS12_E1_NS1_11comp_targetILNS1_3genE3ELNS1_11target_archE908ELNS1_3gpuE7ELNS1_3repE0EEENS1_36merge_oddeven_config_static_selectorELNS0_4arch9wavefront6targetE0EEEvSO_
		.amdhsa_group_segment_fixed_size 0
		.amdhsa_private_segment_fixed_size 0
		.amdhsa_kernarg_size 48
		.amdhsa_user_sgpr_count 6
		.amdhsa_user_sgpr_private_segment_buffer 1
		.amdhsa_user_sgpr_dispatch_ptr 0
		.amdhsa_user_sgpr_queue_ptr 0
		.amdhsa_user_sgpr_kernarg_segment_ptr 1
		.amdhsa_user_sgpr_dispatch_id 0
		.amdhsa_user_sgpr_flat_scratch_init 0
		.amdhsa_user_sgpr_private_segment_size 0
		.amdhsa_wavefront_size32 1
		.amdhsa_uses_dynamic_stack 0
		.amdhsa_system_sgpr_private_segment_wavefront_offset 0
		.amdhsa_system_sgpr_workgroup_id_x 1
		.amdhsa_system_sgpr_workgroup_id_y 0
		.amdhsa_system_sgpr_workgroup_id_z 0
		.amdhsa_system_sgpr_workgroup_info 0
		.amdhsa_system_vgpr_workitem_id 0
		.amdhsa_next_free_vgpr 1
		.amdhsa_next_free_sgpr 1
		.amdhsa_reserve_vcc 0
		.amdhsa_reserve_flat_scratch 0
		.amdhsa_float_round_mode_32 0
		.amdhsa_float_round_mode_16_64 0
		.amdhsa_float_denorm_mode_32 3
		.amdhsa_float_denorm_mode_16_64 3
		.amdhsa_dx10_clamp 1
		.amdhsa_ieee_mode 1
		.amdhsa_fp16_overflow 0
		.amdhsa_workgroup_processor_mode 1
		.amdhsa_memory_ordered 1
		.amdhsa_forward_progress 1
		.amdhsa_shared_vgpr_count 0
		.amdhsa_exception_fp_ieee_invalid_op 0
		.amdhsa_exception_fp_denorm_src 0
		.amdhsa_exception_fp_ieee_div_zero 0
		.amdhsa_exception_fp_ieee_overflow 0
		.amdhsa_exception_fp_ieee_underflow 0
		.amdhsa_exception_fp_ieee_inexact 0
		.amdhsa_exception_int_div_zero 0
	.end_amdhsa_kernel
	.section	.text._ZN7rocprim17ROCPRIM_400000_NS6detail17trampoline_kernelINS0_14default_configENS1_38merge_sort_block_merge_config_selectorIjN6thrust23THRUST_200600_302600_NS5tupleIffNS6_9null_typeES8_S8_S8_S8_S8_S8_S8_EEEEZZNS1_27merge_sort_block_merge_implIS3_NS6_6detail15normal_iteratorINS6_10device_ptrIjEEEENSD_INSE_IS9_EEEEjNS1_19radix_merge_compareILb0ELb0EjNS0_19identity_decomposerEEEEE10hipError_tT0_T1_T2_jT3_P12ihipStream_tbPNSt15iterator_traitsISN_E10value_typeEPNST_ISO_E10value_typeEPSP_NS1_7vsmem_tEENKUlT_SN_SO_SP_E_clISG_PjSI_PS9_EESM_S12_SN_SO_SP_EUlS12_E1_NS1_11comp_targetILNS1_3genE3ELNS1_11target_archE908ELNS1_3gpuE7ELNS1_3repE0EEENS1_36merge_oddeven_config_static_selectorELNS0_4arch9wavefront6targetE0EEEvSO_,"axG",@progbits,_ZN7rocprim17ROCPRIM_400000_NS6detail17trampoline_kernelINS0_14default_configENS1_38merge_sort_block_merge_config_selectorIjN6thrust23THRUST_200600_302600_NS5tupleIffNS6_9null_typeES8_S8_S8_S8_S8_S8_S8_EEEEZZNS1_27merge_sort_block_merge_implIS3_NS6_6detail15normal_iteratorINS6_10device_ptrIjEEEENSD_INSE_IS9_EEEEjNS1_19radix_merge_compareILb0ELb0EjNS0_19identity_decomposerEEEEE10hipError_tT0_T1_T2_jT3_P12ihipStream_tbPNSt15iterator_traitsISN_E10value_typeEPNST_ISO_E10value_typeEPSP_NS1_7vsmem_tEENKUlT_SN_SO_SP_E_clISG_PjSI_PS9_EESM_S12_SN_SO_SP_EUlS12_E1_NS1_11comp_targetILNS1_3genE3ELNS1_11target_archE908ELNS1_3gpuE7ELNS1_3repE0EEENS1_36merge_oddeven_config_static_selectorELNS0_4arch9wavefront6targetE0EEEvSO_,comdat
.Lfunc_end69:
	.size	_ZN7rocprim17ROCPRIM_400000_NS6detail17trampoline_kernelINS0_14default_configENS1_38merge_sort_block_merge_config_selectorIjN6thrust23THRUST_200600_302600_NS5tupleIffNS6_9null_typeES8_S8_S8_S8_S8_S8_S8_EEEEZZNS1_27merge_sort_block_merge_implIS3_NS6_6detail15normal_iteratorINS6_10device_ptrIjEEEENSD_INSE_IS9_EEEEjNS1_19radix_merge_compareILb0ELb0EjNS0_19identity_decomposerEEEEE10hipError_tT0_T1_T2_jT3_P12ihipStream_tbPNSt15iterator_traitsISN_E10value_typeEPNST_ISO_E10value_typeEPSP_NS1_7vsmem_tEENKUlT_SN_SO_SP_E_clISG_PjSI_PS9_EESM_S12_SN_SO_SP_EUlS12_E1_NS1_11comp_targetILNS1_3genE3ELNS1_11target_archE908ELNS1_3gpuE7ELNS1_3repE0EEENS1_36merge_oddeven_config_static_selectorELNS0_4arch9wavefront6targetE0EEEvSO_, .Lfunc_end69-_ZN7rocprim17ROCPRIM_400000_NS6detail17trampoline_kernelINS0_14default_configENS1_38merge_sort_block_merge_config_selectorIjN6thrust23THRUST_200600_302600_NS5tupleIffNS6_9null_typeES8_S8_S8_S8_S8_S8_S8_EEEEZZNS1_27merge_sort_block_merge_implIS3_NS6_6detail15normal_iteratorINS6_10device_ptrIjEEEENSD_INSE_IS9_EEEEjNS1_19radix_merge_compareILb0ELb0EjNS0_19identity_decomposerEEEEE10hipError_tT0_T1_T2_jT3_P12ihipStream_tbPNSt15iterator_traitsISN_E10value_typeEPNST_ISO_E10value_typeEPSP_NS1_7vsmem_tEENKUlT_SN_SO_SP_E_clISG_PjSI_PS9_EESM_S12_SN_SO_SP_EUlS12_E1_NS1_11comp_targetILNS1_3genE3ELNS1_11target_archE908ELNS1_3gpuE7ELNS1_3repE0EEENS1_36merge_oddeven_config_static_selectorELNS0_4arch9wavefront6targetE0EEEvSO_
                                        ; -- End function
	.set _ZN7rocprim17ROCPRIM_400000_NS6detail17trampoline_kernelINS0_14default_configENS1_38merge_sort_block_merge_config_selectorIjN6thrust23THRUST_200600_302600_NS5tupleIffNS6_9null_typeES8_S8_S8_S8_S8_S8_S8_EEEEZZNS1_27merge_sort_block_merge_implIS3_NS6_6detail15normal_iteratorINS6_10device_ptrIjEEEENSD_INSE_IS9_EEEEjNS1_19radix_merge_compareILb0ELb0EjNS0_19identity_decomposerEEEEE10hipError_tT0_T1_T2_jT3_P12ihipStream_tbPNSt15iterator_traitsISN_E10value_typeEPNST_ISO_E10value_typeEPSP_NS1_7vsmem_tEENKUlT_SN_SO_SP_E_clISG_PjSI_PS9_EESM_S12_SN_SO_SP_EUlS12_E1_NS1_11comp_targetILNS1_3genE3ELNS1_11target_archE908ELNS1_3gpuE7ELNS1_3repE0EEENS1_36merge_oddeven_config_static_selectorELNS0_4arch9wavefront6targetE0EEEvSO_.num_vgpr, 0
	.set _ZN7rocprim17ROCPRIM_400000_NS6detail17trampoline_kernelINS0_14default_configENS1_38merge_sort_block_merge_config_selectorIjN6thrust23THRUST_200600_302600_NS5tupleIffNS6_9null_typeES8_S8_S8_S8_S8_S8_S8_EEEEZZNS1_27merge_sort_block_merge_implIS3_NS6_6detail15normal_iteratorINS6_10device_ptrIjEEEENSD_INSE_IS9_EEEEjNS1_19radix_merge_compareILb0ELb0EjNS0_19identity_decomposerEEEEE10hipError_tT0_T1_T2_jT3_P12ihipStream_tbPNSt15iterator_traitsISN_E10value_typeEPNST_ISO_E10value_typeEPSP_NS1_7vsmem_tEENKUlT_SN_SO_SP_E_clISG_PjSI_PS9_EESM_S12_SN_SO_SP_EUlS12_E1_NS1_11comp_targetILNS1_3genE3ELNS1_11target_archE908ELNS1_3gpuE7ELNS1_3repE0EEENS1_36merge_oddeven_config_static_selectorELNS0_4arch9wavefront6targetE0EEEvSO_.num_agpr, 0
	.set _ZN7rocprim17ROCPRIM_400000_NS6detail17trampoline_kernelINS0_14default_configENS1_38merge_sort_block_merge_config_selectorIjN6thrust23THRUST_200600_302600_NS5tupleIffNS6_9null_typeES8_S8_S8_S8_S8_S8_S8_EEEEZZNS1_27merge_sort_block_merge_implIS3_NS6_6detail15normal_iteratorINS6_10device_ptrIjEEEENSD_INSE_IS9_EEEEjNS1_19radix_merge_compareILb0ELb0EjNS0_19identity_decomposerEEEEE10hipError_tT0_T1_T2_jT3_P12ihipStream_tbPNSt15iterator_traitsISN_E10value_typeEPNST_ISO_E10value_typeEPSP_NS1_7vsmem_tEENKUlT_SN_SO_SP_E_clISG_PjSI_PS9_EESM_S12_SN_SO_SP_EUlS12_E1_NS1_11comp_targetILNS1_3genE3ELNS1_11target_archE908ELNS1_3gpuE7ELNS1_3repE0EEENS1_36merge_oddeven_config_static_selectorELNS0_4arch9wavefront6targetE0EEEvSO_.numbered_sgpr, 0
	.set _ZN7rocprim17ROCPRIM_400000_NS6detail17trampoline_kernelINS0_14default_configENS1_38merge_sort_block_merge_config_selectorIjN6thrust23THRUST_200600_302600_NS5tupleIffNS6_9null_typeES8_S8_S8_S8_S8_S8_S8_EEEEZZNS1_27merge_sort_block_merge_implIS3_NS6_6detail15normal_iteratorINS6_10device_ptrIjEEEENSD_INSE_IS9_EEEEjNS1_19radix_merge_compareILb0ELb0EjNS0_19identity_decomposerEEEEE10hipError_tT0_T1_T2_jT3_P12ihipStream_tbPNSt15iterator_traitsISN_E10value_typeEPNST_ISO_E10value_typeEPSP_NS1_7vsmem_tEENKUlT_SN_SO_SP_E_clISG_PjSI_PS9_EESM_S12_SN_SO_SP_EUlS12_E1_NS1_11comp_targetILNS1_3genE3ELNS1_11target_archE908ELNS1_3gpuE7ELNS1_3repE0EEENS1_36merge_oddeven_config_static_selectorELNS0_4arch9wavefront6targetE0EEEvSO_.num_named_barrier, 0
	.set _ZN7rocprim17ROCPRIM_400000_NS6detail17trampoline_kernelINS0_14default_configENS1_38merge_sort_block_merge_config_selectorIjN6thrust23THRUST_200600_302600_NS5tupleIffNS6_9null_typeES8_S8_S8_S8_S8_S8_S8_EEEEZZNS1_27merge_sort_block_merge_implIS3_NS6_6detail15normal_iteratorINS6_10device_ptrIjEEEENSD_INSE_IS9_EEEEjNS1_19radix_merge_compareILb0ELb0EjNS0_19identity_decomposerEEEEE10hipError_tT0_T1_T2_jT3_P12ihipStream_tbPNSt15iterator_traitsISN_E10value_typeEPNST_ISO_E10value_typeEPSP_NS1_7vsmem_tEENKUlT_SN_SO_SP_E_clISG_PjSI_PS9_EESM_S12_SN_SO_SP_EUlS12_E1_NS1_11comp_targetILNS1_3genE3ELNS1_11target_archE908ELNS1_3gpuE7ELNS1_3repE0EEENS1_36merge_oddeven_config_static_selectorELNS0_4arch9wavefront6targetE0EEEvSO_.private_seg_size, 0
	.set _ZN7rocprim17ROCPRIM_400000_NS6detail17trampoline_kernelINS0_14default_configENS1_38merge_sort_block_merge_config_selectorIjN6thrust23THRUST_200600_302600_NS5tupleIffNS6_9null_typeES8_S8_S8_S8_S8_S8_S8_EEEEZZNS1_27merge_sort_block_merge_implIS3_NS6_6detail15normal_iteratorINS6_10device_ptrIjEEEENSD_INSE_IS9_EEEEjNS1_19radix_merge_compareILb0ELb0EjNS0_19identity_decomposerEEEEE10hipError_tT0_T1_T2_jT3_P12ihipStream_tbPNSt15iterator_traitsISN_E10value_typeEPNST_ISO_E10value_typeEPSP_NS1_7vsmem_tEENKUlT_SN_SO_SP_E_clISG_PjSI_PS9_EESM_S12_SN_SO_SP_EUlS12_E1_NS1_11comp_targetILNS1_3genE3ELNS1_11target_archE908ELNS1_3gpuE7ELNS1_3repE0EEENS1_36merge_oddeven_config_static_selectorELNS0_4arch9wavefront6targetE0EEEvSO_.uses_vcc, 0
	.set _ZN7rocprim17ROCPRIM_400000_NS6detail17trampoline_kernelINS0_14default_configENS1_38merge_sort_block_merge_config_selectorIjN6thrust23THRUST_200600_302600_NS5tupleIffNS6_9null_typeES8_S8_S8_S8_S8_S8_S8_EEEEZZNS1_27merge_sort_block_merge_implIS3_NS6_6detail15normal_iteratorINS6_10device_ptrIjEEEENSD_INSE_IS9_EEEEjNS1_19radix_merge_compareILb0ELb0EjNS0_19identity_decomposerEEEEE10hipError_tT0_T1_T2_jT3_P12ihipStream_tbPNSt15iterator_traitsISN_E10value_typeEPNST_ISO_E10value_typeEPSP_NS1_7vsmem_tEENKUlT_SN_SO_SP_E_clISG_PjSI_PS9_EESM_S12_SN_SO_SP_EUlS12_E1_NS1_11comp_targetILNS1_3genE3ELNS1_11target_archE908ELNS1_3gpuE7ELNS1_3repE0EEENS1_36merge_oddeven_config_static_selectorELNS0_4arch9wavefront6targetE0EEEvSO_.uses_flat_scratch, 0
	.set _ZN7rocprim17ROCPRIM_400000_NS6detail17trampoline_kernelINS0_14default_configENS1_38merge_sort_block_merge_config_selectorIjN6thrust23THRUST_200600_302600_NS5tupleIffNS6_9null_typeES8_S8_S8_S8_S8_S8_S8_EEEEZZNS1_27merge_sort_block_merge_implIS3_NS6_6detail15normal_iteratorINS6_10device_ptrIjEEEENSD_INSE_IS9_EEEEjNS1_19radix_merge_compareILb0ELb0EjNS0_19identity_decomposerEEEEE10hipError_tT0_T1_T2_jT3_P12ihipStream_tbPNSt15iterator_traitsISN_E10value_typeEPNST_ISO_E10value_typeEPSP_NS1_7vsmem_tEENKUlT_SN_SO_SP_E_clISG_PjSI_PS9_EESM_S12_SN_SO_SP_EUlS12_E1_NS1_11comp_targetILNS1_3genE3ELNS1_11target_archE908ELNS1_3gpuE7ELNS1_3repE0EEENS1_36merge_oddeven_config_static_selectorELNS0_4arch9wavefront6targetE0EEEvSO_.has_dyn_sized_stack, 0
	.set _ZN7rocprim17ROCPRIM_400000_NS6detail17trampoline_kernelINS0_14default_configENS1_38merge_sort_block_merge_config_selectorIjN6thrust23THRUST_200600_302600_NS5tupleIffNS6_9null_typeES8_S8_S8_S8_S8_S8_S8_EEEEZZNS1_27merge_sort_block_merge_implIS3_NS6_6detail15normal_iteratorINS6_10device_ptrIjEEEENSD_INSE_IS9_EEEEjNS1_19radix_merge_compareILb0ELb0EjNS0_19identity_decomposerEEEEE10hipError_tT0_T1_T2_jT3_P12ihipStream_tbPNSt15iterator_traitsISN_E10value_typeEPNST_ISO_E10value_typeEPSP_NS1_7vsmem_tEENKUlT_SN_SO_SP_E_clISG_PjSI_PS9_EESM_S12_SN_SO_SP_EUlS12_E1_NS1_11comp_targetILNS1_3genE3ELNS1_11target_archE908ELNS1_3gpuE7ELNS1_3repE0EEENS1_36merge_oddeven_config_static_selectorELNS0_4arch9wavefront6targetE0EEEvSO_.has_recursion, 0
	.set _ZN7rocprim17ROCPRIM_400000_NS6detail17trampoline_kernelINS0_14default_configENS1_38merge_sort_block_merge_config_selectorIjN6thrust23THRUST_200600_302600_NS5tupleIffNS6_9null_typeES8_S8_S8_S8_S8_S8_S8_EEEEZZNS1_27merge_sort_block_merge_implIS3_NS6_6detail15normal_iteratorINS6_10device_ptrIjEEEENSD_INSE_IS9_EEEEjNS1_19radix_merge_compareILb0ELb0EjNS0_19identity_decomposerEEEEE10hipError_tT0_T1_T2_jT3_P12ihipStream_tbPNSt15iterator_traitsISN_E10value_typeEPNST_ISO_E10value_typeEPSP_NS1_7vsmem_tEENKUlT_SN_SO_SP_E_clISG_PjSI_PS9_EESM_S12_SN_SO_SP_EUlS12_E1_NS1_11comp_targetILNS1_3genE3ELNS1_11target_archE908ELNS1_3gpuE7ELNS1_3repE0EEENS1_36merge_oddeven_config_static_selectorELNS0_4arch9wavefront6targetE0EEEvSO_.has_indirect_call, 0
	.section	.AMDGPU.csdata,"",@progbits
; Kernel info:
; codeLenInByte = 0
; TotalNumSgprs: 0
; NumVgprs: 0
; ScratchSize: 0
; MemoryBound: 0
; FloatMode: 240
; IeeeMode: 1
; LDSByteSize: 0 bytes/workgroup (compile time only)
; SGPRBlocks: 0
; VGPRBlocks: 0
; NumSGPRsForWavesPerEU: 1
; NumVGPRsForWavesPerEU: 1
; Occupancy: 16
; WaveLimiterHint : 0
; COMPUTE_PGM_RSRC2:SCRATCH_EN: 0
; COMPUTE_PGM_RSRC2:USER_SGPR: 6
; COMPUTE_PGM_RSRC2:TRAP_HANDLER: 0
; COMPUTE_PGM_RSRC2:TGID_X_EN: 1
; COMPUTE_PGM_RSRC2:TGID_Y_EN: 0
; COMPUTE_PGM_RSRC2:TGID_Z_EN: 0
; COMPUTE_PGM_RSRC2:TIDIG_COMP_CNT: 0
	.section	.text._ZN7rocprim17ROCPRIM_400000_NS6detail17trampoline_kernelINS0_14default_configENS1_38merge_sort_block_merge_config_selectorIjN6thrust23THRUST_200600_302600_NS5tupleIffNS6_9null_typeES8_S8_S8_S8_S8_S8_S8_EEEEZZNS1_27merge_sort_block_merge_implIS3_NS6_6detail15normal_iteratorINS6_10device_ptrIjEEEENSD_INSE_IS9_EEEEjNS1_19radix_merge_compareILb0ELb0EjNS0_19identity_decomposerEEEEE10hipError_tT0_T1_T2_jT3_P12ihipStream_tbPNSt15iterator_traitsISN_E10value_typeEPNST_ISO_E10value_typeEPSP_NS1_7vsmem_tEENKUlT_SN_SO_SP_E_clISG_PjSI_PS9_EESM_S12_SN_SO_SP_EUlS12_E1_NS1_11comp_targetILNS1_3genE2ELNS1_11target_archE906ELNS1_3gpuE6ELNS1_3repE0EEENS1_36merge_oddeven_config_static_selectorELNS0_4arch9wavefront6targetE0EEEvSO_,"axG",@progbits,_ZN7rocprim17ROCPRIM_400000_NS6detail17trampoline_kernelINS0_14default_configENS1_38merge_sort_block_merge_config_selectorIjN6thrust23THRUST_200600_302600_NS5tupleIffNS6_9null_typeES8_S8_S8_S8_S8_S8_S8_EEEEZZNS1_27merge_sort_block_merge_implIS3_NS6_6detail15normal_iteratorINS6_10device_ptrIjEEEENSD_INSE_IS9_EEEEjNS1_19radix_merge_compareILb0ELb0EjNS0_19identity_decomposerEEEEE10hipError_tT0_T1_T2_jT3_P12ihipStream_tbPNSt15iterator_traitsISN_E10value_typeEPNST_ISO_E10value_typeEPSP_NS1_7vsmem_tEENKUlT_SN_SO_SP_E_clISG_PjSI_PS9_EESM_S12_SN_SO_SP_EUlS12_E1_NS1_11comp_targetILNS1_3genE2ELNS1_11target_archE906ELNS1_3gpuE6ELNS1_3repE0EEENS1_36merge_oddeven_config_static_selectorELNS0_4arch9wavefront6targetE0EEEvSO_,comdat
	.protected	_ZN7rocprim17ROCPRIM_400000_NS6detail17trampoline_kernelINS0_14default_configENS1_38merge_sort_block_merge_config_selectorIjN6thrust23THRUST_200600_302600_NS5tupleIffNS6_9null_typeES8_S8_S8_S8_S8_S8_S8_EEEEZZNS1_27merge_sort_block_merge_implIS3_NS6_6detail15normal_iteratorINS6_10device_ptrIjEEEENSD_INSE_IS9_EEEEjNS1_19radix_merge_compareILb0ELb0EjNS0_19identity_decomposerEEEEE10hipError_tT0_T1_T2_jT3_P12ihipStream_tbPNSt15iterator_traitsISN_E10value_typeEPNST_ISO_E10value_typeEPSP_NS1_7vsmem_tEENKUlT_SN_SO_SP_E_clISG_PjSI_PS9_EESM_S12_SN_SO_SP_EUlS12_E1_NS1_11comp_targetILNS1_3genE2ELNS1_11target_archE906ELNS1_3gpuE6ELNS1_3repE0EEENS1_36merge_oddeven_config_static_selectorELNS0_4arch9wavefront6targetE0EEEvSO_ ; -- Begin function _ZN7rocprim17ROCPRIM_400000_NS6detail17trampoline_kernelINS0_14default_configENS1_38merge_sort_block_merge_config_selectorIjN6thrust23THRUST_200600_302600_NS5tupleIffNS6_9null_typeES8_S8_S8_S8_S8_S8_S8_EEEEZZNS1_27merge_sort_block_merge_implIS3_NS6_6detail15normal_iteratorINS6_10device_ptrIjEEEENSD_INSE_IS9_EEEEjNS1_19radix_merge_compareILb0ELb0EjNS0_19identity_decomposerEEEEE10hipError_tT0_T1_T2_jT3_P12ihipStream_tbPNSt15iterator_traitsISN_E10value_typeEPNST_ISO_E10value_typeEPSP_NS1_7vsmem_tEENKUlT_SN_SO_SP_E_clISG_PjSI_PS9_EESM_S12_SN_SO_SP_EUlS12_E1_NS1_11comp_targetILNS1_3genE2ELNS1_11target_archE906ELNS1_3gpuE6ELNS1_3repE0EEENS1_36merge_oddeven_config_static_selectorELNS0_4arch9wavefront6targetE0EEEvSO_
	.globl	_ZN7rocprim17ROCPRIM_400000_NS6detail17trampoline_kernelINS0_14default_configENS1_38merge_sort_block_merge_config_selectorIjN6thrust23THRUST_200600_302600_NS5tupleIffNS6_9null_typeES8_S8_S8_S8_S8_S8_S8_EEEEZZNS1_27merge_sort_block_merge_implIS3_NS6_6detail15normal_iteratorINS6_10device_ptrIjEEEENSD_INSE_IS9_EEEEjNS1_19radix_merge_compareILb0ELb0EjNS0_19identity_decomposerEEEEE10hipError_tT0_T1_T2_jT3_P12ihipStream_tbPNSt15iterator_traitsISN_E10value_typeEPNST_ISO_E10value_typeEPSP_NS1_7vsmem_tEENKUlT_SN_SO_SP_E_clISG_PjSI_PS9_EESM_S12_SN_SO_SP_EUlS12_E1_NS1_11comp_targetILNS1_3genE2ELNS1_11target_archE906ELNS1_3gpuE6ELNS1_3repE0EEENS1_36merge_oddeven_config_static_selectorELNS0_4arch9wavefront6targetE0EEEvSO_
	.p2align	8
	.type	_ZN7rocprim17ROCPRIM_400000_NS6detail17trampoline_kernelINS0_14default_configENS1_38merge_sort_block_merge_config_selectorIjN6thrust23THRUST_200600_302600_NS5tupleIffNS6_9null_typeES8_S8_S8_S8_S8_S8_S8_EEEEZZNS1_27merge_sort_block_merge_implIS3_NS6_6detail15normal_iteratorINS6_10device_ptrIjEEEENSD_INSE_IS9_EEEEjNS1_19radix_merge_compareILb0ELb0EjNS0_19identity_decomposerEEEEE10hipError_tT0_T1_T2_jT3_P12ihipStream_tbPNSt15iterator_traitsISN_E10value_typeEPNST_ISO_E10value_typeEPSP_NS1_7vsmem_tEENKUlT_SN_SO_SP_E_clISG_PjSI_PS9_EESM_S12_SN_SO_SP_EUlS12_E1_NS1_11comp_targetILNS1_3genE2ELNS1_11target_archE906ELNS1_3gpuE6ELNS1_3repE0EEENS1_36merge_oddeven_config_static_selectorELNS0_4arch9wavefront6targetE0EEEvSO_,@function
_ZN7rocprim17ROCPRIM_400000_NS6detail17trampoline_kernelINS0_14default_configENS1_38merge_sort_block_merge_config_selectorIjN6thrust23THRUST_200600_302600_NS5tupleIffNS6_9null_typeES8_S8_S8_S8_S8_S8_S8_EEEEZZNS1_27merge_sort_block_merge_implIS3_NS6_6detail15normal_iteratorINS6_10device_ptrIjEEEENSD_INSE_IS9_EEEEjNS1_19radix_merge_compareILb0ELb0EjNS0_19identity_decomposerEEEEE10hipError_tT0_T1_T2_jT3_P12ihipStream_tbPNSt15iterator_traitsISN_E10value_typeEPNST_ISO_E10value_typeEPSP_NS1_7vsmem_tEENKUlT_SN_SO_SP_E_clISG_PjSI_PS9_EESM_S12_SN_SO_SP_EUlS12_E1_NS1_11comp_targetILNS1_3genE2ELNS1_11target_archE906ELNS1_3gpuE6ELNS1_3repE0EEENS1_36merge_oddeven_config_static_selectorELNS0_4arch9wavefront6targetE0EEEvSO_: ; @_ZN7rocprim17ROCPRIM_400000_NS6detail17trampoline_kernelINS0_14default_configENS1_38merge_sort_block_merge_config_selectorIjN6thrust23THRUST_200600_302600_NS5tupleIffNS6_9null_typeES8_S8_S8_S8_S8_S8_S8_EEEEZZNS1_27merge_sort_block_merge_implIS3_NS6_6detail15normal_iteratorINS6_10device_ptrIjEEEENSD_INSE_IS9_EEEEjNS1_19radix_merge_compareILb0ELb0EjNS0_19identity_decomposerEEEEE10hipError_tT0_T1_T2_jT3_P12ihipStream_tbPNSt15iterator_traitsISN_E10value_typeEPNST_ISO_E10value_typeEPSP_NS1_7vsmem_tEENKUlT_SN_SO_SP_E_clISG_PjSI_PS9_EESM_S12_SN_SO_SP_EUlS12_E1_NS1_11comp_targetILNS1_3genE2ELNS1_11target_archE906ELNS1_3gpuE6ELNS1_3repE0EEENS1_36merge_oddeven_config_static_selectorELNS0_4arch9wavefront6targetE0EEEvSO_
; %bb.0:
	.section	.rodata,"a",@progbits
	.p2align	6, 0x0
	.amdhsa_kernel _ZN7rocprim17ROCPRIM_400000_NS6detail17trampoline_kernelINS0_14default_configENS1_38merge_sort_block_merge_config_selectorIjN6thrust23THRUST_200600_302600_NS5tupleIffNS6_9null_typeES8_S8_S8_S8_S8_S8_S8_EEEEZZNS1_27merge_sort_block_merge_implIS3_NS6_6detail15normal_iteratorINS6_10device_ptrIjEEEENSD_INSE_IS9_EEEEjNS1_19radix_merge_compareILb0ELb0EjNS0_19identity_decomposerEEEEE10hipError_tT0_T1_T2_jT3_P12ihipStream_tbPNSt15iterator_traitsISN_E10value_typeEPNST_ISO_E10value_typeEPSP_NS1_7vsmem_tEENKUlT_SN_SO_SP_E_clISG_PjSI_PS9_EESM_S12_SN_SO_SP_EUlS12_E1_NS1_11comp_targetILNS1_3genE2ELNS1_11target_archE906ELNS1_3gpuE6ELNS1_3repE0EEENS1_36merge_oddeven_config_static_selectorELNS0_4arch9wavefront6targetE0EEEvSO_
		.amdhsa_group_segment_fixed_size 0
		.amdhsa_private_segment_fixed_size 0
		.amdhsa_kernarg_size 48
		.amdhsa_user_sgpr_count 6
		.amdhsa_user_sgpr_private_segment_buffer 1
		.amdhsa_user_sgpr_dispatch_ptr 0
		.amdhsa_user_sgpr_queue_ptr 0
		.amdhsa_user_sgpr_kernarg_segment_ptr 1
		.amdhsa_user_sgpr_dispatch_id 0
		.amdhsa_user_sgpr_flat_scratch_init 0
		.amdhsa_user_sgpr_private_segment_size 0
		.amdhsa_wavefront_size32 1
		.amdhsa_uses_dynamic_stack 0
		.amdhsa_system_sgpr_private_segment_wavefront_offset 0
		.amdhsa_system_sgpr_workgroup_id_x 1
		.amdhsa_system_sgpr_workgroup_id_y 0
		.amdhsa_system_sgpr_workgroup_id_z 0
		.amdhsa_system_sgpr_workgroup_info 0
		.amdhsa_system_vgpr_workitem_id 0
		.amdhsa_next_free_vgpr 1
		.amdhsa_next_free_sgpr 1
		.amdhsa_reserve_vcc 0
		.amdhsa_reserve_flat_scratch 0
		.amdhsa_float_round_mode_32 0
		.amdhsa_float_round_mode_16_64 0
		.amdhsa_float_denorm_mode_32 3
		.amdhsa_float_denorm_mode_16_64 3
		.amdhsa_dx10_clamp 1
		.amdhsa_ieee_mode 1
		.amdhsa_fp16_overflow 0
		.amdhsa_workgroup_processor_mode 1
		.amdhsa_memory_ordered 1
		.amdhsa_forward_progress 1
		.amdhsa_shared_vgpr_count 0
		.amdhsa_exception_fp_ieee_invalid_op 0
		.amdhsa_exception_fp_denorm_src 0
		.amdhsa_exception_fp_ieee_div_zero 0
		.amdhsa_exception_fp_ieee_overflow 0
		.amdhsa_exception_fp_ieee_underflow 0
		.amdhsa_exception_fp_ieee_inexact 0
		.amdhsa_exception_int_div_zero 0
	.end_amdhsa_kernel
	.section	.text._ZN7rocprim17ROCPRIM_400000_NS6detail17trampoline_kernelINS0_14default_configENS1_38merge_sort_block_merge_config_selectorIjN6thrust23THRUST_200600_302600_NS5tupleIffNS6_9null_typeES8_S8_S8_S8_S8_S8_S8_EEEEZZNS1_27merge_sort_block_merge_implIS3_NS6_6detail15normal_iteratorINS6_10device_ptrIjEEEENSD_INSE_IS9_EEEEjNS1_19radix_merge_compareILb0ELb0EjNS0_19identity_decomposerEEEEE10hipError_tT0_T1_T2_jT3_P12ihipStream_tbPNSt15iterator_traitsISN_E10value_typeEPNST_ISO_E10value_typeEPSP_NS1_7vsmem_tEENKUlT_SN_SO_SP_E_clISG_PjSI_PS9_EESM_S12_SN_SO_SP_EUlS12_E1_NS1_11comp_targetILNS1_3genE2ELNS1_11target_archE906ELNS1_3gpuE6ELNS1_3repE0EEENS1_36merge_oddeven_config_static_selectorELNS0_4arch9wavefront6targetE0EEEvSO_,"axG",@progbits,_ZN7rocprim17ROCPRIM_400000_NS6detail17trampoline_kernelINS0_14default_configENS1_38merge_sort_block_merge_config_selectorIjN6thrust23THRUST_200600_302600_NS5tupleIffNS6_9null_typeES8_S8_S8_S8_S8_S8_S8_EEEEZZNS1_27merge_sort_block_merge_implIS3_NS6_6detail15normal_iteratorINS6_10device_ptrIjEEEENSD_INSE_IS9_EEEEjNS1_19radix_merge_compareILb0ELb0EjNS0_19identity_decomposerEEEEE10hipError_tT0_T1_T2_jT3_P12ihipStream_tbPNSt15iterator_traitsISN_E10value_typeEPNST_ISO_E10value_typeEPSP_NS1_7vsmem_tEENKUlT_SN_SO_SP_E_clISG_PjSI_PS9_EESM_S12_SN_SO_SP_EUlS12_E1_NS1_11comp_targetILNS1_3genE2ELNS1_11target_archE906ELNS1_3gpuE6ELNS1_3repE0EEENS1_36merge_oddeven_config_static_selectorELNS0_4arch9wavefront6targetE0EEEvSO_,comdat
.Lfunc_end70:
	.size	_ZN7rocprim17ROCPRIM_400000_NS6detail17trampoline_kernelINS0_14default_configENS1_38merge_sort_block_merge_config_selectorIjN6thrust23THRUST_200600_302600_NS5tupleIffNS6_9null_typeES8_S8_S8_S8_S8_S8_S8_EEEEZZNS1_27merge_sort_block_merge_implIS3_NS6_6detail15normal_iteratorINS6_10device_ptrIjEEEENSD_INSE_IS9_EEEEjNS1_19radix_merge_compareILb0ELb0EjNS0_19identity_decomposerEEEEE10hipError_tT0_T1_T2_jT3_P12ihipStream_tbPNSt15iterator_traitsISN_E10value_typeEPNST_ISO_E10value_typeEPSP_NS1_7vsmem_tEENKUlT_SN_SO_SP_E_clISG_PjSI_PS9_EESM_S12_SN_SO_SP_EUlS12_E1_NS1_11comp_targetILNS1_3genE2ELNS1_11target_archE906ELNS1_3gpuE6ELNS1_3repE0EEENS1_36merge_oddeven_config_static_selectorELNS0_4arch9wavefront6targetE0EEEvSO_, .Lfunc_end70-_ZN7rocprim17ROCPRIM_400000_NS6detail17trampoline_kernelINS0_14default_configENS1_38merge_sort_block_merge_config_selectorIjN6thrust23THRUST_200600_302600_NS5tupleIffNS6_9null_typeES8_S8_S8_S8_S8_S8_S8_EEEEZZNS1_27merge_sort_block_merge_implIS3_NS6_6detail15normal_iteratorINS6_10device_ptrIjEEEENSD_INSE_IS9_EEEEjNS1_19radix_merge_compareILb0ELb0EjNS0_19identity_decomposerEEEEE10hipError_tT0_T1_T2_jT3_P12ihipStream_tbPNSt15iterator_traitsISN_E10value_typeEPNST_ISO_E10value_typeEPSP_NS1_7vsmem_tEENKUlT_SN_SO_SP_E_clISG_PjSI_PS9_EESM_S12_SN_SO_SP_EUlS12_E1_NS1_11comp_targetILNS1_3genE2ELNS1_11target_archE906ELNS1_3gpuE6ELNS1_3repE0EEENS1_36merge_oddeven_config_static_selectorELNS0_4arch9wavefront6targetE0EEEvSO_
                                        ; -- End function
	.set _ZN7rocprim17ROCPRIM_400000_NS6detail17trampoline_kernelINS0_14default_configENS1_38merge_sort_block_merge_config_selectorIjN6thrust23THRUST_200600_302600_NS5tupleIffNS6_9null_typeES8_S8_S8_S8_S8_S8_S8_EEEEZZNS1_27merge_sort_block_merge_implIS3_NS6_6detail15normal_iteratorINS6_10device_ptrIjEEEENSD_INSE_IS9_EEEEjNS1_19radix_merge_compareILb0ELb0EjNS0_19identity_decomposerEEEEE10hipError_tT0_T1_T2_jT3_P12ihipStream_tbPNSt15iterator_traitsISN_E10value_typeEPNST_ISO_E10value_typeEPSP_NS1_7vsmem_tEENKUlT_SN_SO_SP_E_clISG_PjSI_PS9_EESM_S12_SN_SO_SP_EUlS12_E1_NS1_11comp_targetILNS1_3genE2ELNS1_11target_archE906ELNS1_3gpuE6ELNS1_3repE0EEENS1_36merge_oddeven_config_static_selectorELNS0_4arch9wavefront6targetE0EEEvSO_.num_vgpr, 0
	.set _ZN7rocprim17ROCPRIM_400000_NS6detail17trampoline_kernelINS0_14default_configENS1_38merge_sort_block_merge_config_selectorIjN6thrust23THRUST_200600_302600_NS5tupleIffNS6_9null_typeES8_S8_S8_S8_S8_S8_S8_EEEEZZNS1_27merge_sort_block_merge_implIS3_NS6_6detail15normal_iteratorINS6_10device_ptrIjEEEENSD_INSE_IS9_EEEEjNS1_19radix_merge_compareILb0ELb0EjNS0_19identity_decomposerEEEEE10hipError_tT0_T1_T2_jT3_P12ihipStream_tbPNSt15iterator_traitsISN_E10value_typeEPNST_ISO_E10value_typeEPSP_NS1_7vsmem_tEENKUlT_SN_SO_SP_E_clISG_PjSI_PS9_EESM_S12_SN_SO_SP_EUlS12_E1_NS1_11comp_targetILNS1_3genE2ELNS1_11target_archE906ELNS1_3gpuE6ELNS1_3repE0EEENS1_36merge_oddeven_config_static_selectorELNS0_4arch9wavefront6targetE0EEEvSO_.num_agpr, 0
	.set _ZN7rocprim17ROCPRIM_400000_NS6detail17trampoline_kernelINS0_14default_configENS1_38merge_sort_block_merge_config_selectorIjN6thrust23THRUST_200600_302600_NS5tupleIffNS6_9null_typeES8_S8_S8_S8_S8_S8_S8_EEEEZZNS1_27merge_sort_block_merge_implIS3_NS6_6detail15normal_iteratorINS6_10device_ptrIjEEEENSD_INSE_IS9_EEEEjNS1_19radix_merge_compareILb0ELb0EjNS0_19identity_decomposerEEEEE10hipError_tT0_T1_T2_jT3_P12ihipStream_tbPNSt15iterator_traitsISN_E10value_typeEPNST_ISO_E10value_typeEPSP_NS1_7vsmem_tEENKUlT_SN_SO_SP_E_clISG_PjSI_PS9_EESM_S12_SN_SO_SP_EUlS12_E1_NS1_11comp_targetILNS1_3genE2ELNS1_11target_archE906ELNS1_3gpuE6ELNS1_3repE0EEENS1_36merge_oddeven_config_static_selectorELNS0_4arch9wavefront6targetE0EEEvSO_.numbered_sgpr, 0
	.set _ZN7rocprim17ROCPRIM_400000_NS6detail17trampoline_kernelINS0_14default_configENS1_38merge_sort_block_merge_config_selectorIjN6thrust23THRUST_200600_302600_NS5tupleIffNS6_9null_typeES8_S8_S8_S8_S8_S8_S8_EEEEZZNS1_27merge_sort_block_merge_implIS3_NS6_6detail15normal_iteratorINS6_10device_ptrIjEEEENSD_INSE_IS9_EEEEjNS1_19radix_merge_compareILb0ELb0EjNS0_19identity_decomposerEEEEE10hipError_tT0_T1_T2_jT3_P12ihipStream_tbPNSt15iterator_traitsISN_E10value_typeEPNST_ISO_E10value_typeEPSP_NS1_7vsmem_tEENKUlT_SN_SO_SP_E_clISG_PjSI_PS9_EESM_S12_SN_SO_SP_EUlS12_E1_NS1_11comp_targetILNS1_3genE2ELNS1_11target_archE906ELNS1_3gpuE6ELNS1_3repE0EEENS1_36merge_oddeven_config_static_selectorELNS0_4arch9wavefront6targetE0EEEvSO_.num_named_barrier, 0
	.set _ZN7rocprim17ROCPRIM_400000_NS6detail17trampoline_kernelINS0_14default_configENS1_38merge_sort_block_merge_config_selectorIjN6thrust23THRUST_200600_302600_NS5tupleIffNS6_9null_typeES8_S8_S8_S8_S8_S8_S8_EEEEZZNS1_27merge_sort_block_merge_implIS3_NS6_6detail15normal_iteratorINS6_10device_ptrIjEEEENSD_INSE_IS9_EEEEjNS1_19radix_merge_compareILb0ELb0EjNS0_19identity_decomposerEEEEE10hipError_tT0_T1_T2_jT3_P12ihipStream_tbPNSt15iterator_traitsISN_E10value_typeEPNST_ISO_E10value_typeEPSP_NS1_7vsmem_tEENKUlT_SN_SO_SP_E_clISG_PjSI_PS9_EESM_S12_SN_SO_SP_EUlS12_E1_NS1_11comp_targetILNS1_3genE2ELNS1_11target_archE906ELNS1_3gpuE6ELNS1_3repE0EEENS1_36merge_oddeven_config_static_selectorELNS0_4arch9wavefront6targetE0EEEvSO_.private_seg_size, 0
	.set _ZN7rocprim17ROCPRIM_400000_NS6detail17trampoline_kernelINS0_14default_configENS1_38merge_sort_block_merge_config_selectorIjN6thrust23THRUST_200600_302600_NS5tupleIffNS6_9null_typeES8_S8_S8_S8_S8_S8_S8_EEEEZZNS1_27merge_sort_block_merge_implIS3_NS6_6detail15normal_iteratorINS6_10device_ptrIjEEEENSD_INSE_IS9_EEEEjNS1_19radix_merge_compareILb0ELb0EjNS0_19identity_decomposerEEEEE10hipError_tT0_T1_T2_jT3_P12ihipStream_tbPNSt15iterator_traitsISN_E10value_typeEPNST_ISO_E10value_typeEPSP_NS1_7vsmem_tEENKUlT_SN_SO_SP_E_clISG_PjSI_PS9_EESM_S12_SN_SO_SP_EUlS12_E1_NS1_11comp_targetILNS1_3genE2ELNS1_11target_archE906ELNS1_3gpuE6ELNS1_3repE0EEENS1_36merge_oddeven_config_static_selectorELNS0_4arch9wavefront6targetE0EEEvSO_.uses_vcc, 0
	.set _ZN7rocprim17ROCPRIM_400000_NS6detail17trampoline_kernelINS0_14default_configENS1_38merge_sort_block_merge_config_selectorIjN6thrust23THRUST_200600_302600_NS5tupleIffNS6_9null_typeES8_S8_S8_S8_S8_S8_S8_EEEEZZNS1_27merge_sort_block_merge_implIS3_NS6_6detail15normal_iteratorINS6_10device_ptrIjEEEENSD_INSE_IS9_EEEEjNS1_19radix_merge_compareILb0ELb0EjNS0_19identity_decomposerEEEEE10hipError_tT0_T1_T2_jT3_P12ihipStream_tbPNSt15iterator_traitsISN_E10value_typeEPNST_ISO_E10value_typeEPSP_NS1_7vsmem_tEENKUlT_SN_SO_SP_E_clISG_PjSI_PS9_EESM_S12_SN_SO_SP_EUlS12_E1_NS1_11comp_targetILNS1_3genE2ELNS1_11target_archE906ELNS1_3gpuE6ELNS1_3repE0EEENS1_36merge_oddeven_config_static_selectorELNS0_4arch9wavefront6targetE0EEEvSO_.uses_flat_scratch, 0
	.set _ZN7rocprim17ROCPRIM_400000_NS6detail17trampoline_kernelINS0_14default_configENS1_38merge_sort_block_merge_config_selectorIjN6thrust23THRUST_200600_302600_NS5tupleIffNS6_9null_typeES8_S8_S8_S8_S8_S8_S8_EEEEZZNS1_27merge_sort_block_merge_implIS3_NS6_6detail15normal_iteratorINS6_10device_ptrIjEEEENSD_INSE_IS9_EEEEjNS1_19radix_merge_compareILb0ELb0EjNS0_19identity_decomposerEEEEE10hipError_tT0_T1_T2_jT3_P12ihipStream_tbPNSt15iterator_traitsISN_E10value_typeEPNST_ISO_E10value_typeEPSP_NS1_7vsmem_tEENKUlT_SN_SO_SP_E_clISG_PjSI_PS9_EESM_S12_SN_SO_SP_EUlS12_E1_NS1_11comp_targetILNS1_3genE2ELNS1_11target_archE906ELNS1_3gpuE6ELNS1_3repE0EEENS1_36merge_oddeven_config_static_selectorELNS0_4arch9wavefront6targetE0EEEvSO_.has_dyn_sized_stack, 0
	.set _ZN7rocprim17ROCPRIM_400000_NS6detail17trampoline_kernelINS0_14default_configENS1_38merge_sort_block_merge_config_selectorIjN6thrust23THRUST_200600_302600_NS5tupleIffNS6_9null_typeES8_S8_S8_S8_S8_S8_S8_EEEEZZNS1_27merge_sort_block_merge_implIS3_NS6_6detail15normal_iteratorINS6_10device_ptrIjEEEENSD_INSE_IS9_EEEEjNS1_19radix_merge_compareILb0ELb0EjNS0_19identity_decomposerEEEEE10hipError_tT0_T1_T2_jT3_P12ihipStream_tbPNSt15iterator_traitsISN_E10value_typeEPNST_ISO_E10value_typeEPSP_NS1_7vsmem_tEENKUlT_SN_SO_SP_E_clISG_PjSI_PS9_EESM_S12_SN_SO_SP_EUlS12_E1_NS1_11comp_targetILNS1_3genE2ELNS1_11target_archE906ELNS1_3gpuE6ELNS1_3repE0EEENS1_36merge_oddeven_config_static_selectorELNS0_4arch9wavefront6targetE0EEEvSO_.has_recursion, 0
	.set _ZN7rocprim17ROCPRIM_400000_NS6detail17trampoline_kernelINS0_14default_configENS1_38merge_sort_block_merge_config_selectorIjN6thrust23THRUST_200600_302600_NS5tupleIffNS6_9null_typeES8_S8_S8_S8_S8_S8_S8_EEEEZZNS1_27merge_sort_block_merge_implIS3_NS6_6detail15normal_iteratorINS6_10device_ptrIjEEEENSD_INSE_IS9_EEEEjNS1_19radix_merge_compareILb0ELb0EjNS0_19identity_decomposerEEEEE10hipError_tT0_T1_T2_jT3_P12ihipStream_tbPNSt15iterator_traitsISN_E10value_typeEPNST_ISO_E10value_typeEPSP_NS1_7vsmem_tEENKUlT_SN_SO_SP_E_clISG_PjSI_PS9_EESM_S12_SN_SO_SP_EUlS12_E1_NS1_11comp_targetILNS1_3genE2ELNS1_11target_archE906ELNS1_3gpuE6ELNS1_3repE0EEENS1_36merge_oddeven_config_static_selectorELNS0_4arch9wavefront6targetE0EEEvSO_.has_indirect_call, 0
	.section	.AMDGPU.csdata,"",@progbits
; Kernel info:
; codeLenInByte = 0
; TotalNumSgprs: 0
; NumVgprs: 0
; ScratchSize: 0
; MemoryBound: 0
; FloatMode: 240
; IeeeMode: 1
; LDSByteSize: 0 bytes/workgroup (compile time only)
; SGPRBlocks: 0
; VGPRBlocks: 0
; NumSGPRsForWavesPerEU: 1
; NumVGPRsForWavesPerEU: 1
; Occupancy: 16
; WaveLimiterHint : 0
; COMPUTE_PGM_RSRC2:SCRATCH_EN: 0
; COMPUTE_PGM_RSRC2:USER_SGPR: 6
; COMPUTE_PGM_RSRC2:TRAP_HANDLER: 0
; COMPUTE_PGM_RSRC2:TGID_X_EN: 1
; COMPUTE_PGM_RSRC2:TGID_Y_EN: 0
; COMPUTE_PGM_RSRC2:TGID_Z_EN: 0
; COMPUTE_PGM_RSRC2:TIDIG_COMP_CNT: 0
	.section	.text._ZN7rocprim17ROCPRIM_400000_NS6detail17trampoline_kernelINS0_14default_configENS1_38merge_sort_block_merge_config_selectorIjN6thrust23THRUST_200600_302600_NS5tupleIffNS6_9null_typeES8_S8_S8_S8_S8_S8_S8_EEEEZZNS1_27merge_sort_block_merge_implIS3_NS6_6detail15normal_iteratorINS6_10device_ptrIjEEEENSD_INSE_IS9_EEEEjNS1_19radix_merge_compareILb0ELb0EjNS0_19identity_decomposerEEEEE10hipError_tT0_T1_T2_jT3_P12ihipStream_tbPNSt15iterator_traitsISN_E10value_typeEPNST_ISO_E10value_typeEPSP_NS1_7vsmem_tEENKUlT_SN_SO_SP_E_clISG_PjSI_PS9_EESM_S12_SN_SO_SP_EUlS12_E1_NS1_11comp_targetILNS1_3genE9ELNS1_11target_archE1100ELNS1_3gpuE3ELNS1_3repE0EEENS1_36merge_oddeven_config_static_selectorELNS0_4arch9wavefront6targetE0EEEvSO_,"axG",@progbits,_ZN7rocprim17ROCPRIM_400000_NS6detail17trampoline_kernelINS0_14default_configENS1_38merge_sort_block_merge_config_selectorIjN6thrust23THRUST_200600_302600_NS5tupleIffNS6_9null_typeES8_S8_S8_S8_S8_S8_S8_EEEEZZNS1_27merge_sort_block_merge_implIS3_NS6_6detail15normal_iteratorINS6_10device_ptrIjEEEENSD_INSE_IS9_EEEEjNS1_19radix_merge_compareILb0ELb0EjNS0_19identity_decomposerEEEEE10hipError_tT0_T1_T2_jT3_P12ihipStream_tbPNSt15iterator_traitsISN_E10value_typeEPNST_ISO_E10value_typeEPSP_NS1_7vsmem_tEENKUlT_SN_SO_SP_E_clISG_PjSI_PS9_EESM_S12_SN_SO_SP_EUlS12_E1_NS1_11comp_targetILNS1_3genE9ELNS1_11target_archE1100ELNS1_3gpuE3ELNS1_3repE0EEENS1_36merge_oddeven_config_static_selectorELNS0_4arch9wavefront6targetE0EEEvSO_,comdat
	.protected	_ZN7rocprim17ROCPRIM_400000_NS6detail17trampoline_kernelINS0_14default_configENS1_38merge_sort_block_merge_config_selectorIjN6thrust23THRUST_200600_302600_NS5tupleIffNS6_9null_typeES8_S8_S8_S8_S8_S8_S8_EEEEZZNS1_27merge_sort_block_merge_implIS3_NS6_6detail15normal_iteratorINS6_10device_ptrIjEEEENSD_INSE_IS9_EEEEjNS1_19radix_merge_compareILb0ELb0EjNS0_19identity_decomposerEEEEE10hipError_tT0_T1_T2_jT3_P12ihipStream_tbPNSt15iterator_traitsISN_E10value_typeEPNST_ISO_E10value_typeEPSP_NS1_7vsmem_tEENKUlT_SN_SO_SP_E_clISG_PjSI_PS9_EESM_S12_SN_SO_SP_EUlS12_E1_NS1_11comp_targetILNS1_3genE9ELNS1_11target_archE1100ELNS1_3gpuE3ELNS1_3repE0EEENS1_36merge_oddeven_config_static_selectorELNS0_4arch9wavefront6targetE0EEEvSO_ ; -- Begin function _ZN7rocprim17ROCPRIM_400000_NS6detail17trampoline_kernelINS0_14default_configENS1_38merge_sort_block_merge_config_selectorIjN6thrust23THRUST_200600_302600_NS5tupleIffNS6_9null_typeES8_S8_S8_S8_S8_S8_S8_EEEEZZNS1_27merge_sort_block_merge_implIS3_NS6_6detail15normal_iteratorINS6_10device_ptrIjEEEENSD_INSE_IS9_EEEEjNS1_19radix_merge_compareILb0ELb0EjNS0_19identity_decomposerEEEEE10hipError_tT0_T1_T2_jT3_P12ihipStream_tbPNSt15iterator_traitsISN_E10value_typeEPNST_ISO_E10value_typeEPSP_NS1_7vsmem_tEENKUlT_SN_SO_SP_E_clISG_PjSI_PS9_EESM_S12_SN_SO_SP_EUlS12_E1_NS1_11comp_targetILNS1_3genE9ELNS1_11target_archE1100ELNS1_3gpuE3ELNS1_3repE0EEENS1_36merge_oddeven_config_static_selectorELNS0_4arch9wavefront6targetE0EEEvSO_
	.globl	_ZN7rocprim17ROCPRIM_400000_NS6detail17trampoline_kernelINS0_14default_configENS1_38merge_sort_block_merge_config_selectorIjN6thrust23THRUST_200600_302600_NS5tupleIffNS6_9null_typeES8_S8_S8_S8_S8_S8_S8_EEEEZZNS1_27merge_sort_block_merge_implIS3_NS6_6detail15normal_iteratorINS6_10device_ptrIjEEEENSD_INSE_IS9_EEEEjNS1_19radix_merge_compareILb0ELb0EjNS0_19identity_decomposerEEEEE10hipError_tT0_T1_T2_jT3_P12ihipStream_tbPNSt15iterator_traitsISN_E10value_typeEPNST_ISO_E10value_typeEPSP_NS1_7vsmem_tEENKUlT_SN_SO_SP_E_clISG_PjSI_PS9_EESM_S12_SN_SO_SP_EUlS12_E1_NS1_11comp_targetILNS1_3genE9ELNS1_11target_archE1100ELNS1_3gpuE3ELNS1_3repE0EEENS1_36merge_oddeven_config_static_selectorELNS0_4arch9wavefront6targetE0EEEvSO_
	.p2align	8
	.type	_ZN7rocprim17ROCPRIM_400000_NS6detail17trampoline_kernelINS0_14default_configENS1_38merge_sort_block_merge_config_selectorIjN6thrust23THRUST_200600_302600_NS5tupleIffNS6_9null_typeES8_S8_S8_S8_S8_S8_S8_EEEEZZNS1_27merge_sort_block_merge_implIS3_NS6_6detail15normal_iteratorINS6_10device_ptrIjEEEENSD_INSE_IS9_EEEEjNS1_19radix_merge_compareILb0ELb0EjNS0_19identity_decomposerEEEEE10hipError_tT0_T1_T2_jT3_P12ihipStream_tbPNSt15iterator_traitsISN_E10value_typeEPNST_ISO_E10value_typeEPSP_NS1_7vsmem_tEENKUlT_SN_SO_SP_E_clISG_PjSI_PS9_EESM_S12_SN_SO_SP_EUlS12_E1_NS1_11comp_targetILNS1_3genE9ELNS1_11target_archE1100ELNS1_3gpuE3ELNS1_3repE0EEENS1_36merge_oddeven_config_static_selectorELNS0_4arch9wavefront6targetE0EEEvSO_,@function
_ZN7rocprim17ROCPRIM_400000_NS6detail17trampoline_kernelINS0_14default_configENS1_38merge_sort_block_merge_config_selectorIjN6thrust23THRUST_200600_302600_NS5tupleIffNS6_9null_typeES8_S8_S8_S8_S8_S8_S8_EEEEZZNS1_27merge_sort_block_merge_implIS3_NS6_6detail15normal_iteratorINS6_10device_ptrIjEEEENSD_INSE_IS9_EEEEjNS1_19radix_merge_compareILb0ELb0EjNS0_19identity_decomposerEEEEE10hipError_tT0_T1_T2_jT3_P12ihipStream_tbPNSt15iterator_traitsISN_E10value_typeEPNST_ISO_E10value_typeEPSP_NS1_7vsmem_tEENKUlT_SN_SO_SP_E_clISG_PjSI_PS9_EESM_S12_SN_SO_SP_EUlS12_E1_NS1_11comp_targetILNS1_3genE9ELNS1_11target_archE1100ELNS1_3gpuE3ELNS1_3repE0EEENS1_36merge_oddeven_config_static_selectorELNS0_4arch9wavefront6targetE0EEEvSO_: ; @_ZN7rocprim17ROCPRIM_400000_NS6detail17trampoline_kernelINS0_14default_configENS1_38merge_sort_block_merge_config_selectorIjN6thrust23THRUST_200600_302600_NS5tupleIffNS6_9null_typeES8_S8_S8_S8_S8_S8_S8_EEEEZZNS1_27merge_sort_block_merge_implIS3_NS6_6detail15normal_iteratorINS6_10device_ptrIjEEEENSD_INSE_IS9_EEEEjNS1_19radix_merge_compareILb0ELb0EjNS0_19identity_decomposerEEEEE10hipError_tT0_T1_T2_jT3_P12ihipStream_tbPNSt15iterator_traitsISN_E10value_typeEPNST_ISO_E10value_typeEPSP_NS1_7vsmem_tEENKUlT_SN_SO_SP_E_clISG_PjSI_PS9_EESM_S12_SN_SO_SP_EUlS12_E1_NS1_11comp_targetILNS1_3genE9ELNS1_11target_archE1100ELNS1_3gpuE3ELNS1_3repE0EEENS1_36merge_oddeven_config_static_selectorELNS0_4arch9wavefront6targetE0EEEvSO_
; %bb.0:
	.section	.rodata,"a",@progbits
	.p2align	6, 0x0
	.amdhsa_kernel _ZN7rocprim17ROCPRIM_400000_NS6detail17trampoline_kernelINS0_14default_configENS1_38merge_sort_block_merge_config_selectorIjN6thrust23THRUST_200600_302600_NS5tupleIffNS6_9null_typeES8_S8_S8_S8_S8_S8_S8_EEEEZZNS1_27merge_sort_block_merge_implIS3_NS6_6detail15normal_iteratorINS6_10device_ptrIjEEEENSD_INSE_IS9_EEEEjNS1_19radix_merge_compareILb0ELb0EjNS0_19identity_decomposerEEEEE10hipError_tT0_T1_T2_jT3_P12ihipStream_tbPNSt15iterator_traitsISN_E10value_typeEPNST_ISO_E10value_typeEPSP_NS1_7vsmem_tEENKUlT_SN_SO_SP_E_clISG_PjSI_PS9_EESM_S12_SN_SO_SP_EUlS12_E1_NS1_11comp_targetILNS1_3genE9ELNS1_11target_archE1100ELNS1_3gpuE3ELNS1_3repE0EEENS1_36merge_oddeven_config_static_selectorELNS0_4arch9wavefront6targetE0EEEvSO_
		.amdhsa_group_segment_fixed_size 0
		.amdhsa_private_segment_fixed_size 0
		.amdhsa_kernarg_size 48
		.amdhsa_user_sgpr_count 6
		.amdhsa_user_sgpr_private_segment_buffer 1
		.amdhsa_user_sgpr_dispatch_ptr 0
		.amdhsa_user_sgpr_queue_ptr 0
		.amdhsa_user_sgpr_kernarg_segment_ptr 1
		.amdhsa_user_sgpr_dispatch_id 0
		.amdhsa_user_sgpr_flat_scratch_init 0
		.amdhsa_user_sgpr_private_segment_size 0
		.amdhsa_wavefront_size32 1
		.amdhsa_uses_dynamic_stack 0
		.amdhsa_system_sgpr_private_segment_wavefront_offset 0
		.amdhsa_system_sgpr_workgroup_id_x 1
		.amdhsa_system_sgpr_workgroup_id_y 0
		.amdhsa_system_sgpr_workgroup_id_z 0
		.amdhsa_system_sgpr_workgroup_info 0
		.amdhsa_system_vgpr_workitem_id 0
		.amdhsa_next_free_vgpr 1
		.amdhsa_next_free_sgpr 1
		.amdhsa_reserve_vcc 0
		.amdhsa_reserve_flat_scratch 0
		.amdhsa_float_round_mode_32 0
		.amdhsa_float_round_mode_16_64 0
		.amdhsa_float_denorm_mode_32 3
		.amdhsa_float_denorm_mode_16_64 3
		.amdhsa_dx10_clamp 1
		.amdhsa_ieee_mode 1
		.amdhsa_fp16_overflow 0
		.amdhsa_workgroup_processor_mode 1
		.amdhsa_memory_ordered 1
		.amdhsa_forward_progress 1
		.amdhsa_shared_vgpr_count 0
		.amdhsa_exception_fp_ieee_invalid_op 0
		.amdhsa_exception_fp_denorm_src 0
		.amdhsa_exception_fp_ieee_div_zero 0
		.amdhsa_exception_fp_ieee_overflow 0
		.amdhsa_exception_fp_ieee_underflow 0
		.amdhsa_exception_fp_ieee_inexact 0
		.amdhsa_exception_int_div_zero 0
	.end_amdhsa_kernel
	.section	.text._ZN7rocprim17ROCPRIM_400000_NS6detail17trampoline_kernelINS0_14default_configENS1_38merge_sort_block_merge_config_selectorIjN6thrust23THRUST_200600_302600_NS5tupleIffNS6_9null_typeES8_S8_S8_S8_S8_S8_S8_EEEEZZNS1_27merge_sort_block_merge_implIS3_NS6_6detail15normal_iteratorINS6_10device_ptrIjEEEENSD_INSE_IS9_EEEEjNS1_19radix_merge_compareILb0ELb0EjNS0_19identity_decomposerEEEEE10hipError_tT0_T1_T2_jT3_P12ihipStream_tbPNSt15iterator_traitsISN_E10value_typeEPNST_ISO_E10value_typeEPSP_NS1_7vsmem_tEENKUlT_SN_SO_SP_E_clISG_PjSI_PS9_EESM_S12_SN_SO_SP_EUlS12_E1_NS1_11comp_targetILNS1_3genE9ELNS1_11target_archE1100ELNS1_3gpuE3ELNS1_3repE0EEENS1_36merge_oddeven_config_static_selectorELNS0_4arch9wavefront6targetE0EEEvSO_,"axG",@progbits,_ZN7rocprim17ROCPRIM_400000_NS6detail17trampoline_kernelINS0_14default_configENS1_38merge_sort_block_merge_config_selectorIjN6thrust23THRUST_200600_302600_NS5tupleIffNS6_9null_typeES8_S8_S8_S8_S8_S8_S8_EEEEZZNS1_27merge_sort_block_merge_implIS3_NS6_6detail15normal_iteratorINS6_10device_ptrIjEEEENSD_INSE_IS9_EEEEjNS1_19radix_merge_compareILb0ELb0EjNS0_19identity_decomposerEEEEE10hipError_tT0_T1_T2_jT3_P12ihipStream_tbPNSt15iterator_traitsISN_E10value_typeEPNST_ISO_E10value_typeEPSP_NS1_7vsmem_tEENKUlT_SN_SO_SP_E_clISG_PjSI_PS9_EESM_S12_SN_SO_SP_EUlS12_E1_NS1_11comp_targetILNS1_3genE9ELNS1_11target_archE1100ELNS1_3gpuE3ELNS1_3repE0EEENS1_36merge_oddeven_config_static_selectorELNS0_4arch9wavefront6targetE0EEEvSO_,comdat
.Lfunc_end71:
	.size	_ZN7rocprim17ROCPRIM_400000_NS6detail17trampoline_kernelINS0_14default_configENS1_38merge_sort_block_merge_config_selectorIjN6thrust23THRUST_200600_302600_NS5tupleIffNS6_9null_typeES8_S8_S8_S8_S8_S8_S8_EEEEZZNS1_27merge_sort_block_merge_implIS3_NS6_6detail15normal_iteratorINS6_10device_ptrIjEEEENSD_INSE_IS9_EEEEjNS1_19radix_merge_compareILb0ELb0EjNS0_19identity_decomposerEEEEE10hipError_tT0_T1_T2_jT3_P12ihipStream_tbPNSt15iterator_traitsISN_E10value_typeEPNST_ISO_E10value_typeEPSP_NS1_7vsmem_tEENKUlT_SN_SO_SP_E_clISG_PjSI_PS9_EESM_S12_SN_SO_SP_EUlS12_E1_NS1_11comp_targetILNS1_3genE9ELNS1_11target_archE1100ELNS1_3gpuE3ELNS1_3repE0EEENS1_36merge_oddeven_config_static_selectorELNS0_4arch9wavefront6targetE0EEEvSO_, .Lfunc_end71-_ZN7rocprim17ROCPRIM_400000_NS6detail17trampoline_kernelINS0_14default_configENS1_38merge_sort_block_merge_config_selectorIjN6thrust23THRUST_200600_302600_NS5tupleIffNS6_9null_typeES8_S8_S8_S8_S8_S8_S8_EEEEZZNS1_27merge_sort_block_merge_implIS3_NS6_6detail15normal_iteratorINS6_10device_ptrIjEEEENSD_INSE_IS9_EEEEjNS1_19radix_merge_compareILb0ELb0EjNS0_19identity_decomposerEEEEE10hipError_tT0_T1_T2_jT3_P12ihipStream_tbPNSt15iterator_traitsISN_E10value_typeEPNST_ISO_E10value_typeEPSP_NS1_7vsmem_tEENKUlT_SN_SO_SP_E_clISG_PjSI_PS9_EESM_S12_SN_SO_SP_EUlS12_E1_NS1_11comp_targetILNS1_3genE9ELNS1_11target_archE1100ELNS1_3gpuE3ELNS1_3repE0EEENS1_36merge_oddeven_config_static_selectorELNS0_4arch9wavefront6targetE0EEEvSO_
                                        ; -- End function
	.set _ZN7rocprim17ROCPRIM_400000_NS6detail17trampoline_kernelINS0_14default_configENS1_38merge_sort_block_merge_config_selectorIjN6thrust23THRUST_200600_302600_NS5tupleIffNS6_9null_typeES8_S8_S8_S8_S8_S8_S8_EEEEZZNS1_27merge_sort_block_merge_implIS3_NS6_6detail15normal_iteratorINS6_10device_ptrIjEEEENSD_INSE_IS9_EEEEjNS1_19radix_merge_compareILb0ELb0EjNS0_19identity_decomposerEEEEE10hipError_tT0_T1_T2_jT3_P12ihipStream_tbPNSt15iterator_traitsISN_E10value_typeEPNST_ISO_E10value_typeEPSP_NS1_7vsmem_tEENKUlT_SN_SO_SP_E_clISG_PjSI_PS9_EESM_S12_SN_SO_SP_EUlS12_E1_NS1_11comp_targetILNS1_3genE9ELNS1_11target_archE1100ELNS1_3gpuE3ELNS1_3repE0EEENS1_36merge_oddeven_config_static_selectorELNS0_4arch9wavefront6targetE0EEEvSO_.num_vgpr, 0
	.set _ZN7rocprim17ROCPRIM_400000_NS6detail17trampoline_kernelINS0_14default_configENS1_38merge_sort_block_merge_config_selectorIjN6thrust23THRUST_200600_302600_NS5tupleIffNS6_9null_typeES8_S8_S8_S8_S8_S8_S8_EEEEZZNS1_27merge_sort_block_merge_implIS3_NS6_6detail15normal_iteratorINS6_10device_ptrIjEEEENSD_INSE_IS9_EEEEjNS1_19radix_merge_compareILb0ELb0EjNS0_19identity_decomposerEEEEE10hipError_tT0_T1_T2_jT3_P12ihipStream_tbPNSt15iterator_traitsISN_E10value_typeEPNST_ISO_E10value_typeEPSP_NS1_7vsmem_tEENKUlT_SN_SO_SP_E_clISG_PjSI_PS9_EESM_S12_SN_SO_SP_EUlS12_E1_NS1_11comp_targetILNS1_3genE9ELNS1_11target_archE1100ELNS1_3gpuE3ELNS1_3repE0EEENS1_36merge_oddeven_config_static_selectorELNS0_4arch9wavefront6targetE0EEEvSO_.num_agpr, 0
	.set _ZN7rocprim17ROCPRIM_400000_NS6detail17trampoline_kernelINS0_14default_configENS1_38merge_sort_block_merge_config_selectorIjN6thrust23THRUST_200600_302600_NS5tupleIffNS6_9null_typeES8_S8_S8_S8_S8_S8_S8_EEEEZZNS1_27merge_sort_block_merge_implIS3_NS6_6detail15normal_iteratorINS6_10device_ptrIjEEEENSD_INSE_IS9_EEEEjNS1_19radix_merge_compareILb0ELb0EjNS0_19identity_decomposerEEEEE10hipError_tT0_T1_T2_jT3_P12ihipStream_tbPNSt15iterator_traitsISN_E10value_typeEPNST_ISO_E10value_typeEPSP_NS1_7vsmem_tEENKUlT_SN_SO_SP_E_clISG_PjSI_PS9_EESM_S12_SN_SO_SP_EUlS12_E1_NS1_11comp_targetILNS1_3genE9ELNS1_11target_archE1100ELNS1_3gpuE3ELNS1_3repE0EEENS1_36merge_oddeven_config_static_selectorELNS0_4arch9wavefront6targetE0EEEvSO_.numbered_sgpr, 0
	.set _ZN7rocprim17ROCPRIM_400000_NS6detail17trampoline_kernelINS0_14default_configENS1_38merge_sort_block_merge_config_selectorIjN6thrust23THRUST_200600_302600_NS5tupleIffNS6_9null_typeES8_S8_S8_S8_S8_S8_S8_EEEEZZNS1_27merge_sort_block_merge_implIS3_NS6_6detail15normal_iteratorINS6_10device_ptrIjEEEENSD_INSE_IS9_EEEEjNS1_19radix_merge_compareILb0ELb0EjNS0_19identity_decomposerEEEEE10hipError_tT0_T1_T2_jT3_P12ihipStream_tbPNSt15iterator_traitsISN_E10value_typeEPNST_ISO_E10value_typeEPSP_NS1_7vsmem_tEENKUlT_SN_SO_SP_E_clISG_PjSI_PS9_EESM_S12_SN_SO_SP_EUlS12_E1_NS1_11comp_targetILNS1_3genE9ELNS1_11target_archE1100ELNS1_3gpuE3ELNS1_3repE0EEENS1_36merge_oddeven_config_static_selectorELNS0_4arch9wavefront6targetE0EEEvSO_.num_named_barrier, 0
	.set _ZN7rocprim17ROCPRIM_400000_NS6detail17trampoline_kernelINS0_14default_configENS1_38merge_sort_block_merge_config_selectorIjN6thrust23THRUST_200600_302600_NS5tupleIffNS6_9null_typeES8_S8_S8_S8_S8_S8_S8_EEEEZZNS1_27merge_sort_block_merge_implIS3_NS6_6detail15normal_iteratorINS6_10device_ptrIjEEEENSD_INSE_IS9_EEEEjNS1_19radix_merge_compareILb0ELb0EjNS0_19identity_decomposerEEEEE10hipError_tT0_T1_T2_jT3_P12ihipStream_tbPNSt15iterator_traitsISN_E10value_typeEPNST_ISO_E10value_typeEPSP_NS1_7vsmem_tEENKUlT_SN_SO_SP_E_clISG_PjSI_PS9_EESM_S12_SN_SO_SP_EUlS12_E1_NS1_11comp_targetILNS1_3genE9ELNS1_11target_archE1100ELNS1_3gpuE3ELNS1_3repE0EEENS1_36merge_oddeven_config_static_selectorELNS0_4arch9wavefront6targetE0EEEvSO_.private_seg_size, 0
	.set _ZN7rocprim17ROCPRIM_400000_NS6detail17trampoline_kernelINS0_14default_configENS1_38merge_sort_block_merge_config_selectorIjN6thrust23THRUST_200600_302600_NS5tupleIffNS6_9null_typeES8_S8_S8_S8_S8_S8_S8_EEEEZZNS1_27merge_sort_block_merge_implIS3_NS6_6detail15normal_iteratorINS6_10device_ptrIjEEEENSD_INSE_IS9_EEEEjNS1_19radix_merge_compareILb0ELb0EjNS0_19identity_decomposerEEEEE10hipError_tT0_T1_T2_jT3_P12ihipStream_tbPNSt15iterator_traitsISN_E10value_typeEPNST_ISO_E10value_typeEPSP_NS1_7vsmem_tEENKUlT_SN_SO_SP_E_clISG_PjSI_PS9_EESM_S12_SN_SO_SP_EUlS12_E1_NS1_11comp_targetILNS1_3genE9ELNS1_11target_archE1100ELNS1_3gpuE3ELNS1_3repE0EEENS1_36merge_oddeven_config_static_selectorELNS0_4arch9wavefront6targetE0EEEvSO_.uses_vcc, 0
	.set _ZN7rocprim17ROCPRIM_400000_NS6detail17trampoline_kernelINS0_14default_configENS1_38merge_sort_block_merge_config_selectorIjN6thrust23THRUST_200600_302600_NS5tupleIffNS6_9null_typeES8_S8_S8_S8_S8_S8_S8_EEEEZZNS1_27merge_sort_block_merge_implIS3_NS6_6detail15normal_iteratorINS6_10device_ptrIjEEEENSD_INSE_IS9_EEEEjNS1_19radix_merge_compareILb0ELb0EjNS0_19identity_decomposerEEEEE10hipError_tT0_T1_T2_jT3_P12ihipStream_tbPNSt15iterator_traitsISN_E10value_typeEPNST_ISO_E10value_typeEPSP_NS1_7vsmem_tEENKUlT_SN_SO_SP_E_clISG_PjSI_PS9_EESM_S12_SN_SO_SP_EUlS12_E1_NS1_11comp_targetILNS1_3genE9ELNS1_11target_archE1100ELNS1_3gpuE3ELNS1_3repE0EEENS1_36merge_oddeven_config_static_selectorELNS0_4arch9wavefront6targetE0EEEvSO_.uses_flat_scratch, 0
	.set _ZN7rocprim17ROCPRIM_400000_NS6detail17trampoline_kernelINS0_14default_configENS1_38merge_sort_block_merge_config_selectorIjN6thrust23THRUST_200600_302600_NS5tupleIffNS6_9null_typeES8_S8_S8_S8_S8_S8_S8_EEEEZZNS1_27merge_sort_block_merge_implIS3_NS6_6detail15normal_iteratorINS6_10device_ptrIjEEEENSD_INSE_IS9_EEEEjNS1_19radix_merge_compareILb0ELb0EjNS0_19identity_decomposerEEEEE10hipError_tT0_T1_T2_jT3_P12ihipStream_tbPNSt15iterator_traitsISN_E10value_typeEPNST_ISO_E10value_typeEPSP_NS1_7vsmem_tEENKUlT_SN_SO_SP_E_clISG_PjSI_PS9_EESM_S12_SN_SO_SP_EUlS12_E1_NS1_11comp_targetILNS1_3genE9ELNS1_11target_archE1100ELNS1_3gpuE3ELNS1_3repE0EEENS1_36merge_oddeven_config_static_selectorELNS0_4arch9wavefront6targetE0EEEvSO_.has_dyn_sized_stack, 0
	.set _ZN7rocprim17ROCPRIM_400000_NS6detail17trampoline_kernelINS0_14default_configENS1_38merge_sort_block_merge_config_selectorIjN6thrust23THRUST_200600_302600_NS5tupleIffNS6_9null_typeES8_S8_S8_S8_S8_S8_S8_EEEEZZNS1_27merge_sort_block_merge_implIS3_NS6_6detail15normal_iteratorINS6_10device_ptrIjEEEENSD_INSE_IS9_EEEEjNS1_19radix_merge_compareILb0ELb0EjNS0_19identity_decomposerEEEEE10hipError_tT0_T1_T2_jT3_P12ihipStream_tbPNSt15iterator_traitsISN_E10value_typeEPNST_ISO_E10value_typeEPSP_NS1_7vsmem_tEENKUlT_SN_SO_SP_E_clISG_PjSI_PS9_EESM_S12_SN_SO_SP_EUlS12_E1_NS1_11comp_targetILNS1_3genE9ELNS1_11target_archE1100ELNS1_3gpuE3ELNS1_3repE0EEENS1_36merge_oddeven_config_static_selectorELNS0_4arch9wavefront6targetE0EEEvSO_.has_recursion, 0
	.set _ZN7rocprim17ROCPRIM_400000_NS6detail17trampoline_kernelINS0_14default_configENS1_38merge_sort_block_merge_config_selectorIjN6thrust23THRUST_200600_302600_NS5tupleIffNS6_9null_typeES8_S8_S8_S8_S8_S8_S8_EEEEZZNS1_27merge_sort_block_merge_implIS3_NS6_6detail15normal_iteratorINS6_10device_ptrIjEEEENSD_INSE_IS9_EEEEjNS1_19radix_merge_compareILb0ELb0EjNS0_19identity_decomposerEEEEE10hipError_tT0_T1_T2_jT3_P12ihipStream_tbPNSt15iterator_traitsISN_E10value_typeEPNST_ISO_E10value_typeEPSP_NS1_7vsmem_tEENKUlT_SN_SO_SP_E_clISG_PjSI_PS9_EESM_S12_SN_SO_SP_EUlS12_E1_NS1_11comp_targetILNS1_3genE9ELNS1_11target_archE1100ELNS1_3gpuE3ELNS1_3repE0EEENS1_36merge_oddeven_config_static_selectorELNS0_4arch9wavefront6targetE0EEEvSO_.has_indirect_call, 0
	.section	.AMDGPU.csdata,"",@progbits
; Kernel info:
; codeLenInByte = 0
; TotalNumSgprs: 0
; NumVgprs: 0
; ScratchSize: 0
; MemoryBound: 0
; FloatMode: 240
; IeeeMode: 1
; LDSByteSize: 0 bytes/workgroup (compile time only)
; SGPRBlocks: 0
; VGPRBlocks: 0
; NumSGPRsForWavesPerEU: 1
; NumVGPRsForWavesPerEU: 1
; Occupancy: 16
; WaveLimiterHint : 0
; COMPUTE_PGM_RSRC2:SCRATCH_EN: 0
; COMPUTE_PGM_RSRC2:USER_SGPR: 6
; COMPUTE_PGM_RSRC2:TRAP_HANDLER: 0
; COMPUTE_PGM_RSRC2:TGID_X_EN: 1
; COMPUTE_PGM_RSRC2:TGID_Y_EN: 0
; COMPUTE_PGM_RSRC2:TGID_Z_EN: 0
; COMPUTE_PGM_RSRC2:TIDIG_COMP_CNT: 0
	.section	.text._ZN7rocprim17ROCPRIM_400000_NS6detail17trampoline_kernelINS0_14default_configENS1_38merge_sort_block_merge_config_selectorIjN6thrust23THRUST_200600_302600_NS5tupleIffNS6_9null_typeES8_S8_S8_S8_S8_S8_S8_EEEEZZNS1_27merge_sort_block_merge_implIS3_NS6_6detail15normal_iteratorINS6_10device_ptrIjEEEENSD_INSE_IS9_EEEEjNS1_19radix_merge_compareILb0ELb0EjNS0_19identity_decomposerEEEEE10hipError_tT0_T1_T2_jT3_P12ihipStream_tbPNSt15iterator_traitsISN_E10value_typeEPNST_ISO_E10value_typeEPSP_NS1_7vsmem_tEENKUlT_SN_SO_SP_E_clISG_PjSI_PS9_EESM_S12_SN_SO_SP_EUlS12_E1_NS1_11comp_targetILNS1_3genE8ELNS1_11target_archE1030ELNS1_3gpuE2ELNS1_3repE0EEENS1_36merge_oddeven_config_static_selectorELNS0_4arch9wavefront6targetE0EEEvSO_,"axG",@progbits,_ZN7rocprim17ROCPRIM_400000_NS6detail17trampoline_kernelINS0_14default_configENS1_38merge_sort_block_merge_config_selectorIjN6thrust23THRUST_200600_302600_NS5tupleIffNS6_9null_typeES8_S8_S8_S8_S8_S8_S8_EEEEZZNS1_27merge_sort_block_merge_implIS3_NS6_6detail15normal_iteratorINS6_10device_ptrIjEEEENSD_INSE_IS9_EEEEjNS1_19radix_merge_compareILb0ELb0EjNS0_19identity_decomposerEEEEE10hipError_tT0_T1_T2_jT3_P12ihipStream_tbPNSt15iterator_traitsISN_E10value_typeEPNST_ISO_E10value_typeEPSP_NS1_7vsmem_tEENKUlT_SN_SO_SP_E_clISG_PjSI_PS9_EESM_S12_SN_SO_SP_EUlS12_E1_NS1_11comp_targetILNS1_3genE8ELNS1_11target_archE1030ELNS1_3gpuE2ELNS1_3repE0EEENS1_36merge_oddeven_config_static_selectorELNS0_4arch9wavefront6targetE0EEEvSO_,comdat
	.protected	_ZN7rocprim17ROCPRIM_400000_NS6detail17trampoline_kernelINS0_14default_configENS1_38merge_sort_block_merge_config_selectorIjN6thrust23THRUST_200600_302600_NS5tupleIffNS6_9null_typeES8_S8_S8_S8_S8_S8_S8_EEEEZZNS1_27merge_sort_block_merge_implIS3_NS6_6detail15normal_iteratorINS6_10device_ptrIjEEEENSD_INSE_IS9_EEEEjNS1_19radix_merge_compareILb0ELb0EjNS0_19identity_decomposerEEEEE10hipError_tT0_T1_T2_jT3_P12ihipStream_tbPNSt15iterator_traitsISN_E10value_typeEPNST_ISO_E10value_typeEPSP_NS1_7vsmem_tEENKUlT_SN_SO_SP_E_clISG_PjSI_PS9_EESM_S12_SN_SO_SP_EUlS12_E1_NS1_11comp_targetILNS1_3genE8ELNS1_11target_archE1030ELNS1_3gpuE2ELNS1_3repE0EEENS1_36merge_oddeven_config_static_selectorELNS0_4arch9wavefront6targetE0EEEvSO_ ; -- Begin function _ZN7rocprim17ROCPRIM_400000_NS6detail17trampoline_kernelINS0_14default_configENS1_38merge_sort_block_merge_config_selectorIjN6thrust23THRUST_200600_302600_NS5tupleIffNS6_9null_typeES8_S8_S8_S8_S8_S8_S8_EEEEZZNS1_27merge_sort_block_merge_implIS3_NS6_6detail15normal_iteratorINS6_10device_ptrIjEEEENSD_INSE_IS9_EEEEjNS1_19radix_merge_compareILb0ELb0EjNS0_19identity_decomposerEEEEE10hipError_tT0_T1_T2_jT3_P12ihipStream_tbPNSt15iterator_traitsISN_E10value_typeEPNST_ISO_E10value_typeEPSP_NS1_7vsmem_tEENKUlT_SN_SO_SP_E_clISG_PjSI_PS9_EESM_S12_SN_SO_SP_EUlS12_E1_NS1_11comp_targetILNS1_3genE8ELNS1_11target_archE1030ELNS1_3gpuE2ELNS1_3repE0EEENS1_36merge_oddeven_config_static_selectorELNS0_4arch9wavefront6targetE0EEEvSO_
	.globl	_ZN7rocprim17ROCPRIM_400000_NS6detail17trampoline_kernelINS0_14default_configENS1_38merge_sort_block_merge_config_selectorIjN6thrust23THRUST_200600_302600_NS5tupleIffNS6_9null_typeES8_S8_S8_S8_S8_S8_S8_EEEEZZNS1_27merge_sort_block_merge_implIS3_NS6_6detail15normal_iteratorINS6_10device_ptrIjEEEENSD_INSE_IS9_EEEEjNS1_19radix_merge_compareILb0ELb0EjNS0_19identity_decomposerEEEEE10hipError_tT0_T1_T2_jT3_P12ihipStream_tbPNSt15iterator_traitsISN_E10value_typeEPNST_ISO_E10value_typeEPSP_NS1_7vsmem_tEENKUlT_SN_SO_SP_E_clISG_PjSI_PS9_EESM_S12_SN_SO_SP_EUlS12_E1_NS1_11comp_targetILNS1_3genE8ELNS1_11target_archE1030ELNS1_3gpuE2ELNS1_3repE0EEENS1_36merge_oddeven_config_static_selectorELNS0_4arch9wavefront6targetE0EEEvSO_
	.p2align	8
	.type	_ZN7rocprim17ROCPRIM_400000_NS6detail17trampoline_kernelINS0_14default_configENS1_38merge_sort_block_merge_config_selectorIjN6thrust23THRUST_200600_302600_NS5tupleIffNS6_9null_typeES8_S8_S8_S8_S8_S8_S8_EEEEZZNS1_27merge_sort_block_merge_implIS3_NS6_6detail15normal_iteratorINS6_10device_ptrIjEEEENSD_INSE_IS9_EEEEjNS1_19radix_merge_compareILb0ELb0EjNS0_19identity_decomposerEEEEE10hipError_tT0_T1_T2_jT3_P12ihipStream_tbPNSt15iterator_traitsISN_E10value_typeEPNST_ISO_E10value_typeEPSP_NS1_7vsmem_tEENKUlT_SN_SO_SP_E_clISG_PjSI_PS9_EESM_S12_SN_SO_SP_EUlS12_E1_NS1_11comp_targetILNS1_3genE8ELNS1_11target_archE1030ELNS1_3gpuE2ELNS1_3repE0EEENS1_36merge_oddeven_config_static_selectorELNS0_4arch9wavefront6targetE0EEEvSO_,@function
_ZN7rocprim17ROCPRIM_400000_NS6detail17trampoline_kernelINS0_14default_configENS1_38merge_sort_block_merge_config_selectorIjN6thrust23THRUST_200600_302600_NS5tupleIffNS6_9null_typeES8_S8_S8_S8_S8_S8_S8_EEEEZZNS1_27merge_sort_block_merge_implIS3_NS6_6detail15normal_iteratorINS6_10device_ptrIjEEEENSD_INSE_IS9_EEEEjNS1_19radix_merge_compareILb0ELb0EjNS0_19identity_decomposerEEEEE10hipError_tT0_T1_T2_jT3_P12ihipStream_tbPNSt15iterator_traitsISN_E10value_typeEPNST_ISO_E10value_typeEPSP_NS1_7vsmem_tEENKUlT_SN_SO_SP_E_clISG_PjSI_PS9_EESM_S12_SN_SO_SP_EUlS12_E1_NS1_11comp_targetILNS1_3genE8ELNS1_11target_archE1030ELNS1_3gpuE2ELNS1_3repE0EEENS1_36merge_oddeven_config_static_selectorELNS0_4arch9wavefront6targetE0EEEvSO_: ; @_ZN7rocprim17ROCPRIM_400000_NS6detail17trampoline_kernelINS0_14default_configENS1_38merge_sort_block_merge_config_selectorIjN6thrust23THRUST_200600_302600_NS5tupleIffNS6_9null_typeES8_S8_S8_S8_S8_S8_S8_EEEEZZNS1_27merge_sort_block_merge_implIS3_NS6_6detail15normal_iteratorINS6_10device_ptrIjEEEENSD_INSE_IS9_EEEEjNS1_19radix_merge_compareILb0ELb0EjNS0_19identity_decomposerEEEEE10hipError_tT0_T1_T2_jT3_P12ihipStream_tbPNSt15iterator_traitsISN_E10value_typeEPNST_ISO_E10value_typeEPSP_NS1_7vsmem_tEENKUlT_SN_SO_SP_E_clISG_PjSI_PS9_EESM_S12_SN_SO_SP_EUlS12_E1_NS1_11comp_targetILNS1_3genE8ELNS1_11target_archE1030ELNS1_3gpuE2ELNS1_3repE0EEENS1_36merge_oddeven_config_static_selectorELNS0_4arch9wavefront6targetE0EEEvSO_
; %bb.0:
	s_load_dword s7, s[4:5], 0x20
	s_lshl_b32 s2, s6, 8
	s_waitcnt lgkmcnt(0)
	s_lshr_b32 s0, s7, 8
	s_cmp_eq_u32 s6, s0
	s_cselect_b32 s16, -1, 0
	s_cmp_lg_u32 s6, s0
	s_cselect_b32 s0, -1, 0
	s_sub_i32 s1, s7, s2
	v_cmp_gt_u32_e64 s1, s1, v0
	s_or_b32 s0, s0, s1
	s_and_saveexec_b32 s3, s0
	s_cbranch_execz .LBB72_24
; %bb.1:
	s_load_dwordx8 s[8:15], s[4:5], 0x0
	s_mov_b32 s3, 0
	v_lshlrev_b32_e32 v1, 2, v0
	s_lshl_b64 s[18:19], s[2:3], 2
	v_lshlrev_b32_e32 v2, 3, v0
	s_load_dword s4, s[4:5], 0x24
	v_add_nc_u32_e32 v3, s2, v0
	s_waitcnt lgkmcnt(0)
	s_add_u32 s18, s8, s18
	s_addc_u32 s19, s9, s19
	s_lshl_b64 s[20:21], s[2:3], 3
	s_mov_b32 s2, -1
	s_add_u32 s12, s12, s20
	s_addc_u32 s13, s13, s21
	global_load_dword v5, v1, s[18:19]
	global_load_dwordx2 v[1:2], v2, s[12:13]
	s_lshr_b32 s0, s4, 8
	s_sub_i32 s3, 0, s0
	s_and_b32 s3, s6, s3
	s_and_b32 s0, s3, s0
	s_lshl_b32 s5, s3, 8
	s_sub_i32 s3, 0, s4
	s_cmp_eq_u32 s0, 0
	s_cselect_b32 s0, -1, 0
	s_and_b32 s6, s0, exec_lo
	s_cselect_b32 s3, s4, s3
	s_add_i32 s3, s3, s5
	s_cmp_gt_u32 s7, s3
	s_cbranch_scc1 .LBB72_9
; %bb.2:
	s_and_b32 vcc_lo, exec_lo, s16
	s_cbranch_vccz .LBB72_6
; %bb.3:
	s_mov_b32 s2, exec_lo
	v_cmpx_gt_u32_e64 s7, v3
	s_cbranch_execz .LBB72_5
; %bb.4:
	v_mov_b32_e32 v4, 0
	v_lshlrev_b64 v[6:7], 2, v[3:4]
	v_lshlrev_b64 v[8:9], 3, v[3:4]
	v_add_co_u32 v6, vcc_lo, s10, v6
	v_add_co_ci_u32_e64 v7, null, s11, v7, vcc_lo
	v_add_co_u32 v8, vcc_lo, s14, v8
	v_add_co_ci_u32_e64 v9, null, s15, v9, vcc_lo
	s_waitcnt vmcnt(1)
	global_store_dword v[6:7], v5, off
	s_waitcnt vmcnt(0)
	global_store_dwordx2 v[8:9], v[1:2], off
.LBB72_5:
	s_or_b32 exec_lo, exec_lo, s2
	s_mov_b32 s2, 0
.LBB72_6:
	s_andn2_b32 vcc_lo, exec_lo, s2
	s_cbranch_vccnz .LBB72_8
; %bb.7:
	v_mov_b32_e32 v4, 0
	v_lshlrev_b64 v[6:7], 2, v[3:4]
	v_lshlrev_b64 v[8:9], 3, v[3:4]
	v_add_co_u32 v6, vcc_lo, s10, v6
	v_add_co_ci_u32_e64 v7, null, s11, v7, vcc_lo
	v_add_co_u32 v8, vcc_lo, s14, v8
	v_add_co_ci_u32_e64 v9, null, s15, v9, vcc_lo
	s_waitcnt vmcnt(1)
	global_store_dword v[6:7], v5, off
	s_waitcnt vmcnt(0)
	global_store_dwordx2 v[8:9], v[1:2], off
.LBB72_8:
	s_mov_b32 s2, 0
.LBB72_9:
	s_andn2_b32 vcc_lo, exec_lo, s2
	s_cbranch_vccnz .LBB72_24
; %bb.10:
	s_min_u32 s2, s3, s7
	s_and_b32 vcc_lo, exec_lo, s16
	s_add_i32 s6, s5, s2
	s_min_u32 s5, s5, s2
	v_subrev_nc_u32_e32 v0, s6, v3
	s_add_i32 s4, s2, s4
	s_min_u32 s4, s4, s7
	v_add_nc_u32_e32 v0, s5, v0
	s_mov_b32 s5, -1
	s_cbranch_vccz .LBB72_18
; %bb.11:
	s_and_saveexec_b32 s5, s1
	s_cbranch_execz .LBB72_17
; %bb.12:
	v_mov_b32_e32 v6, s2
	s_cmp_ge_u32 s3, s4
	s_cbranch_scc1 .LBB72_16
; %bb.13:
	v_mov_b32_e32 v7, s4
	v_mov_b32_e32 v6, s2
	;; [unrolled: 1-line block ×3, first 2 shown]
	s_mov_b32 s1, 0
	.p2align	6
.LBB72_14:                              ; =>This Inner Loop Header: Depth=1
	v_add_nc_u32_e32 v3, v6, v7
	v_lshrrev_b32_e32 v3, 1, v3
	v_lshlrev_b64 v[8:9], 2, v[3:4]
	v_add_co_u32 v8, vcc_lo, s8, v8
	v_add_co_ci_u32_e64 v9, null, s9, v9, vcc_lo
	global_load_dword v8, v[8:9], off
	s_waitcnt vmcnt(0)
	v_cmp_gt_u32_e32 vcc_lo, v5, v8
	v_cndmask_b32_e64 v9, 0, 1, vcc_lo
	v_cmp_le_u32_e32 vcc_lo, v8, v5
	v_cndmask_b32_e64 v8, 0, 1, vcc_lo
	v_cndmask_b32_e64 v8, v8, v9, s0
	v_add_nc_u32_e32 v9, 1, v3
	v_and_b32_e32 v8, 1, v8
	v_cmp_eq_u32_e32 vcc_lo, 1, v8
	v_cndmask_b32_e32 v7, v3, v7, vcc_lo
	v_cndmask_b32_e32 v6, v6, v9, vcc_lo
	v_cmp_ge_u32_e32 vcc_lo, v6, v7
	s_or_b32 s1, vcc_lo, s1
	s_andn2_b32 exec_lo, exec_lo, s1
	s_cbranch_execnz .LBB72_14
; %bb.15:
	s_or_b32 exec_lo, exec_lo, s1
.LBB72_16:
	v_add_nc_u32_e32 v3, v6, v0
	v_mov_b32_e32 v4, 0
	v_lshlrev_b64 v[6:7], 2, v[3:4]
	v_lshlrev_b64 v[3:4], 3, v[3:4]
	v_add_co_u32 v6, vcc_lo, s10, v6
	v_add_co_ci_u32_e64 v7, null, s11, v7, vcc_lo
	v_add_co_u32 v3, vcc_lo, s14, v3
	v_add_co_ci_u32_e64 v4, null, s15, v4, vcc_lo
	s_waitcnt vmcnt(1)
	global_store_dword v[6:7], v5, off
	s_waitcnt vmcnt(0)
	global_store_dwordx2 v[3:4], v[1:2], off
.LBB72_17:
	s_or_b32 exec_lo, exec_lo, s5
	s_mov_b32 s5, 0
.LBB72_18:
	s_andn2_b32 vcc_lo, exec_lo, s5
	s_cbranch_vccnz .LBB72_24
; %bb.19:
	v_mov_b32_e32 v6, s2
	s_cmp_ge_u32 s3, s4
	s_cbranch_scc1 .LBB72_23
; %bb.20:
	v_mov_b32_e32 v7, s4
	v_mov_b32_e32 v6, s2
	;; [unrolled: 1-line block ×3, first 2 shown]
	s_mov_b32 s1, 0
	.p2align	6
.LBB72_21:                              ; =>This Inner Loop Header: Depth=1
	v_add_nc_u32_e32 v3, v6, v7
	v_lshrrev_b32_e32 v3, 1, v3
	v_lshlrev_b64 v[8:9], 2, v[3:4]
	v_add_co_u32 v8, vcc_lo, s8, v8
	v_add_co_ci_u32_e64 v9, null, s9, v9, vcc_lo
	global_load_dword v8, v[8:9], off
	s_waitcnt vmcnt(0)
	v_cmp_gt_u32_e32 vcc_lo, v5, v8
	v_cndmask_b32_e64 v9, 0, 1, vcc_lo
	v_cmp_le_u32_e32 vcc_lo, v8, v5
	v_cndmask_b32_e64 v8, 0, 1, vcc_lo
	v_cndmask_b32_e64 v8, v8, v9, s0
	v_add_nc_u32_e32 v9, 1, v3
	v_and_b32_e32 v8, 1, v8
	v_cmp_eq_u32_e32 vcc_lo, 1, v8
	v_cndmask_b32_e32 v7, v3, v7, vcc_lo
	v_cndmask_b32_e32 v6, v6, v9, vcc_lo
	v_cmp_ge_u32_e32 vcc_lo, v6, v7
	s_or_b32 s1, vcc_lo, s1
	s_andn2_b32 exec_lo, exec_lo, s1
	s_cbranch_execnz .LBB72_21
; %bb.22:
	s_or_b32 exec_lo, exec_lo, s1
.LBB72_23:
	v_add_nc_u32_e32 v3, v6, v0
	v_mov_b32_e32 v4, 0
	v_lshlrev_b64 v[6:7], 2, v[3:4]
	v_lshlrev_b64 v[3:4], 3, v[3:4]
	v_add_co_u32 v6, vcc_lo, s10, v6
	v_add_co_ci_u32_e64 v7, null, s11, v7, vcc_lo
	v_add_co_u32 v3, vcc_lo, s14, v3
	v_add_co_ci_u32_e64 v4, null, s15, v4, vcc_lo
	s_waitcnt vmcnt(1)
	global_store_dword v[6:7], v5, off
	s_waitcnt vmcnt(0)
	global_store_dwordx2 v[3:4], v[1:2], off
.LBB72_24:
	s_endpgm
	.section	.rodata,"a",@progbits
	.p2align	6, 0x0
	.amdhsa_kernel _ZN7rocprim17ROCPRIM_400000_NS6detail17trampoline_kernelINS0_14default_configENS1_38merge_sort_block_merge_config_selectorIjN6thrust23THRUST_200600_302600_NS5tupleIffNS6_9null_typeES8_S8_S8_S8_S8_S8_S8_EEEEZZNS1_27merge_sort_block_merge_implIS3_NS6_6detail15normal_iteratorINS6_10device_ptrIjEEEENSD_INSE_IS9_EEEEjNS1_19radix_merge_compareILb0ELb0EjNS0_19identity_decomposerEEEEE10hipError_tT0_T1_T2_jT3_P12ihipStream_tbPNSt15iterator_traitsISN_E10value_typeEPNST_ISO_E10value_typeEPSP_NS1_7vsmem_tEENKUlT_SN_SO_SP_E_clISG_PjSI_PS9_EESM_S12_SN_SO_SP_EUlS12_E1_NS1_11comp_targetILNS1_3genE8ELNS1_11target_archE1030ELNS1_3gpuE2ELNS1_3repE0EEENS1_36merge_oddeven_config_static_selectorELNS0_4arch9wavefront6targetE0EEEvSO_
		.amdhsa_group_segment_fixed_size 0
		.amdhsa_private_segment_fixed_size 0
		.amdhsa_kernarg_size 48
		.amdhsa_user_sgpr_count 6
		.amdhsa_user_sgpr_private_segment_buffer 1
		.amdhsa_user_sgpr_dispatch_ptr 0
		.amdhsa_user_sgpr_queue_ptr 0
		.amdhsa_user_sgpr_kernarg_segment_ptr 1
		.amdhsa_user_sgpr_dispatch_id 0
		.amdhsa_user_sgpr_flat_scratch_init 0
		.amdhsa_user_sgpr_private_segment_size 0
		.amdhsa_wavefront_size32 1
		.amdhsa_uses_dynamic_stack 0
		.amdhsa_system_sgpr_private_segment_wavefront_offset 0
		.amdhsa_system_sgpr_workgroup_id_x 1
		.amdhsa_system_sgpr_workgroup_id_y 0
		.amdhsa_system_sgpr_workgroup_id_z 0
		.amdhsa_system_sgpr_workgroup_info 0
		.amdhsa_system_vgpr_workitem_id 0
		.amdhsa_next_free_vgpr 10
		.amdhsa_next_free_sgpr 22
		.amdhsa_reserve_vcc 1
		.amdhsa_reserve_flat_scratch 0
		.amdhsa_float_round_mode_32 0
		.amdhsa_float_round_mode_16_64 0
		.amdhsa_float_denorm_mode_32 3
		.amdhsa_float_denorm_mode_16_64 3
		.amdhsa_dx10_clamp 1
		.amdhsa_ieee_mode 1
		.amdhsa_fp16_overflow 0
		.amdhsa_workgroup_processor_mode 1
		.amdhsa_memory_ordered 1
		.amdhsa_forward_progress 1
		.amdhsa_shared_vgpr_count 0
		.amdhsa_exception_fp_ieee_invalid_op 0
		.amdhsa_exception_fp_denorm_src 0
		.amdhsa_exception_fp_ieee_div_zero 0
		.amdhsa_exception_fp_ieee_overflow 0
		.amdhsa_exception_fp_ieee_underflow 0
		.amdhsa_exception_fp_ieee_inexact 0
		.amdhsa_exception_int_div_zero 0
	.end_amdhsa_kernel
	.section	.text._ZN7rocprim17ROCPRIM_400000_NS6detail17trampoline_kernelINS0_14default_configENS1_38merge_sort_block_merge_config_selectorIjN6thrust23THRUST_200600_302600_NS5tupleIffNS6_9null_typeES8_S8_S8_S8_S8_S8_S8_EEEEZZNS1_27merge_sort_block_merge_implIS3_NS6_6detail15normal_iteratorINS6_10device_ptrIjEEEENSD_INSE_IS9_EEEEjNS1_19radix_merge_compareILb0ELb0EjNS0_19identity_decomposerEEEEE10hipError_tT0_T1_T2_jT3_P12ihipStream_tbPNSt15iterator_traitsISN_E10value_typeEPNST_ISO_E10value_typeEPSP_NS1_7vsmem_tEENKUlT_SN_SO_SP_E_clISG_PjSI_PS9_EESM_S12_SN_SO_SP_EUlS12_E1_NS1_11comp_targetILNS1_3genE8ELNS1_11target_archE1030ELNS1_3gpuE2ELNS1_3repE0EEENS1_36merge_oddeven_config_static_selectorELNS0_4arch9wavefront6targetE0EEEvSO_,"axG",@progbits,_ZN7rocprim17ROCPRIM_400000_NS6detail17trampoline_kernelINS0_14default_configENS1_38merge_sort_block_merge_config_selectorIjN6thrust23THRUST_200600_302600_NS5tupleIffNS6_9null_typeES8_S8_S8_S8_S8_S8_S8_EEEEZZNS1_27merge_sort_block_merge_implIS3_NS6_6detail15normal_iteratorINS6_10device_ptrIjEEEENSD_INSE_IS9_EEEEjNS1_19radix_merge_compareILb0ELb0EjNS0_19identity_decomposerEEEEE10hipError_tT0_T1_T2_jT3_P12ihipStream_tbPNSt15iterator_traitsISN_E10value_typeEPNST_ISO_E10value_typeEPSP_NS1_7vsmem_tEENKUlT_SN_SO_SP_E_clISG_PjSI_PS9_EESM_S12_SN_SO_SP_EUlS12_E1_NS1_11comp_targetILNS1_3genE8ELNS1_11target_archE1030ELNS1_3gpuE2ELNS1_3repE0EEENS1_36merge_oddeven_config_static_selectorELNS0_4arch9wavefront6targetE0EEEvSO_,comdat
.Lfunc_end72:
	.size	_ZN7rocprim17ROCPRIM_400000_NS6detail17trampoline_kernelINS0_14default_configENS1_38merge_sort_block_merge_config_selectorIjN6thrust23THRUST_200600_302600_NS5tupleIffNS6_9null_typeES8_S8_S8_S8_S8_S8_S8_EEEEZZNS1_27merge_sort_block_merge_implIS3_NS6_6detail15normal_iteratorINS6_10device_ptrIjEEEENSD_INSE_IS9_EEEEjNS1_19radix_merge_compareILb0ELb0EjNS0_19identity_decomposerEEEEE10hipError_tT0_T1_T2_jT3_P12ihipStream_tbPNSt15iterator_traitsISN_E10value_typeEPNST_ISO_E10value_typeEPSP_NS1_7vsmem_tEENKUlT_SN_SO_SP_E_clISG_PjSI_PS9_EESM_S12_SN_SO_SP_EUlS12_E1_NS1_11comp_targetILNS1_3genE8ELNS1_11target_archE1030ELNS1_3gpuE2ELNS1_3repE0EEENS1_36merge_oddeven_config_static_selectorELNS0_4arch9wavefront6targetE0EEEvSO_, .Lfunc_end72-_ZN7rocprim17ROCPRIM_400000_NS6detail17trampoline_kernelINS0_14default_configENS1_38merge_sort_block_merge_config_selectorIjN6thrust23THRUST_200600_302600_NS5tupleIffNS6_9null_typeES8_S8_S8_S8_S8_S8_S8_EEEEZZNS1_27merge_sort_block_merge_implIS3_NS6_6detail15normal_iteratorINS6_10device_ptrIjEEEENSD_INSE_IS9_EEEEjNS1_19radix_merge_compareILb0ELb0EjNS0_19identity_decomposerEEEEE10hipError_tT0_T1_T2_jT3_P12ihipStream_tbPNSt15iterator_traitsISN_E10value_typeEPNST_ISO_E10value_typeEPSP_NS1_7vsmem_tEENKUlT_SN_SO_SP_E_clISG_PjSI_PS9_EESM_S12_SN_SO_SP_EUlS12_E1_NS1_11comp_targetILNS1_3genE8ELNS1_11target_archE1030ELNS1_3gpuE2ELNS1_3repE0EEENS1_36merge_oddeven_config_static_selectorELNS0_4arch9wavefront6targetE0EEEvSO_
                                        ; -- End function
	.set _ZN7rocprim17ROCPRIM_400000_NS6detail17trampoline_kernelINS0_14default_configENS1_38merge_sort_block_merge_config_selectorIjN6thrust23THRUST_200600_302600_NS5tupleIffNS6_9null_typeES8_S8_S8_S8_S8_S8_S8_EEEEZZNS1_27merge_sort_block_merge_implIS3_NS6_6detail15normal_iteratorINS6_10device_ptrIjEEEENSD_INSE_IS9_EEEEjNS1_19radix_merge_compareILb0ELb0EjNS0_19identity_decomposerEEEEE10hipError_tT0_T1_T2_jT3_P12ihipStream_tbPNSt15iterator_traitsISN_E10value_typeEPNST_ISO_E10value_typeEPSP_NS1_7vsmem_tEENKUlT_SN_SO_SP_E_clISG_PjSI_PS9_EESM_S12_SN_SO_SP_EUlS12_E1_NS1_11comp_targetILNS1_3genE8ELNS1_11target_archE1030ELNS1_3gpuE2ELNS1_3repE0EEENS1_36merge_oddeven_config_static_selectorELNS0_4arch9wavefront6targetE0EEEvSO_.num_vgpr, 10
	.set _ZN7rocprim17ROCPRIM_400000_NS6detail17trampoline_kernelINS0_14default_configENS1_38merge_sort_block_merge_config_selectorIjN6thrust23THRUST_200600_302600_NS5tupleIffNS6_9null_typeES8_S8_S8_S8_S8_S8_S8_EEEEZZNS1_27merge_sort_block_merge_implIS3_NS6_6detail15normal_iteratorINS6_10device_ptrIjEEEENSD_INSE_IS9_EEEEjNS1_19radix_merge_compareILb0ELb0EjNS0_19identity_decomposerEEEEE10hipError_tT0_T1_T2_jT3_P12ihipStream_tbPNSt15iterator_traitsISN_E10value_typeEPNST_ISO_E10value_typeEPSP_NS1_7vsmem_tEENKUlT_SN_SO_SP_E_clISG_PjSI_PS9_EESM_S12_SN_SO_SP_EUlS12_E1_NS1_11comp_targetILNS1_3genE8ELNS1_11target_archE1030ELNS1_3gpuE2ELNS1_3repE0EEENS1_36merge_oddeven_config_static_selectorELNS0_4arch9wavefront6targetE0EEEvSO_.num_agpr, 0
	.set _ZN7rocprim17ROCPRIM_400000_NS6detail17trampoline_kernelINS0_14default_configENS1_38merge_sort_block_merge_config_selectorIjN6thrust23THRUST_200600_302600_NS5tupleIffNS6_9null_typeES8_S8_S8_S8_S8_S8_S8_EEEEZZNS1_27merge_sort_block_merge_implIS3_NS6_6detail15normal_iteratorINS6_10device_ptrIjEEEENSD_INSE_IS9_EEEEjNS1_19radix_merge_compareILb0ELb0EjNS0_19identity_decomposerEEEEE10hipError_tT0_T1_T2_jT3_P12ihipStream_tbPNSt15iterator_traitsISN_E10value_typeEPNST_ISO_E10value_typeEPSP_NS1_7vsmem_tEENKUlT_SN_SO_SP_E_clISG_PjSI_PS9_EESM_S12_SN_SO_SP_EUlS12_E1_NS1_11comp_targetILNS1_3genE8ELNS1_11target_archE1030ELNS1_3gpuE2ELNS1_3repE0EEENS1_36merge_oddeven_config_static_selectorELNS0_4arch9wavefront6targetE0EEEvSO_.numbered_sgpr, 22
	.set _ZN7rocprim17ROCPRIM_400000_NS6detail17trampoline_kernelINS0_14default_configENS1_38merge_sort_block_merge_config_selectorIjN6thrust23THRUST_200600_302600_NS5tupleIffNS6_9null_typeES8_S8_S8_S8_S8_S8_S8_EEEEZZNS1_27merge_sort_block_merge_implIS3_NS6_6detail15normal_iteratorINS6_10device_ptrIjEEEENSD_INSE_IS9_EEEEjNS1_19radix_merge_compareILb0ELb0EjNS0_19identity_decomposerEEEEE10hipError_tT0_T1_T2_jT3_P12ihipStream_tbPNSt15iterator_traitsISN_E10value_typeEPNST_ISO_E10value_typeEPSP_NS1_7vsmem_tEENKUlT_SN_SO_SP_E_clISG_PjSI_PS9_EESM_S12_SN_SO_SP_EUlS12_E1_NS1_11comp_targetILNS1_3genE8ELNS1_11target_archE1030ELNS1_3gpuE2ELNS1_3repE0EEENS1_36merge_oddeven_config_static_selectorELNS0_4arch9wavefront6targetE0EEEvSO_.num_named_barrier, 0
	.set _ZN7rocprim17ROCPRIM_400000_NS6detail17trampoline_kernelINS0_14default_configENS1_38merge_sort_block_merge_config_selectorIjN6thrust23THRUST_200600_302600_NS5tupleIffNS6_9null_typeES8_S8_S8_S8_S8_S8_S8_EEEEZZNS1_27merge_sort_block_merge_implIS3_NS6_6detail15normal_iteratorINS6_10device_ptrIjEEEENSD_INSE_IS9_EEEEjNS1_19radix_merge_compareILb0ELb0EjNS0_19identity_decomposerEEEEE10hipError_tT0_T1_T2_jT3_P12ihipStream_tbPNSt15iterator_traitsISN_E10value_typeEPNST_ISO_E10value_typeEPSP_NS1_7vsmem_tEENKUlT_SN_SO_SP_E_clISG_PjSI_PS9_EESM_S12_SN_SO_SP_EUlS12_E1_NS1_11comp_targetILNS1_3genE8ELNS1_11target_archE1030ELNS1_3gpuE2ELNS1_3repE0EEENS1_36merge_oddeven_config_static_selectorELNS0_4arch9wavefront6targetE0EEEvSO_.private_seg_size, 0
	.set _ZN7rocprim17ROCPRIM_400000_NS6detail17trampoline_kernelINS0_14default_configENS1_38merge_sort_block_merge_config_selectorIjN6thrust23THRUST_200600_302600_NS5tupleIffNS6_9null_typeES8_S8_S8_S8_S8_S8_S8_EEEEZZNS1_27merge_sort_block_merge_implIS3_NS6_6detail15normal_iteratorINS6_10device_ptrIjEEEENSD_INSE_IS9_EEEEjNS1_19radix_merge_compareILb0ELb0EjNS0_19identity_decomposerEEEEE10hipError_tT0_T1_T2_jT3_P12ihipStream_tbPNSt15iterator_traitsISN_E10value_typeEPNST_ISO_E10value_typeEPSP_NS1_7vsmem_tEENKUlT_SN_SO_SP_E_clISG_PjSI_PS9_EESM_S12_SN_SO_SP_EUlS12_E1_NS1_11comp_targetILNS1_3genE8ELNS1_11target_archE1030ELNS1_3gpuE2ELNS1_3repE0EEENS1_36merge_oddeven_config_static_selectorELNS0_4arch9wavefront6targetE0EEEvSO_.uses_vcc, 1
	.set _ZN7rocprim17ROCPRIM_400000_NS6detail17trampoline_kernelINS0_14default_configENS1_38merge_sort_block_merge_config_selectorIjN6thrust23THRUST_200600_302600_NS5tupleIffNS6_9null_typeES8_S8_S8_S8_S8_S8_S8_EEEEZZNS1_27merge_sort_block_merge_implIS3_NS6_6detail15normal_iteratorINS6_10device_ptrIjEEEENSD_INSE_IS9_EEEEjNS1_19radix_merge_compareILb0ELb0EjNS0_19identity_decomposerEEEEE10hipError_tT0_T1_T2_jT3_P12ihipStream_tbPNSt15iterator_traitsISN_E10value_typeEPNST_ISO_E10value_typeEPSP_NS1_7vsmem_tEENKUlT_SN_SO_SP_E_clISG_PjSI_PS9_EESM_S12_SN_SO_SP_EUlS12_E1_NS1_11comp_targetILNS1_3genE8ELNS1_11target_archE1030ELNS1_3gpuE2ELNS1_3repE0EEENS1_36merge_oddeven_config_static_selectorELNS0_4arch9wavefront6targetE0EEEvSO_.uses_flat_scratch, 0
	.set _ZN7rocprim17ROCPRIM_400000_NS6detail17trampoline_kernelINS0_14default_configENS1_38merge_sort_block_merge_config_selectorIjN6thrust23THRUST_200600_302600_NS5tupleIffNS6_9null_typeES8_S8_S8_S8_S8_S8_S8_EEEEZZNS1_27merge_sort_block_merge_implIS3_NS6_6detail15normal_iteratorINS6_10device_ptrIjEEEENSD_INSE_IS9_EEEEjNS1_19radix_merge_compareILb0ELb0EjNS0_19identity_decomposerEEEEE10hipError_tT0_T1_T2_jT3_P12ihipStream_tbPNSt15iterator_traitsISN_E10value_typeEPNST_ISO_E10value_typeEPSP_NS1_7vsmem_tEENKUlT_SN_SO_SP_E_clISG_PjSI_PS9_EESM_S12_SN_SO_SP_EUlS12_E1_NS1_11comp_targetILNS1_3genE8ELNS1_11target_archE1030ELNS1_3gpuE2ELNS1_3repE0EEENS1_36merge_oddeven_config_static_selectorELNS0_4arch9wavefront6targetE0EEEvSO_.has_dyn_sized_stack, 0
	.set _ZN7rocprim17ROCPRIM_400000_NS6detail17trampoline_kernelINS0_14default_configENS1_38merge_sort_block_merge_config_selectorIjN6thrust23THRUST_200600_302600_NS5tupleIffNS6_9null_typeES8_S8_S8_S8_S8_S8_S8_EEEEZZNS1_27merge_sort_block_merge_implIS3_NS6_6detail15normal_iteratorINS6_10device_ptrIjEEEENSD_INSE_IS9_EEEEjNS1_19radix_merge_compareILb0ELb0EjNS0_19identity_decomposerEEEEE10hipError_tT0_T1_T2_jT3_P12ihipStream_tbPNSt15iterator_traitsISN_E10value_typeEPNST_ISO_E10value_typeEPSP_NS1_7vsmem_tEENKUlT_SN_SO_SP_E_clISG_PjSI_PS9_EESM_S12_SN_SO_SP_EUlS12_E1_NS1_11comp_targetILNS1_3genE8ELNS1_11target_archE1030ELNS1_3gpuE2ELNS1_3repE0EEENS1_36merge_oddeven_config_static_selectorELNS0_4arch9wavefront6targetE0EEEvSO_.has_recursion, 0
	.set _ZN7rocprim17ROCPRIM_400000_NS6detail17trampoline_kernelINS0_14default_configENS1_38merge_sort_block_merge_config_selectorIjN6thrust23THRUST_200600_302600_NS5tupleIffNS6_9null_typeES8_S8_S8_S8_S8_S8_S8_EEEEZZNS1_27merge_sort_block_merge_implIS3_NS6_6detail15normal_iteratorINS6_10device_ptrIjEEEENSD_INSE_IS9_EEEEjNS1_19radix_merge_compareILb0ELb0EjNS0_19identity_decomposerEEEEE10hipError_tT0_T1_T2_jT3_P12ihipStream_tbPNSt15iterator_traitsISN_E10value_typeEPNST_ISO_E10value_typeEPSP_NS1_7vsmem_tEENKUlT_SN_SO_SP_E_clISG_PjSI_PS9_EESM_S12_SN_SO_SP_EUlS12_E1_NS1_11comp_targetILNS1_3genE8ELNS1_11target_archE1030ELNS1_3gpuE2ELNS1_3repE0EEENS1_36merge_oddeven_config_static_selectorELNS0_4arch9wavefront6targetE0EEEvSO_.has_indirect_call, 0
	.section	.AMDGPU.csdata,"",@progbits
; Kernel info:
; codeLenInByte = 968
; TotalNumSgprs: 24
; NumVgprs: 10
; ScratchSize: 0
; MemoryBound: 0
; FloatMode: 240
; IeeeMode: 1
; LDSByteSize: 0 bytes/workgroup (compile time only)
; SGPRBlocks: 0
; VGPRBlocks: 1
; NumSGPRsForWavesPerEU: 24
; NumVGPRsForWavesPerEU: 10
; Occupancy: 16
; WaveLimiterHint : 0
; COMPUTE_PGM_RSRC2:SCRATCH_EN: 0
; COMPUTE_PGM_RSRC2:USER_SGPR: 6
; COMPUTE_PGM_RSRC2:TRAP_HANDLER: 0
; COMPUTE_PGM_RSRC2:TGID_X_EN: 1
; COMPUTE_PGM_RSRC2:TGID_Y_EN: 0
; COMPUTE_PGM_RSRC2:TGID_Z_EN: 0
; COMPUTE_PGM_RSRC2:TIDIG_COMP_CNT: 0
	.section	.text._ZN7rocprim17ROCPRIM_400000_NS6detail17trampoline_kernelINS0_14default_configENS1_25transform_config_selectorIjLb0EEEZNS1_14transform_implILb0ES3_S5_PjN6thrust23THRUST_200600_302600_NS6detail15normal_iteratorINS9_10device_ptrIjEEEENS0_8identityIjEEEE10hipError_tT2_T3_mT4_P12ihipStream_tbEUlT_E_NS1_11comp_targetILNS1_3genE0ELNS1_11target_archE4294967295ELNS1_3gpuE0ELNS1_3repE0EEENS1_30default_config_static_selectorELNS0_4arch9wavefront6targetE0EEEvT1_,"axG",@progbits,_ZN7rocprim17ROCPRIM_400000_NS6detail17trampoline_kernelINS0_14default_configENS1_25transform_config_selectorIjLb0EEEZNS1_14transform_implILb0ES3_S5_PjN6thrust23THRUST_200600_302600_NS6detail15normal_iteratorINS9_10device_ptrIjEEEENS0_8identityIjEEEE10hipError_tT2_T3_mT4_P12ihipStream_tbEUlT_E_NS1_11comp_targetILNS1_3genE0ELNS1_11target_archE4294967295ELNS1_3gpuE0ELNS1_3repE0EEENS1_30default_config_static_selectorELNS0_4arch9wavefront6targetE0EEEvT1_,comdat
	.protected	_ZN7rocprim17ROCPRIM_400000_NS6detail17trampoline_kernelINS0_14default_configENS1_25transform_config_selectorIjLb0EEEZNS1_14transform_implILb0ES3_S5_PjN6thrust23THRUST_200600_302600_NS6detail15normal_iteratorINS9_10device_ptrIjEEEENS0_8identityIjEEEE10hipError_tT2_T3_mT4_P12ihipStream_tbEUlT_E_NS1_11comp_targetILNS1_3genE0ELNS1_11target_archE4294967295ELNS1_3gpuE0ELNS1_3repE0EEENS1_30default_config_static_selectorELNS0_4arch9wavefront6targetE0EEEvT1_ ; -- Begin function _ZN7rocprim17ROCPRIM_400000_NS6detail17trampoline_kernelINS0_14default_configENS1_25transform_config_selectorIjLb0EEEZNS1_14transform_implILb0ES3_S5_PjN6thrust23THRUST_200600_302600_NS6detail15normal_iteratorINS9_10device_ptrIjEEEENS0_8identityIjEEEE10hipError_tT2_T3_mT4_P12ihipStream_tbEUlT_E_NS1_11comp_targetILNS1_3genE0ELNS1_11target_archE4294967295ELNS1_3gpuE0ELNS1_3repE0EEENS1_30default_config_static_selectorELNS0_4arch9wavefront6targetE0EEEvT1_
	.globl	_ZN7rocprim17ROCPRIM_400000_NS6detail17trampoline_kernelINS0_14default_configENS1_25transform_config_selectorIjLb0EEEZNS1_14transform_implILb0ES3_S5_PjN6thrust23THRUST_200600_302600_NS6detail15normal_iteratorINS9_10device_ptrIjEEEENS0_8identityIjEEEE10hipError_tT2_T3_mT4_P12ihipStream_tbEUlT_E_NS1_11comp_targetILNS1_3genE0ELNS1_11target_archE4294967295ELNS1_3gpuE0ELNS1_3repE0EEENS1_30default_config_static_selectorELNS0_4arch9wavefront6targetE0EEEvT1_
	.p2align	8
	.type	_ZN7rocprim17ROCPRIM_400000_NS6detail17trampoline_kernelINS0_14default_configENS1_25transform_config_selectorIjLb0EEEZNS1_14transform_implILb0ES3_S5_PjN6thrust23THRUST_200600_302600_NS6detail15normal_iteratorINS9_10device_ptrIjEEEENS0_8identityIjEEEE10hipError_tT2_T3_mT4_P12ihipStream_tbEUlT_E_NS1_11comp_targetILNS1_3genE0ELNS1_11target_archE4294967295ELNS1_3gpuE0ELNS1_3repE0EEENS1_30default_config_static_selectorELNS0_4arch9wavefront6targetE0EEEvT1_,@function
_ZN7rocprim17ROCPRIM_400000_NS6detail17trampoline_kernelINS0_14default_configENS1_25transform_config_selectorIjLb0EEEZNS1_14transform_implILb0ES3_S5_PjN6thrust23THRUST_200600_302600_NS6detail15normal_iteratorINS9_10device_ptrIjEEEENS0_8identityIjEEEE10hipError_tT2_T3_mT4_P12ihipStream_tbEUlT_E_NS1_11comp_targetILNS1_3genE0ELNS1_11target_archE4294967295ELNS1_3gpuE0ELNS1_3repE0EEENS1_30default_config_static_selectorELNS0_4arch9wavefront6targetE0EEEvT1_: ; @_ZN7rocprim17ROCPRIM_400000_NS6detail17trampoline_kernelINS0_14default_configENS1_25transform_config_selectorIjLb0EEEZNS1_14transform_implILb0ES3_S5_PjN6thrust23THRUST_200600_302600_NS6detail15normal_iteratorINS9_10device_ptrIjEEEENS0_8identityIjEEEE10hipError_tT2_T3_mT4_P12ihipStream_tbEUlT_E_NS1_11comp_targetILNS1_3genE0ELNS1_11target_archE4294967295ELNS1_3gpuE0ELNS1_3repE0EEENS1_30default_config_static_selectorELNS0_4arch9wavefront6targetE0EEEvT1_
; %bb.0:
	.section	.rodata,"a",@progbits
	.p2align	6, 0x0
	.amdhsa_kernel _ZN7rocprim17ROCPRIM_400000_NS6detail17trampoline_kernelINS0_14default_configENS1_25transform_config_selectorIjLb0EEEZNS1_14transform_implILb0ES3_S5_PjN6thrust23THRUST_200600_302600_NS6detail15normal_iteratorINS9_10device_ptrIjEEEENS0_8identityIjEEEE10hipError_tT2_T3_mT4_P12ihipStream_tbEUlT_E_NS1_11comp_targetILNS1_3genE0ELNS1_11target_archE4294967295ELNS1_3gpuE0ELNS1_3repE0EEENS1_30default_config_static_selectorELNS0_4arch9wavefront6targetE0EEEvT1_
		.amdhsa_group_segment_fixed_size 0
		.amdhsa_private_segment_fixed_size 0
		.amdhsa_kernarg_size 40
		.amdhsa_user_sgpr_count 6
		.amdhsa_user_sgpr_private_segment_buffer 1
		.amdhsa_user_sgpr_dispatch_ptr 0
		.amdhsa_user_sgpr_queue_ptr 0
		.amdhsa_user_sgpr_kernarg_segment_ptr 1
		.amdhsa_user_sgpr_dispatch_id 0
		.amdhsa_user_sgpr_flat_scratch_init 0
		.amdhsa_user_sgpr_private_segment_size 0
		.amdhsa_wavefront_size32 1
		.amdhsa_uses_dynamic_stack 0
		.amdhsa_system_sgpr_private_segment_wavefront_offset 0
		.amdhsa_system_sgpr_workgroup_id_x 1
		.amdhsa_system_sgpr_workgroup_id_y 0
		.amdhsa_system_sgpr_workgroup_id_z 0
		.amdhsa_system_sgpr_workgroup_info 0
		.amdhsa_system_vgpr_workitem_id 0
		.amdhsa_next_free_vgpr 1
		.amdhsa_next_free_sgpr 1
		.amdhsa_reserve_vcc 0
		.amdhsa_reserve_flat_scratch 0
		.amdhsa_float_round_mode_32 0
		.amdhsa_float_round_mode_16_64 0
		.amdhsa_float_denorm_mode_32 3
		.amdhsa_float_denorm_mode_16_64 3
		.amdhsa_dx10_clamp 1
		.amdhsa_ieee_mode 1
		.amdhsa_fp16_overflow 0
		.amdhsa_workgroup_processor_mode 1
		.amdhsa_memory_ordered 1
		.amdhsa_forward_progress 1
		.amdhsa_shared_vgpr_count 0
		.amdhsa_exception_fp_ieee_invalid_op 0
		.amdhsa_exception_fp_denorm_src 0
		.amdhsa_exception_fp_ieee_div_zero 0
		.amdhsa_exception_fp_ieee_overflow 0
		.amdhsa_exception_fp_ieee_underflow 0
		.amdhsa_exception_fp_ieee_inexact 0
		.amdhsa_exception_int_div_zero 0
	.end_amdhsa_kernel
	.section	.text._ZN7rocprim17ROCPRIM_400000_NS6detail17trampoline_kernelINS0_14default_configENS1_25transform_config_selectorIjLb0EEEZNS1_14transform_implILb0ES3_S5_PjN6thrust23THRUST_200600_302600_NS6detail15normal_iteratorINS9_10device_ptrIjEEEENS0_8identityIjEEEE10hipError_tT2_T3_mT4_P12ihipStream_tbEUlT_E_NS1_11comp_targetILNS1_3genE0ELNS1_11target_archE4294967295ELNS1_3gpuE0ELNS1_3repE0EEENS1_30default_config_static_selectorELNS0_4arch9wavefront6targetE0EEEvT1_,"axG",@progbits,_ZN7rocprim17ROCPRIM_400000_NS6detail17trampoline_kernelINS0_14default_configENS1_25transform_config_selectorIjLb0EEEZNS1_14transform_implILb0ES3_S5_PjN6thrust23THRUST_200600_302600_NS6detail15normal_iteratorINS9_10device_ptrIjEEEENS0_8identityIjEEEE10hipError_tT2_T3_mT4_P12ihipStream_tbEUlT_E_NS1_11comp_targetILNS1_3genE0ELNS1_11target_archE4294967295ELNS1_3gpuE0ELNS1_3repE0EEENS1_30default_config_static_selectorELNS0_4arch9wavefront6targetE0EEEvT1_,comdat
.Lfunc_end73:
	.size	_ZN7rocprim17ROCPRIM_400000_NS6detail17trampoline_kernelINS0_14default_configENS1_25transform_config_selectorIjLb0EEEZNS1_14transform_implILb0ES3_S5_PjN6thrust23THRUST_200600_302600_NS6detail15normal_iteratorINS9_10device_ptrIjEEEENS0_8identityIjEEEE10hipError_tT2_T3_mT4_P12ihipStream_tbEUlT_E_NS1_11comp_targetILNS1_3genE0ELNS1_11target_archE4294967295ELNS1_3gpuE0ELNS1_3repE0EEENS1_30default_config_static_selectorELNS0_4arch9wavefront6targetE0EEEvT1_, .Lfunc_end73-_ZN7rocprim17ROCPRIM_400000_NS6detail17trampoline_kernelINS0_14default_configENS1_25transform_config_selectorIjLb0EEEZNS1_14transform_implILb0ES3_S5_PjN6thrust23THRUST_200600_302600_NS6detail15normal_iteratorINS9_10device_ptrIjEEEENS0_8identityIjEEEE10hipError_tT2_T3_mT4_P12ihipStream_tbEUlT_E_NS1_11comp_targetILNS1_3genE0ELNS1_11target_archE4294967295ELNS1_3gpuE0ELNS1_3repE0EEENS1_30default_config_static_selectorELNS0_4arch9wavefront6targetE0EEEvT1_
                                        ; -- End function
	.set _ZN7rocprim17ROCPRIM_400000_NS6detail17trampoline_kernelINS0_14default_configENS1_25transform_config_selectorIjLb0EEEZNS1_14transform_implILb0ES3_S5_PjN6thrust23THRUST_200600_302600_NS6detail15normal_iteratorINS9_10device_ptrIjEEEENS0_8identityIjEEEE10hipError_tT2_T3_mT4_P12ihipStream_tbEUlT_E_NS1_11comp_targetILNS1_3genE0ELNS1_11target_archE4294967295ELNS1_3gpuE0ELNS1_3repE0EEENS1_30default_config_static_selectorELNS0_4arch9wavefront6targetE0EEEvT1_.num_vgpr, 0
	.set _ZN7rocprim17ROCPRIM_400000_NS6detail17trampoline_kernelINS0_14default_configENS1_25transform_config_selectorIjLb0EEEZNS1_14transform_implILb0ES3_S5_PjN6thrust23THRUST_200600_302600_NS6detail15normal_iteratorINS9_10device_ptrIjEEEENS0_8identityIjEEEE10hipError_tT2_T3_mT4_P12ihipStream_tbEUlT_E_NS1_11comp_targetILNS1_3genE0ELNS1_11target_archE4294967295ELNS1_3gpuE0ELNS1_3repE0EEENS1_30default_config_static_selectorELNS0_4arch9wavefront6targetE0EEEvT1_.num_agpr, 0
	.set _ZN7rocprim17ROCPRIM_400000_NS6detail17trampoline_kernelINS0_14default_configENS1_25transform_config_selectorIjLb0EEEZNS1_14transform_implILb0ES3_S5_PjN6thrust23THRUST_200600_302600_NS6detail15normal_iteratorINS9_10device_ptrIjEEEENS0_8identityIjEEEE10hipError_tT2_T3_mT4_P12ihipStream_tbEUlT_E_NS1_11comp_targetILNS1_3genE0ELNS1_11target_archE4294967295ELNS1_3gpuE0ELNS1_3repE0EEENS1_30default_config_static_selectorELNS0_4arch9wavefront6targetE0EEEvT1_.numbered_sgpr, 0
	.set _ZN7rocprim17ROCPRIM_400000_NS6detail17trampoline_kernelINS0_14default_configENS1_25transform_config_selectorIjLb0EEEZNS1_14transform_implILb0ES3_S5_PjN6thrust23THRUST_200600_302600_NS6detail15normal_iteratorINS9_10device_ptrIjEEEENS0_8identityIjEEEE10hipError_tT2_T3_mT4_P12ihipStream_tbEUlT_E_NS1_11comp_targetILNS1_3genE0ELNS1_11target_archE4294967295ELNS1_3gpuE0ELNS1_3repE0EEENS1_30default_config_static_selectorELNS0_4arch9wavefront6targetE0EEEvT1_.num_named_barrier, 0
	.set _ZN7rocprim17ROCPRIM_400000_NS6detail17trampoline_kernelINS0_14default_configENS1_25transform_config_selectorIjLb0EEEZNS1_14transform_implILb0ES3_S5_PjN6thrust23THRUST_200600_302600_NS6detail15normal_iteratorINS9_10device_ptrIjEEEENS0_8identityIjEEEE10hipError_tT2_T3_mT4_P12ihipStream_tbEUlT_E_NS1_11comp_targetILNS1_3genE0ELNS1_11target_archE4294967295ELNS1_3gpuE0ELNS1_3repE0EEENS1_30default_config_static_selectorELNS0_4arch9wavefront6targetE0EEEvT1_.private_seg_size, 0
	.set _ZN7rocprim17ROCPRIM_400000_NS6detail17trampoline_kernelINS0_14default_configENS1_25transform_config_selectorIjLb0EEEZNS1_14transform_implILb0ES3_S5_PjN6thrust23THRUST_200600_302600_NS6detail15normal_iteratorINS9_10device_ptrIjEEEENS0_8identityIjEEEE10hipError_tT2_T3_mT4_P12ihipStream_tbEUlT_E_NS1_11comp_targetILNS1_3genE0ELNS1_11target_archE4294967295ELNS1_3gpuE0ELNS1_3repE0EEENS1_30default_config_static_selectorELNS0_4arch9wavefront6targetE0EEEvT1_.uses_vcc, 0
	.set _ZN7rocprim17ROCPRIM_400000_NS6detail17trampoline_kernelINS0_14default_configENS1_25transform_config_selectorIjLb0EEEZNS1_14transform_implILb0ES3_S5_PjN6thrust23THRUST_200600_302600_NS6detail15normal_iteratorINS9_10device_ptrIjEEEENS0_8identityIjEEEE10hipError_tT2_T3_mT4_P12ihipStream_tbEUlT_E_NS1_11comp_targetILNS1_3genE0ELNS1_11target_archE4294967295ELNS1_3gpuE0ELNS1_3repE0EEENS1_30default_config_static_selectorELNS0_4arch9wavefront6targetE0EEEvT1_.uses_flat_scratch, 0
	.set _ZN7rocprim17ROCPRIM_400000_NS6detail17trampoline_kernelINS0_14default_configENS1_25transform_config_selectorIjLb0EEEZNS1_14transform_implILb0ES3_S5_PjN6thrust23THRUST_200600_302600_NS6detail15normal_iteratorINS9_10device_ptrIjEEEENS0_8identityIjEEEE10hipError_tT2_T3_mT4_P12ihipStream_tbEUlT_E_NS1_11comp_targetILNS1_3genE0ELNS1_11target_archE4294967295ELNS1_3gpuE0ELNS1_3repE0EEENS1_30default_config_static_selectorELNS0_4arch9wavefront6targetE0EEEvT1_.has_dyn_sized_stack, 0
	.set _ZN7rocprim17ROCPRIM_400000_NS6detail17trampoline_kernelINS0_14default_configENS1_25transform_config_selectorIjLb0EEEZNS1_14transform_implILb0ES3_S5_PjN6thrust23THRUST_200600_302600_NS6detail15normal_iteratorINS9_10device_ptrIjEEEENS0_8identityIjEEEE10hipError_tT2_T3_mT4_P12ihipStream_tbEUlT_E_NS1_11comp_targetILNS1_3genE0ELNS1_11target_archE4294967295ELNS1_3gpuE0ELNS1_3repE0EEENS1_30default_config_static_selectorELNS0_4arch9wavefront6targetE0EEEvT1_.has_recursion, 0
	.set _ZN7rocprim17ROCPRIM_400000_NS6detail17trampoline_kernelINS0_14default_configENS1_25transform_config_selectorIjLb0EEEZNS1_14transform_implILb0ES3_S5_PjN6thrust23THRUST_200600_302600_NS6detail15normal_iteratorINS9_10device_ptrIjEEEENS0_8identityIjEEEE10hipError_tT2_T3_mT4_P12ihipStream_tbEUlT_E_NS1_11comp_targetILNS1_3genE0ELNS1_11target_archE4294967295ELNS1_3gpuE0ELNS1_3repE0EEENS1_30default_config_static_selectorELNS0_4arch9wavefront6targetE0EEEvT1_.has_indirect_call, 0
	.section	.AMDGPU.csdata,"",@progbits
; Kernel info:
; codeLenInByte = 0
; TotalNumSgprs: 0
; NumVgprs: 0
; ScratchSize: 0
; MemoryBound: 0
; FloatMode: 240
; IeeeMode: 1
; LDSByteSize: 0 bytes/workgroup (compile time only)
; SGPRBlocks: 0
; VGPRBlocks: 0
; NumSGPRsForWavesPerEU: 1
; NumVGPRsForWavesPerEU: 1
; Occupancy: 16
; WaveLimiterHint : 0
; COMPUTE_PGM_RSRC2:SCRATCH_EN: 0
; COMPUTE_PGM_RSRC2:USER_SGPR: 6
; COMPUTE_PGM_RSRC2:TRAP_HANDLER: 0
; COMPUTE_PGM_RSRC2:TGID_X_EN: 1
; COMPUTE_PGM_RSRC2:TGID_Y_EN: 0
; COMPUTE_PGM_RSRC2:TGID_Z_EN: 0
; COMPUTE_PGM_RSRC2:TIDIG_COMP_CNT: 0
	.section	.text._ZN7rocprim17ROCPRIM_400000_NS6detail17trampoline_kernelINS0_14default_configENS1_25transform_config_selectorIjLb0EEEZNS1_14transform_implILb0ES3_S5_PjN6thrust23THRUST_200600_302600_NS6detail15normal_iteratorINS9_10device_ptrIjEEEENS0_8identityIjEEEE10hipError_tT2_T3_mT4_P12ihipStream_tbEUlT_E_NS1_11comp_targetILNS1_3genE5ELNS1_11target_archE942ELNS1_3gpuE9ELNS1_3repE0EEENS1_30default_config_static_selectorELNS0_4arch9wavefront6targetE0EEEvT1_,"axG",@progbits,_ZN7rocprim17ROCPRIM_400000_NS6detail17trampoline_kernelINS0_14default_configENS1_25transform_config_selectorIjLb0EEEZNS1_14transform_implILb0ES3_S5_PjN6thrust23THRUST_200600_302600_NS6detail15normal_iteratorINS9_10device_ptrIjEEEENS0_8identityIjEEEE10hipError_tT2_T3_mT4_P12ihipStream_tbEUlT_E_NS1_11comp_targetILNS1_3genE5ELNS1_11target_archE942ELNS1_3gpuE9ELNS1_3repE0EEENS1_30default_config_static_selectorELNS0_4arch9wavefront6targetE0EEEvT1_,comdat
	.protected	_ZN7rocprim17ROCPRIM_400000_NS6detail17trampoline_kernelINS0_14default_configENS1_25transform_config_selectorIjLb0EEEZNS1_14transform_implILb0ES3_S5_PjN6thrust23THRUST_200600_302600_NS6detail15normal_iteratorINS9_10device_ptrIjEEEENS0_8identityIjEEEE10hipError_tT2_T3_mT4_P12ihipStream_tbEUlT_E_NS1_11comp_targetILNS1_3genE5ELNS1_11target_archE942ELNS1_3gpuE9ELNS1_3repE0EEENS1_30default_config_static_selectorELNS0_4arch9wavefront6targetE0EEEvT1_ ; -- Begin function _ZN7rocprim17ROCPRIM_400000_NS6detail17trampoline_kernelINS0_14default_configENS1_25transform_config_selectorIjLb0EEEZNS1_14transform_implILb0ES3_S5_PjN6thrust23THRUST_200600_302600_NS6detail15normal_iteratorINS9_10device_ptrIjEEEENS0_8identityIjEEEE10hipError_tT2_T3_mT4_P12ihipStream_tbEUlT_E_NS1_11comp_targetILNS1_3genE5ELNS1_11target_archE942ELNS1_3gpuE9ELNS1_3repE0EEENS1_30default_config_static_selectorELNS0_4arch9wavefront6targetE0EEEvT1_
	.globl	_ZN7rocprim17ROCPRIM_400000_NS6detail17trampoline_kernelINS0_14default_configENS1_25transform_config_selectorIjLb0EEEZNS1_14transform_implILb0ES3_S5_PjN6thrust23THRUST_200600_302600_NS6detail15normal_iteratorINS9_10device_ptrIjEEEENS0_8identityIjEEEE10hipError_tT2_T3_mT4_P12ihipStream_tbEUlT_E_NS1_11comp_targetILNS1_3genE5ELNS1_11target_archE942ELNS1_3gpuE9ELNS1_3repE0EEENS1_30default_config_static_selectorELNS0_4arch9wavefront6targetE0EEEvT1_
	.p2align	8
	.type	_ZN7rocprim17ROCPRIM_400000_NS6detail17trampoline_kernelINS0_14default_configENS1_25transform_config_selectorIjLb0EEEZNS1_14transform_implILb0ES3_S5_PjN6thrust23THRUST_200600_302600_NS6detail15normal_iteratorINS9_10device_ptrIjEEEENS0_8identityIjEEEE10hipError_tT2_T3_mT4_P12ihipStream_tbEUlT_E_NS1_11comp_targetILNS1_3genE5ELNS1_11target_archE942ELNS1_3gpuE9ELNS1_3repE0EEENS1_30default_config_static_selectorELNS0_4arch9wavefront6targetE0EEEvT1_,@function
_ZN7rocprim17ROCPRIM_400000_NS6detail17trampoline_kernelINS0_14default_configENS1_25transform_config_selectorIjLb0EEEZNS1_14transform_implILb0ES3_S5_PjN6thrust23THRUST_200600_302600_NS6detail15normal_iteratorINS9_10device_ptrIjEEEENS0_8identityIjEEEE10hipError_tT2_T3_mT4_P12ihipStream_tbEUlT_E_NS1_11comp_targetILNS1_3genE5ELNS1_11target_archE942ELNS1_3gpuE9ELNS1_3repE0EEENS1_30default_config_static_selectorELNS0_4arch9wavefront6targetE0EEEvT1_: ; @_ZN7rocprim17ROCPRIM_400000_NS6detail17trampoline_kernelINS0_14default_configENS1_25transform_config_selectorIjLb0EEEZNS1_14transform_implILb0ES3_S5_PjN6thrust23THRUST_200600_302600_NS6detail15normal_iteratorINS9_10device_ptrIjEEEENS0_8identityIjEEEE10hipError_tT2_T3_mT4_P12ihipStream_tbEUlT_E_NS1_11comp_targetILNS1_3genE5ELNS1_11target_archE942ELNS1_3gpuE9ELNS1_3repE0EEENS1_30default_config_static_selectorELNS0_4arch9wavefront6targetE0EEEvT1_
; %bb.0:
	.section	.rodata,"a",@progbits
	.p2align	6, 0x0
	.amdhsa_kernel _ZN7rocprim17ROCPRIM_400000_NS6detail17trampoline_kernelINS0_14default_configENS1_25transform_config_selectorIjLb0EEEZNS1_14transform_implILb0ES3_S5_PjN6thrust23THRUST_200600_302600_NS6detail15normal_iteratorINS9_10device_ptrIjEEEENS0_8identityIjEEEE10hipError_tT2_T3_mT4_P12ihipStream_tbEUlT_E_NS1_11comp_targetILNS1_3genE5ELNS1_11target_archE942ELNS1_3gpuE9ELNS1_3repE0EEENS1_30default_config_static_selectorELNS0_4arch9wavefront6targetE0EEEvT1_
		.amdhsa_group_segment_fixed_size 0
		.amdhsa_private_segment_fixed_size 0
		.amdhsa_kernarg_size 40
		.amdhsa_user_sgpr_count 6
		.amdhsa_user_sgpr_private_segment_buffer 1
		.amdhsa_user_sgpr_dispatch_ptr 0
		.amdhsa_user_sgpr_queue_ptr 0
		.amdhsa_user_sgpr_kernarg_segment_ptr 1
		.amdhsa_user_sgpr_dispatch_id 0
		.amdhsa_user_sgpr_flat_scratch_init 0
		.amdhsa_user_sgpr_private_segment_size 0
		.amdhsa_wavefront_size32 1
		.amdhsa_uses_dynamic_stack 0
		.amdhsa_system_sgpr_private_segment_wavefront_offset 0
		.amdhsa_system_sgpr_workgroup_id_x 1
		.amdhsa_system_sgpr_workgroup_id_y 0
		.amdhsa_system_sgpr_workgroup_id_z 0
		.amdhsa_system_sgpr_workgroup_info 0
		.amdhsa_system_vgpr_workitem_id 0
		.amdhsa_next_free_vgpr 1
		.amdhsa_next_free_sgpr 1
		.amdhsa_reserve_vcc 0
		.amdhsa_reserve_flat_scratch 0
		.amdhsa_float_round_mode_32 0
		.amdhsa_float_round_mode_16_64 0
		.amdhsa_float_denorm_mode_32 3
		.amdhsa_float_denorm_mode_16_64 3
		.amdhsa_dx10_clamp 1
		.amdhsa_ieee_mode 1
		.amdhsa_fp16_overflow 0
		.amdhsa_workgroup_processor_mode 1
		.amdhsa_memory_ordered 1
		.amdhsa_forward_progress 1
		.amdhsa_shared_vgpr_count 0
		.amdhsa_exception_fp_ieee_invalid_op 0
		.amdhsa_exception_fp_denorm_src 0
		.amdhsa_exception_fp_ieee_div_zero 0
		.amdhsa_exception_fp_ieee_overflow 0
		.amdhsa_exception_fp_ieee_underflow 0
		.amdhsa_exception_fp_ieee_inexact 0
		.amdhsa_exception_int_div_zero 0
	.end_amdhsa_kernel
	.section	.text._ZN7rocprim17ROCPRIM_400000_NS6detail17trampoline_kernelINS0_14default_configENS1_25transform_config_selectorIjLb0EEEZNS1_14transform_implILb0ES3_S5_PjN6thrust23THRUST_200600_302600_NS6detail15normal_iteratorINS9_10device_ptrIjEEEENS0_8identityIjEEEE10hipError_tT2_T3_mT4_P12ihipStream_tbEUlT_E_NS1_11comp_targetILNS1_3genE5ELNS1_11target_archE942ELNS1_3gpuE9ELNS1_3repE0EEENS1_30default_config_static_selectorELNS0_4arch9wavefront6targetE0EEEvT1_,"axG",@progbits,_ZN7rocprim17ROCPRIM_400000_NS6detail17trampoline_kernelINS0_14default_configENS1_25transform_config_selectorIjLb0EEEZNS1_14transform_implILb0ES3_S5_PjN6thrust23THRUST_200600_302600_NS6detail15normal_iteratorINS9_10device_ptrIjEEEENS0_8identityIjEEEE10hipError_tT2_T3_mT4_P12ihipStream_tbEUlT_E_NS1_11comp_targetILNS1_3genE5ELNS1_11target_archE942ELNS1_3gpuE9ELNS1_3repE0EEENS1_30default_config_static_selectorELNS0_4arch9wavefront6targetE0EEEvT1_,comdat
.Lfunc_end74:
	.size	_ZN7rocprim17ROCPRIM_400000_NS6detail17trampoline_kernelINS0_14default_configENS1_25transform_config_selectorIjLb0EEEZNS1_14transform_implILb0ES3_S5_PjN6thrust23THRUST_200600_302600_NS6detail15normal_iteratorINS9_10device_ptrIjEEEENS0_8identityIjEEEE10hipError_tT2_T3_mT4_P12ihipStream_tbEUlT_E_NS1_11comp_targetILNS1_3genE5ELNS1_11target_archE942ELNS1_3gpuE9ELNS1_3repE0EEENS1_30default_config_static_selectorELNS0_4arch9wavefront6targetE0EEEvT1_, .Lfunc_end74-_ZN7rocprim17ROCPRIM_400000_NS6detail17trampoline_kernelINS0_14default_configENS1_25transform_config_selectorIjLb0EEEZNS1_14transform_implILb0ES3_S5_PjN6thrust23THRUST_200600_302600_NS6detail15normal_iteratorINS9_10device_ptrIjEEEENS0_8identityIjEEEE10hipError_tT2_T3_mT4_P12ihipStream_tbEUlT_E_NS1_11comp_targetILNS1_3genE5ELNS1_11target_archE942ELNS1_3gpuE9ELNS1_3repE0EEENS1_30default_config_static_selectorELNS0_4arch9wavefront6targetE0EEEvT1_
                                        ; -- End function
	.set _ZN7rocprim17ROCPRIM_400000_NS6detail17trampoline_kernelINS0_14default_configENS1_25transform_config_selectorIjLb0EEEZNS1_14transform_implILb0ES3_S5_PjN6thrust23THRUST_200600_302600_NS6detail15normal_iteratorINS9_10device_ptrIjEEEENS0_8identityIjEEEE10hipError_tT2_T3_mT4_P12ihipStream_tbEUlT_E_NS1_11comp_targetILNS1_3genE5ELNS1_11target_archE942ELNS1_3gpuE9ELNS1_3repE0EEENS1_30default_config_static_selectorELNS0_4arch9wavefront6targetE0EEEvT1_.num_vgpr, 0
	.set _ZN7rocprim17ROCPRIM_400000_NS6detail17trampoline_kernelINS0_14default_configENS1_25transform_config_selectorIjLb0EEEZNS1_14transform_implILb0ES3_S5_PjN6thrust23THRUST_200600_302600_NS6detail15normal_iteratorINS9_10device_ptrIjEEEENS0_8identityIjEEEE10hipError_tT2_T3_mT4_P12ihipStream_tbEUlT_E_NS1_11comp_targetILNS1_3genE5ELNS1_11target_archE942ELNS1_3gpuE9ELNS1_3repE0EEENS1_30default_config_static_selectorELNS0_4arch9wavefront6targetE0EEEvT1_.num_agpr, 0
	.set _ZN7rocprim17ROCPRIM_400000_NS6detail17trampoline_kernelINS0_14default_configENS1_25transform_config_selectorIjLb0EEEZNS1_14transform_implILb0ES3_S5_PjN6thrust23THRUST_200600_302600_NS6detail15normal_iteratorINS9_10device_ptrIjEEEENS0_8identityIjEEEE10hipError_tT2_T3_mT4_P12ihipStream_tbEUlT_E_NS1_11comp_targetILNS1_3genE5ELNS1_11target_archE942ELNS1_3gpuE9ELNS1_3repE0EEENS1_30default_config_static_selectorELNS0_4arch9wavefront6targetE0EEEvT1_.numbered_sgpr, 0
	.set _ZN7rocprim17ROCPRIM_400000_NS6detail17trampoline_kernelINS0_14default_configENS1_25transform_config_selectorIjLb0EEEZNS1_14transform_implILb0ES3_S5_PjN6thrust23THRUST_200600_302600_NS6detail15normal_iteratorINS9_10device_ptrIjEEEENS0_8identityIjEEEE10hipError_tT2_T3_mT4_P12ihipStream_tbEUlT_E_NS1_11comp_targetILNS1_3genE5ELNS1_11target_archE942ELNS1_3gpuE9ELNS1_3repE0EEENS1_30default_config_static_selectorELNS0_4arch9wavefront6targetE0EEEvT1_.num_named_barrier, 0
	.set _ZN7rocprim17ROCPRIM_400000_NS6detail17trampoline_kernelINS0_14default_configENS1_25transform_config_selectorIjLb0EEEZNS1_14transform_implILb0ES3_S5_PjN6thrust23THRUST_200600_302600_NS6detail15normal_iteratorINS9_10device_ptrIjEEEENS0_8identityIjEEEE10hipError_tT2_T3_mT4_P12ihipStream_tbEUlT_E_NS1_11comp_targetILNS1_3genE5ELNS1_11target_archE942ELNS1_3gpuE9ELNS1_3repE0EEENS1_30default_config_static_selectorELNS0_4arch9wavefront6targetE0EEEvT1_.private_seg_size, 0
	.set _ZN7rocprim17ROCPRIM_400000_NS6detail17trampoline_kernelINS0_14default_configENS1_25transform_config_selectorIjLb0EEEZNS1_14transform_implILb0ES3_S5_PjN6thrust23THRUST_200600_302600_NS6detail15normal_iteratorINS9_10device_ptrIjEEEENS0_8identityIjEEEE10hipError_tT2_T3_mT4_P12ihipStream_tbEUlT_E_NS1_11comp_targetILNS1_3genE5ELNS1_11target_archE942ELNS1_3gpuE9ELNS1_3repE0EEENS1_30default_config_static_selectorELNS0_4arch9wavefront6targetE0EEEvT1_.uses_vcc, 0
	.set _ZN7rocprim17ROCPRIM_400000_NS6detail17trampoline_kernelINS0_14default_configENS1_25transform_config_selectorIjLb0EEEZNS1_14transform_implILb0ES3_S5_PjN6thrust23THRUST_200600_302600_NS6detail15normal_iteratorINS9_10device_ptrIjEEEENS0_8identityIjEEEE10hipError_tT2_T3_mT4_P12ihipStream_tbEUlT_E_NS1_11comp_targetILNS1_3genE5ELNS1_11target_archE942ELNS1_3gpuE9ELNS1_3repE0EEENS1_30default_config_static_selectorELNS0_4arch9wavefront6targetE0EEEvT1_.uses_flat_scratch, 0
	.set _ZN7rocprim17ROCPRIM_400000_NS6detail17trampoline_kernelINS0_14default_configENS1_25transform_config_selectorIjLb0EEEZNS1_14transform_implILb0ES3_S5_PjN6thrust23THRUST_200600_302600_NS6detail15normal_iteratorINS9_10device_ptrIjEEEENS0_8identityIjEEEE10hipError_tT2_T3_mT4_P12ihipStream_tbEUlT_E_NS1_11comp_targetILNS1_3genE5ELNS1_11target_archE942ELNS1_3gpuE9ELNS1_3repE0EEENS1_30default_config_static_selectorELNS0_4arch9wavefront6targetE0EEEvT1_.has_dyn_sized_stack, 0
	.set _ZN7rocprim17ROCPRIM_400000_NS6detail17trampoline_kernelINS0_14default_configENS1_25transform_config_selectorIjLb0EEEZNS1_14transform_implILb0ES3_S5_PjN6thrust23THRUST_200600_302600_NS6detail15normal_iteratorINS9_10device_ptrIjEEEENS0_8identityIjEEEE10hipError_tT2_T3_mT4_P12ihipStream_tbEUlT_E_NS1_11comp_targetILNS1_3genE5ELNS1_11target_archE942ELNS1_3gpuE9ELNS1_3repE0EEENS1_30default_config_static_selectorELNS0_4arch9wavefront6targetE0EEEvT1_.has_recursion, 0
	.set _ZN7rocprim17ROCPRIM_400000_NS6detail17trampoline_kernelINS0_14default_configENS1_25transform_config_selectorIjLb0EEEZNS1_14transform_implILb0ES3_S5_PjN6thrust23THRUST_200600_302600_NS6detail15normal_iteratorINS9_10device_ptrIjEEEENS0_8identityIjEEEE10hipError_tT2_T3_mT4_P12ihipStream_tbEUlT_E_NS1_11comp_targetILNS1_3genE5ELNS1_11target_archE942ELNS1_3gpuE9ELNS1_3repE0EEENS1_30default_config_static_selectorELNS0_4arch9wavefront6targetE0EEEvT1_.has_indirect_call, 0
	.section	.AMDGPU.csdata,"",@progbits
; Kernel info:
; codeLenInByte = 0
; TotalNumSgprs: 0
; NumVgprs: 0
; ScratchSize: 0
; MemoryBound: 0
; FloatMode: 240
; IeeeMode: 1
; LDSByteSize: 0 bytes/workgroup (compile time only)
; SGPRBlocks: 0
; VGPRBlocks: 0
; NumSGPRsForWavesPerEU: 1
; NumVGPRsForWavesPerEU: 1
; Occupancy: 16
; WaveLimiterHint : 0
; COMPUTE_PGM_RSRC2:SCRATCH_EN: 0
; COMPUTE_PGM_RSRC2:USER_SGPR: 6
; COMPUTE_PGM_RSRC2:TRAP_HANDLER: 0
; COMPUTE_PGM_RSRC2:TGID_X_EN: 1
; COMPUTE_PGM_RSRC2:TGID_Y_EN: 0
; COMPUTE_PGM_RSRC2:TGID_Z_EN: 0
; COMPUTE_PGM_RSRC2:TIDIG_COMP_CNT: 0
	.section	.text._ZN7rocprim17ROCPRIM_400000_NS6detail17trampoline_kernelINS0_14default_configENS1_25transform_config_selectorIjLb0EEEZNS1_14transform_implILb0ES3_S5_PjN6thrust23THRUST_200600_302600_NS6detail15normal_iteratorINS9_10device_ptrIjEEEENS0_8identityIjEEEE10hipError_tT2_T3_mT4_P12ihipStream_tbEUlT_E_NS1_11comp_targetILNS1_3genE4ELNS1_11target_archE910ELNS1_3gpuE8ELNS1_3repE0EEENS1_30default_config_static_selectorELNS0_4arch9wavefront6targetE0EEEvT1_,"axG",@progbits,_ZN7rocprim17ROCPRIM_400000_NS6detail17trampoline_kernelINS0_14default_configENS1_25transform_config_selectorIjLb0EEEZNS1_14transform_implILb0ES3_S5_PjN6thrust23THRUST_200600_302600_NS6detail15normal_iteratorINS9_10device_ptrIjEEEENS0_8identityIjEEEE10hipError_tT2_T3_mT4_P12ihipStream_tbEUlT_E_NS1_11comp_targetILNS1_3genE4ELNS1_11target_archE910ELNS1_3gpuE8ELNS1_3repE0EEENS1_30default_config_static_selectorELNS0_4arch9wavefront6targetE0EEEvT1_,comdat
	.protected	_ZN7rocprim17ROCPRIM_400000_NS6detail17trampoline_kernelINS0_14default_configENS1_25transform_config_selectorIjLb0EEEZNS1_14transform_implILb0ES3_S5_PjN6thrust23THRUST_200600_302600_NS6detail15normal_iteratorINS9_10device_ptrIjEEEENS0_8identityIjEEEE10hipError_tT2_T3_mT4_P12ihipStream_tbEUlT_E_NS1_11comp_targetILNS1_3genE4ELNS1_11target_archE910ELNS1_3gpuE8ELNS1_3repE0EEENS1_30default_config_static_selectorELNS0_4arch9wavefront6targetE0EEEvT1_ ; -- Begin function _ZN7rocprim17ROCPRIM_400000_NS6detail17trampoline_kernelINS0_14default_configENS1_25transform_config_selectorIjLb0EEEZNS1_14transform_implILb0ES3_S5_PjN6thrust23THRUST_200600_302600_NS6detail15normal_iteratorINS9_10device_ptrIjEEEENS0_8identityIjEEEE10hipError_tT2_T3_mT4_P12ihipStream_tbEUlT_E_NS1_11comp_targetILNS1_3genE4ELNS1_11target_archE910ELNS1_3gpuE8ELNS1_3repE0EEENS1_30default_config_static_selectorELNS0_4arch9wavefront6targetE0EEEvT1_
	.globl	_ZN7rocprim17ROCPRIM_400000_NS6detail17trampoline_kernelINS0_14default_configENS1_25transform_config_selectorIjLb0EEEZNS1_14transform_implILb0ES3_S5_PjN6thrust23THRUST_200600_302600_NS6detail15normal_iteratorINS9_10device_ptrIjEEEENS0_8identityIjEEEE10hipError_tT2_T3_mT4_P12ihipStream_tbEUlT_E_NS1_11comp_targetILNS1_3genE4ELNS1_11target_archE910ELNS1_3gpuE8ELNS1_3repE0EEENS1_30default_config_static_selectorELNS0_4arch9wavefront6targetE0EEEvT1_
	.p2align	8
	.type	_ZN7rocprim17ROCPRIM_400000_NS6detail17trampoline_kernelINS0_14default_configENS1_25transform_config_selectorIjLb0EEEZNS1_14transform_implILb0ES3_S5_PjN6thrust23THRUST_200600_302600_NS6detail15normal_iteratorINS9_10device_ptrIjEEEENS0_8identityIjEEEE10hipError_tT2_T3_mT4_P12ihipStream_tbEUlT_E_NS1_11comp_targetILNS1_3genE4ELNS1_11target_archE910ELNS1_3gpuE8ELNS1_3repE0EEENS1_30default_config_static_selectorELNS0_4arch9wavefront6targetE0EEEvT1_,@function
_ZN7rocprim17ROCPRIM_400000_NS6detail17trampoline_kernelINS0_14default_configENS1_25transform_config_selectorIjLb0EEEZNS1_14transform_implILb0ES3_S5_PjN6thrust23THRUST_200600_302600_NS6detail15normal_iteratorINS9_10device_ptrIjEEEENS0_8identityIjEEEE10hipError_tT2_T3_mT4_P12ihipStream_tbEUlT_E_NS1_11comp_targetILNS1_3genE4ELNS1_11target_archE910ELNS1_3gpuE8ELNS1_3repE0EEENS1_30default_config_static_selectorELNS0_4arch9wavefront6targetE0EEEvT1_: ; @_ZN7rocprim17ROCPRIM_400000_NS6detail17trampoline_kernelINS0_14default_configENS1_25transform_config_selectorIjLb0EEEZNS1_14transform_implILb0ES3_S5_PjN6thrust23THRUST_200600_302600_NS6detail15normal_iteratorINS9_10device_ptrIjEEEENS0_8identityIjEEEE10hipError_tT2_T3_mT4_P12ihipStream_tbEUlT_E_NS1_11comp_targetILNS1_3genE4ELNS1_11target_archE910ELNS1_3gpuE8ELNS1_3repE0EEENS1_30default_config_static_selectorELNS0_4arch9wavefront6targetE0EEEvT1_
; %bb.0:
	.section	.rodata,"a",@progbits
	.p2align	6, 0x0
	.amdhsa_kernel _ZN7rocprim17ROCPRIM_400000_NS6detail17trampoline_kernelINS0_14default_configENS1_25transform_config_selectorIjLb0EEEZNS1_14transform_implILb0ES3_S5_PjN6thrust23THRUST_200600_302600_NS6detail15normal_iteratorINS9_10device_ptrIjEEEENS0_8identityIjEEEE10hipError_tT2_T3_mT4_P12ihipStream_tbEUlT_E_NS1_11comp_targetILNS1_3genE4ELNS1_11target_archE910ELNS1_3gpuE8ELNS1_3repE0EEENS1_30default_config_static_selectorELNS0_4arch9wavefront6targetE0EEEvT1_
		.amdhsa_group_segment_fixed_size 0
		.amdhsa_private_segment_fixed_size 0
		.amdhsa_kernarg_size 40
		.amdhsa_user_sgpr_count 6
		.amdhsa_user_sgpr_private_segment_buffer 1
		.amdhsa_user_sgpr_dispatch_ptr 0
		.amdhsa_user_sgpr_queue_ptr 0
		.amdhsa_user_sgpr_kernarg_segment_ptr 1
		.amdhsa_user_sgpr_dispatch_id 0
		.amdhsa_user_sgpr_flat_scratch_init 0
		.amdhsa_user_sgpr_private_segment_size 0
		.amdhsa_wavefront_size32 1
		.amdhsa_uses_dynamic_stack 0
		.amdhsa_system_sgpr_private_segment_wavefront_offset 0
		.amdhsa_system_sgpr_workgroup_id_x 1
		.amdhsa_system_sgpr_workgroup_id_y 0
		.amdhsa_system_sgpr_workgroup_id_z 0
		.amdhsa_system_sgpr_workgroup_info 0
		.amdhsa_system_vgpr_workitem_id 0
		.amdhsa_next_free_vgpr 1
		.amdhsa_next_free_sgpr 1
		.amdhsa_reserve_vcc 0
		.amdhsa_reserve_flat_scratch 0
		.amdhsa_float_round_mode_32 0
		.amdhsa_float_round_mode_16_64 0
		.amdhsa_float_denorm_mode_32 3
		.amdhsa_float_denorm_mode_16_64 3
		.amdhsa_dx10_clamp 1
		.amdhsa_ieee_mode 1
		.amdhsa_fp16_overflow 0
		.amdhsa_workgroup_processor_mode 1
		.amdhsa_memory_ordered 1
		.amdhsa_forward_progress 1
		.amdhsa_shared_vgpr_count 0
		.amdhsa_exception_fp_ieee_invalid_op 0
		.amdhsa_exception_fp_denorm_src 0
		.amdhsa_exception_fp_ieee_div_zero 0
		.amdhsa_exception_fp_ieee_overflow 0
		.amdhsa_exception_fp_ieee_underflow 0
		.amdhsa_exception_fp_ieee_inexact 0
		.amdhsa_exception_int_div_zero 0
	.end_amdhsa_kernel
	.section	.text._ZN7rocprim17ROCPRIM_400000_NS6detail17trampoline_kernelINS0_14default_configENS1_25transform_config_selectorIjLb0EEEZNS1_14transform_implILb0ES3_S5_PjN6thrust23THRUST_200600_302600_NS6detail15normal_iteratorINS9_10device_ptrIjEEEENS0_8identityIjEEEE10hipError_tT2_T3_mT4_P12ihipStream_tbEUlT_E_NS1_11comp_targetILNS1_3genE4ELNS1_11target_archE910ELNS1_3gpuE8ELNS1_3repE0EEENS1_30default_config_static_selectorELNS0_4arch9wavefront6targetE0EEEvT1_,"axG",@progbits,_ZN7rocprim17ROCPRIM_400000_NS6detail17trampoline_kernelINS0_14default_configENS1_25transform_config_selectorIjLb0EEEZNS1_14transform_implILb0ES3_S5_PjN6thrust23THRUST_200600_302600_NS6detail15normal_iteratorINS9_10device_ptrIjEEEENS0_8identityIjEEEE10hipError_tT2_T3_mT4_P12ihipStream_tbEUlT_E_NS1_11comp_targetILNS1_3genE4ELNS1_11target_archE910ELNS1_3gpuE8ELNS1_3repE0EEENS1_30default_config_static_selectorELNS0_4arch9wavefront6targetE0EEEvT1_,comdat
.Lfunc_end75:
	.size	_ZN7rocprim17ROCPRIM_400000_NS6detail17trampoline_kernelINS0_14default_configENS1_25transform_config_selectorIjLb0EEEZNS1_14transform_implILb0ES3_S5_PjN6thrust23THRUST_200600_302600_NS6detail15normal_iteratorINS9_10device_ptrIjEEEENS0_8identityIjEEEE10hipError_tT2_T3_mT4_P12ihipStream_tbEUlT_E_NS1_11comp_targetILNS1_3genE4ELNS1_11target_archE910ELNS1_3gpuE8ELNS1_3repE0EEENS1_30default_config_static_selectorELNS0_4arch9wavefront6targetE0EEEvT1_, .Lfunc_end75-_ZN7rocprim17ROCPRIM_400000_NS6detail17trampoline_kernelINS0_14default_configENS1_25transform_config_selectorIjLb0EEEZNS1_14transform_implILb0ES3_S5_PjN6thrust23THRUST_200600_302600_NS6detail15normal_iteratorINS9_10device_ptrIjEEEENS0_8identityIjEEEE10hipError_tT2_T3_mT4_P12ihipStream_tbEUlT_E_NS1_11comp_targetILNS1_3genE4ELNS1_11target_archE910ELNS1_3gpuE8ELNS1_3repE0EEENS1_30default_config_static_selectorELNS0_4arch9wavefront6targetE0EEEvT1_
                                        ; -- End function
	.set _ZN7rocprim17ROCPRIM_400000_NS6detail17trampoline_kernelINS0_14default_configENS1_25transform_config_selectorIjLb0EEEZNS1_14transform_implILb0ES3_S5_PjN6thrust23THRUST_200600_302600_NS6detail15normal_iteratorINS9_10device_ptrIjEEEENS0_8identityIjEEEE10hipError_tT2_T3_mT4_P12ihipStream_tbEUlT_E_NS1_11comp_targetILNS1_3genE4ELNS1_11target_archE910ELNS1_3gpuE8ELNS1_3repE0EEENS1_30default_config_static_selectorELNS0_4arch9wavefront6targetE0EEEvT1_.num_vgpr, 0
	.set _ZN7rocprim17ROCPRIM_400000_NS6detail17trampoline_kernelINS0_14default_configENS1_25transform_config_selectorIjLb0EEEZNS1_14transform_implILb0ES3_S5_PjN6thrust23THRUST_200600_302600_NS6detail15normal_iteratorINS9_10device_ptrIjEEEENS0_8identityIjEEEE10hipError_tT2_T3_mT4_P12ihipStream_tbEUlT_E_NS1_11comp_targetILNS1_3genE4ELNS1_11target_archE910ELNS1_3gpuE8ELNS1_3repE0EEENS1_30default_config_static_selectorELNS0_4arch9wavefront6targetE0EEEvT1_.num_agpr, 0
	.set _ZN7rocprim17ROCPRIM_400000_NS6detail17trampoline_kernelINS0_14default_configENS1_25transform_config_selectorIjLb0EEEZNS1_14transform_implILb0ES3_S5_PjN6thrust23THRUST_200600_302600_NS6detail15normal_iteratorINS9_10device_ptrIjEEEENS0_8identityIjEEEE10hipError_tT2_T3_mT4_P12ihipStream_tbEUlT_E_NS1_11comp_targetILNS1_3genE4ELNS1_11target_archE910ELNS1_3gpuE8ELNS1_3repE0EEENS1_30default_config_static_selectorELNS0_4arch9wavefront6targetE0EEEvT1_.numbered_sgpr, 0
	.set _ZN7rocprim17ROCPRIM_400000_NS6detail17trampoline_kernelINS0_14default_configENS1_25transform_config_selectorIjLb0EEEZNS1_14transform_implILb0ES3_S5_PjN6thrust23THRUST_200600_302600_NS6detail15normal_iteratorINS9_10device_ptrIjEEEENS0_8identityIjEEEE10hipError_tT2_T3_mT4_P12ihipStream_tbEUlT_E_NS1_11comp_targetILNS1_3genE4ELNS1_11target_archE910ELNS1_3gpuE8ELNS1_3repE0EEENS1_30default_config_static_selectorELNS0_4arch9wavefront6targetE0EEEvT1_.num_named_barrier, 0
	.set _ZN7rocprim17ROCPRIM_400000_NS6detail17trampoline_kernelINS0_14default_configENS1_25transform_config_selectorIjLb0EEEZNS1_14transform_implILb0ES3_S5_PjN6thrust23THRUST_200600_302600_NS6detail15normal_iteratorINS9_10device_ptrIjEEEENS0_8identityIjEEEE10hipError_tT2_T3_mT4_P12ihipStream_tbEUlT_E_NS1_11comp_targetILNS1_3genE4ELNS1_11target_archE910ELNS1_3gpuE8ELNS1_3repE0EEENS1_30default_config_static_selectorELNS0_4arch9wavefront6targetE0EEEvT1_.private_seg_size, 0
	.set _ZN7rocprim17ROCPRIM_400000_NS6detail17trampoline_kernelINS0_14default_configENS1_25transform_config_selectorIjLb0EEEZNS1_14transform_implILb0ES3_S5_PjN6thrust23THRUST_200600_302600_NS6detail15normal_iteratorINS9_10device_ptrIjEEEENS0_8identityIjEEEE10hipError_tT2_T3_mT4_P12ihipStream_tbEUlT_E_NS1_11comp_targetILNS1_3genE4ELNS1_11target_archE910ELNS1_3gpuE8ELNS1_3repE0EEENS1_30default_config_static_selectorELNS0_4arch9wavefront6targetE0EEEvT1_.uses_vcc, 0
	.set _ZN7rocprim17ROCPRIM_400000_NS6detail17trampoline_kernelINS0_14default_configENS1_25transform_config_selectorIjLb0EEEZNS1_14transform_implILb0ES3_S5_PjN6thrust23THRUST_200600_302600_NS6detail15normal_iteratorINS9_10device_ptrIjEEEENS0_8identityIjEEEE10hipError_tT2_T3_mT4_P12ihipStream_tbEUlT_E_NS1_11comp_targetILNS1_3genE4ELNS1_11target_archE910ELNS1_3gpuE8ELNS1_3repE0EEENS1_30default_config_static_selectorELNS0_4arch9wavefront6targetE0EEEvT1_.uses_flat_scratch, 0
	.set _ZN7rocprim17ROCPRIM_400000_NS6detail17trampoline_kernelINS0_14default_configENS1_25transform_config_selectorIjLb0EEEZNS1_14transform_implILb0ES3_S5_PjN6thrust23THRUST_200600_302600_NS6detail15normal_iteratorINS9_10device_ptrIjEEEENS0_8identityIjEEEE10hipError_tT2_T3_mT4_P12ihipStream_tbEUlT_E_NS1_11comp_targetILNS1_3genE4ELNS1_11target_archE910ELNS1_3gpuE8ELNS1_3repE0EEENS1_30default_config_static_selectorELNS0_4arch9wavefront6targetE0EEEvT1_.has_dyn_sized_stack, 0
	.set _ZN7rocprim17ROCPRIM_400000_NS6detail17trampoline_kernelINS0_14default_configENS1_25transform_config_selectorIjLb0EEEZNS1_14transform_implILb0ES3_S5_PjN6thrust23THRUST_200600_302600_NS6detail15normal_iteratorINS9_10device_ptrIjEEEENS0_8identityIjEEEE10hipError_tT2_T3_mT4_P12ihipStream_tbEUlT_E_NS1_11comp_targetILNS1_3genE4ELNS1_11target_archE910ELNS1_3gpuE8ELNS1_3repE0EEENS1_30default_config_static_selectorELNS0_4arch9wavefront6targetE0EEEvT1_.has_recursion, 0
	.set _ZN7rocprim17ROCPRIM_400000_NS6detail17trampoline_kernelINS0_14default_configENS1_25transform_config_selectorIjLb0EEEZNS1_14transform_implILb0ES3_S5_PjN6thrust23THRUST_200600_302600_NS6detail15normal_iteratorINS9_10device_ptrIjEEEENS0_8identityIjEEEE10hipError_tT2_T3_mT4_P12ihipStream_tbEUlT_E_NS1_11comp_targetILNS1_3genE4ELNS1_11target_archE910ELNS1_3gpuE8ELNS1_3repE0EEENS1_30default_config_static_selectorELNS0_4arch9wavefront6targetE0EEEvT1_.has_indirect_call, 0
	.section	.AMDGPU.csdata,"",@progbits
; Kernel info:
; codeLenInByte = 0
; TotalNumSgprs: 0
; NumVgprs: 0
; ScratchSize: 0
; MemoryBound: 0
; FloatMode: 240
; IeeeMode: 1
; LDSByteSize: 0 bytes/workgroup (compile time only)
; SGPRBlocks: 0
; VGPRBlocks: 0
; NumSGPRsForWavesPerEU: 1
; NumVGPRsForWavesPerEU: 1
; Occupancy: 16
; WaveLimiterHint : 0
; COMPUTE_PGM_RSRC2:SCRATCH_EN: 0
; COMPUTE_PGM_RSRC2:USER_SGPR: 6
; COMPUTE_PGM_RSRC2:TRAP_HANDLER: 0
; COMPUTE_PGM_RSRC2:TGID_X_EN: 1
; COMPUTE_PGM_RSRC2:TGID_Y_EN: 0
; COMPUTE_PGM_RSRC2:TGID_Z_EN: 0
; COMPUTE_PGM_RSRC2:TIDIG_COMP_CNT: 0
	.section	.text._ZN7rocprim17ROCPRIM_400000_NS6detail17trampoline_kernelINS0_14default_configENS1_25transform_config_selectorIjLb0EEEZNS1_14transform_implILb0ES3_S5_PjN6thrust23THRUST_200600_302600_NS6detail15normal_iteratorINS9_10device_ptrIjEEEENS0_8identityIjEEEE10hipError_tT2_T3_mT4_P12ihipStream_tbEUlT_E_NS1_11comp_targetILNS1_3genE3ELNS1_11target_archE908ELNS1_3gpuE7ELNS1_3repE0EEENS1_30default_config_static_selectorELNS0_4arch9wavefront6targetE0EEEvT1_,"axG",@progbits,_ZN7rocprim17ROCPRIM_400000_NS6detail17trampoline_kernelINS0_14default_configENS1_25transform_config_selectorIjLb0EEEZNS1_14transform_implILb0ES3_S5_PjN6thrust23THRUST_200600_302600_NS6detail15normal_iteratorINS9_10device_ptrIjEEEENS0_8identityIjEEEE10hipError_tT2_T3_mT4_P12ihipStream_tbEUlT_E_NS1_11comp_targetILNS1_3genE3ELNS1_11target_archE908ELNS1_3gpuE7ELNS1_3repE0EEENS1_30default_config_static_selectorELNS0_4arch9wavefront6targetE0EEEvT1_,comdat
	.protected	_ZN7rocprim17ROCPRIM_400000_NS6detail17trampoline_kernelINS0_14default_configENS1_25transform_config_selectorIjLb0EEEZNS1_14transform_implILb0ES3_S5_PjN6thrust23THRUST_200600_302600_NS6detail15normal_iteratorINS9_10device_ptrIjEEEENS0_8identityIjEEEE10hipError_tT2_T3_mT4_P12ihipStream_tbEUlT_E_NS1_11comp_targetILNS1_3genE3ELNS1_11target_archE908ELNS1_3gpuE7ELNS1_3repE0EEENS1_30default_config_static_selectorELNS0_4arch9wavefront6targetE0EEEvT1_ ; -- Begin function _ZN7rocprim17ROCPRIM_400000_NS6detail17trampoline_kernelINS0_14default_configENS1_25transform_config_selectorIjLb0EEEZNS1_14transform_implILb0ES3_S5_PjN6thrust23THRUST_200600_302600_NS6detail15normal_iteratorINS9_10device_ptrIjEEEENS0_8identityIjEEEE10hipError_tT2_T3_mT4_P12ihipStream_tbEUlT_E_NS1_11comp_targetILNS1_3genE3ELNS1_11target_archE908ELNS1_3gpuE7ELNS1_3repE0EEENS1_30default_config_static_selectorELNS0_4arch9wavefront6targetE0EEEvT1_
	.globl	_ZN7rocprim17ROCPRIM_400000_NS6detail17trampoline_kernelINS0_14default_configENS1_25transform_config_selectorIjLb0EEEZNS1_14transform_implILb0ES3_S5_PjN6thrust23THRUST_200600_302600_NS6detail15normal_iteratorINS9_10device_ptrIjEEEENS0_8identityIjEEEE10hipError_tT2_T3_mT4_P12ihipStream_tbEUlT_E_NS1_11comp_targetILNS1_3genE3ELNS1_11target_archE908ELNS1_3gpuE7ELNS1_3repE0EEENS1_30default_config_static_selectorELNS0_4arch9wavefront6targetE0EEEvT1_
	.p2align	8
	.type	_ZN7rocprim17ROCPRIM_400000_NS6detail17trampoline_kernelINS0_14default_configENS1_25transform_config_selectorIjLb0EEEZNS1_14transform_implILb0ES3_S5_PjN6thrust23THRUST_200600_302600_NS6detail15normal_iteratorINS9_10device_ptrIjEEEENS0_8identityIjEEEE10hipError_tT2_T3_mT4_P12ihipStream_tbEUlT_E_NS1_11comp_targetILNS1_3genE3ELNS1_11target_archE908ELNS1_3gpuE7ELNS1_3repE0EEENS1_30default_config_static_selectorELNS0_4arch9wavefront6targetE0EEEvT1_,@function
_ZN7rocprim17ROCPRIM_400000_NS6detail17trampoline_kernelINS0_14default_configENS1_25transform_config_selectorIjLb0EEEZNS1_14transform_implILb0ES3_S5_PjN6thrust23THRUST_200600_302600_NS6detail15normal_iteratorINS9_10device_ptrIjEEEENS0_8identityIjEEEE10hipError_tT2_T3_mT4_P12ihipStream_tbEUlT_E_NS1_11comp_targetILNS1_3genE3ELNS1_11target_archE908ELNS1_3gpuE7ELNS1_3repE0EEENS1_30default_config_static_selectorELNS0_4arch9wavefront6targetE0EEEvT1_: ; @_ZN7rocprim17ROCPRIM_400000_NS6detail17trampoline_kernelINS0_14default_configENS1_25transform_config_selectorIjLb0EEEZNS1_14transform_implILb0ES3_S5_PjN6thrust23THRUST_200600_302600_NS6detail15normal_iteratorINS9_10device_ptrIjEEEENS0_8identityIjEEEE10hipError_tT2_T3_mT4_P12ihipStream_tbEUlT_E_NS1_11comp_targetILNS1_3genE3ELNS1_11target_archE908ELNS1_3gpuE7ELNS1_3repE0EEENS1_30default_config_static_selectorELNS0_4arch9wavefront6targetE0EEEvT1_
; %bb.0:
	.section	.rodata,"a",@progbits
	.p2align	6, 0x0
	.amdhsa_kernel _ZN7rocprim17ROCPRIM_400000_NS6detail17trampoline_kernelINS0_14default_configENS1_25transform_config_selectorIjLb0EEEZNS1_14transform_implILb0ES3_S5_PjN6thrust23THRUST_200600_302600_NS6detail15normal_iteratorINS9_10device_ptrIjEEEENS0_8identityIjEEEE10hipError_tT2_T3_mT4_P12ihipStream_tbEUlT_E_NS1_11comp_targetILNS1_3genE3ELNS1_11target_archE908ELNS1_3gpuE7ELNS1_3repE0EEENS1_30default_config_static_selectorELNS0_4arch9wavefront6targetE0EEEvT1_
		.amdhsa_group_segment_fixed_size 0
		.amdhsa_private_segment_fixed_size 0
		.amdhsa_kernarg_size 40
		.amdhsa_user_sgpr_count 6
		.amdhsa_user_sgpr_private_segment_buffer 1
		.amdhsa_user_sgpr_dispatch_ptr 0
		.amdhsa_user_sgpr_queue_ptr 0
		.amdhsa_user_sgpr_kernarg_segment_ptr 1
		.amdhsa_user_sgpr_dispatch_id 0
		.amdhsa_user_sgpr_flat_scratch_init 0
		.amdhsa_user_sgpr_private_segment_size 0
		.amdhsa_wavefront_size32 1
		.amdhsa_uses_dynamic_stack 0
		.amdhsa_system_sgpr_private_segment_wavefront_offset 0
		.amdhsa_system_sgpr_workgroup_id_x 1
		.amdhsa_system_sgpr_workgroup_id_y 0
		.amdhsa_system_sgpr_workgroup_id_z 0
		.amdhsa_system_sgpr_workgroup_info 0
		.amdhsa_system_vgpr_workitem_id 0
		.amdhsa_next_free_vgpr 1
		.amdhsa_next_free_sgpr 1
		.amdhsa_reserve_vcc 0
		.amdhsa_reserve_flat_scratch 0
		.amdhsa_float_round_mode_32 0
		.amdhsa_float_round_mode_16_64 0
		.amdhsa_float_denorm_mode_32 3
		.amdhsa_float_denorm_mode_16_64 3
		.amdhsa_dx10_clamp 1
		.amdhsa_ieee_mode 1
		.amdhsa_fp16_overflow 0
		.amdhsa_workgroup_processor_mode 1
		.amdhsa_memory_ordered 1
		.amdhsa_forward_progress 1
		.amdhsa_shared_vgpr_count 0
		.amdhsa_exception_fp_ieee_invalid_op 0
		.amdhsa_exception_fp_denorm_src 0
		.amdhsa_exception_fp_ieee_div_zero 0
		.amdhsa_exception_fp_ieee_overflow 0
		.amdhsa_exception_fp_ieee_underflow 0
		.amdhsa_exception_fp_ieee_inexact 0
		.amdhsa_exception_int_div_zero 0
	.end_amdhsa_kernel
	.section	.text._ZN7rocprim17ROCPRIM_400000_NS6detail17trampoline_kernelINS0_14default_configENS1_25transform_config_selectorIjLb0EEEZNS1_14transform_implILb0ES3_S5_PjN6thrust23THRUST_200600_302600_NS6detail15normal_iteratorINS9_10device_ptrIjEEEENS0_8identityIjEEEE10hipError_tT2_T3_mT4_P12ihipStream_tbEUlT_E_NS1_11comp_targetILNS1_3genE3ELNS1_11target_archE908ELNS1_3gpuE7ELNS1_3repE0EEENS1_30default_config_static_selectorELNS0_4arch9wavefront6targetE0EEEvT1_,"axG",@progbits,_ZN7rocprim17ROCPRIM_400000_NS6detail17trampoline_kernelINS0_14default_configENS1_25transform_config_selectorIjLb0EEEZNS1_14transform_implILb0ES3_S5_PjN6thrust23THRUST_200600_302600_NS6detail15normal_iteratorINS9_10device_ptrIjEEEENS0_8identityIjEEEE10hipError_tT2_T3_mT4_P12ihipStream_tbEUlT_E_NS1_11comp_targetILNS1_3genE3ELNS1_11target_archE908ELNS1_3gpuE7ELNS1_3repE0EEENS1_30default_config_static_selectorELNS0_4arch9wavefront6targetE0EEEvT1_,comdat
.Lfunc_end76:
	.size	_ZN7rocprim17ROCPRIM_400000_NS6detail17trampoline_kernelINS0_14default_configENS1_25transform_config_selectorIjLb0EEEZNS1_14transform_implILb0ES3_S5_PjN6thrust23THRUST_200600_302600_NS6detail15normal_iteratorINS9_10device_ptrIjEEEENS0_8identityIjEEEE10hipError_tT2_T3_mT4_P12ihipStream_tbEUlT_E_NS1_11comp_targetILNS1_3genE3ELNS1_11target_archE908ELNS1_3gpuE7ELNS1_3repE0EEENS1_30default_config_static_selectorELNS0_4arch9wavefront6targetE0EEEvT1_, .Lfunc_end76-_ZN7rocprim17ROCPRIM_400000_NS6detail17trampoline_kernelINS0_14default_configENS1_25transform_config_selectorIjLb0EEEZNS1_14transform_implILb0ES3_S5_PjN6thrust23THRUST_200600_302600_NS6detail15normal_iteratorINS9_10device_ptrIjEEEENS0_8identityIjEEEE10hipError_tT2_T3_mT4_P12ihipStream_tbEUlT_E_NS1_11comp_targetILNS1_3genE3ELNS1_11target_archE908ELNS1_3gpuE7ELNS1_3repE0EEENS1_30default_config_static_selectorELNS0_4arch9wavefront6targetE0EEEvT1_
                                        ; -- End function
	.set _ZN7rocprim17ROCPRIM_400000_NS6detail17trampoline_kernelINS0_14default_configENS1_25transform_config_selectorIjLb0EEEZNS1_14transform_implILb0ES3_S5_PjN6thrust23THRUST_200600_302600_NS6detail15normal_iteratorINS9_10device_ptrIjEEEENS0_8identityIjEEEE10hipError_tT2_T3_mT4_P12ihipStream_tbEUlT_E_NS1_11comp_targetILNS1_3genE3ELNS1_11target_archE908ELNS1_3gpuE7ELNS1_3repE0EEENS1_30default_config_static_selectorELNS0_4arch9wavefront6targetE0EEEvT1_.num_vgpr, 0
	.set _ZN7rocprim17ROCPRIM_400000_NS6detail17trampoline_kernelINS0_14default_configENS1_25transform_config_selectorIjLb0EEEZNS1_14transform_implILb0ES3_S5_PjN6thrust23THRUST_200600_302600_NS6detail15normal_iteratorINS9_10device_ptrIjEEEENS0_8identityIjEEEE10hipError_tT2_T3_mT4_P12ihipStream_tbEUlT_E_NS1_11comp_targetILNS1_3genE3ELNS1_11target_archE908ELNS1_3gpuE7ELNS1_3repE0EEENS1_30default_config_static_selectorELNS0_4arch9wavefront6targetE0EEEvT1_.num_agpr, 0
	.set _ZN7rocprim17ROCPRIM_400000_NS6detail17trampoline_kernelINS0_14default_configENS1_25transform_config_selectorIjLb0EEEZNS1_14transform_implILb0ES3_S5_PjN6thrust23THRUST_200600_302600_NS6detail15normal_iteratorINS9_10device_ptrIjEEEENS0_8identityIjEEEE10hipError_tT2_T3_mT4_P12ihipStream_tbEUlT_E_NS1_11comp_targetILNS1_3genE3ELNS1_11target_archE908ELNS1_3gpuE7ELNS1_3repE0EEENS1_30default_config_static_selectorELNS0_4arch9wavefront6targetE0EEEvT1_.numbered_sgpr, 0
	.set _ZN7rocprim17ROCPRIM_400000_NS6detail17trampoline_kernelINS0_14default_configENS1_25transform_config_selectorIjLb0EEEZNS1_14transform_implILb0ES3_S5_PjN6thrust23THRUST_200600_302600_NS6detail15normal_iteratorINS9_10device_ptrIjEEEENS0_8identityIjEEEE10hipError_tT2_T3_mT4_P12ihipStream_tbEUlT_E_NS1_11comp_targetILNS1_3genE3ELNS1_11target_archE908ELNS1_3gpuE7ELNS1_3repE0EEENS1_30default_config_static_selectorELNS0_4arch9wavefront6targetE0EEEvT1_.num_named_barrier, 0
	.set _ZN7rocprim17ROCPRIM_400000_NS6detail17trampoline_kernelINS0_14default_configENS1_25transform_config_selectorIjLb0EEEZNS1_14transform_implILb0ES3_S5_PjN6thrust23THRUST_200600_302600_NS6detail15normal_iteratorINS9_10device_ptrIjEEEENS0_8identityIjEEEE10hipError_tT2_T3_mT4_P12ihipStream_tbEUlT_E_NS1_11comp_targetILNS1_3genE3ELNS1_11target_archE908ELNS1_3gpuE7ELNS1_3repE0EEENS1_30default_config_static_selectorELNS0_4arch9wavefront6targetE0EEEvT1_.private_seg_size, 0
	.set _ZN7rocprim17ROCPRIM_400000_NS6detail17trampoline_kernelINS0_14default_configENS1_25transform_config_selectorIjLb0EEEZNS1_14transform_implILb0ES3_S5_PjN6thrust23THRUST_200600_302600_NS6detail15normal_iteratorINS9_10device_ptrIjEEEENS0_8identityIjEEEE10hipError_tT2_T3_mT4_P12ihipStream_tbEUlT_E_NS1_11comp_targetILNS1_3genE3ELNS1_11target_archE908ELNS1_3gpuE7ELNS1_3repE0EEENS1_30default_config_static_selectorELNS0_4arch9wavefront6targetE0EEEvT1_.uses_vcc, 0
	.set _ZN7rocprim17ROCPRIM_400000_NS6detail17trampoline_kernelINS0_14default_configENS1_25transform_config_selectorIjLb0EEEZNS1_14transform_implILb0ES3_S5_PjN6thrust23THRUST_200600_302600_NS6detail15normal_iteratorINS9_10device_ptrIjEEEENS0_8identityIjEEEE10hipError_tT2_T3_mT4_P12ihipStream_tbEUlT_E_NS1_11comp_targetILNS1_3genE3ELNS1_11target_archE908ELNS1_3gpuE7ELNS1_3repE0EEENS1_30default_config_static_selectorELNS0_4arch9wavefront6targetE0EEEvT1_.uses_flat_scratch, 0
	.set _ZN7rocprim17ROCPRIM_400000_NS6detail17trampoline_kernelINS0_14default_configENS1_25transform_config_selectorIjLb0EEEZNS1_14transform_implILb0ES3_S5_PjN6thrust23THRUST_200600_302600_NS6detail15normal_iteratorINS9_10device_ptrIjEEEENS0_8identityIjEEEE10hipError_tT2_T3_mT4_P12ihipStream_tbEUlT_E_NS1_11comp_targetILNS1_3genE3ELNS1_11target_archE908ELNS1_3gpuE7ELNS1_3repE0EEENS1_30default_config_static_selectorELNS0_4arch9wavefront6targetE0EEEvT1_.has_dyn_sized_stack, 0
	.set _ZN7rocprim17ROCPRIM_400000_NS6detail17trampoline_kernelINS0_14default_configENS1_25transform_config_selectorIjLb0EEEZNS1_14transform_implILb0ES3_S5_PjN6thrust23THRUST_200600_302600_NS6detail15normal_iteratorINS9_10device_ptrIjEEEENS0_8identityIjEEEE10hipError_tT2_T3_mT4_P12ihipStream_tbEUlT_E_NS1_11comp_targetILNS1_3genE3ELNS1_11target_archE908ELNS1_3gpuE7ELNS1_3repE0EEENS1_30default_config_static_selectorELNS0_4arch9wavefront6targetE0EEEvT1_.has_recursion, 0
	.set _ZN7rocprim17ROCPRIM_400000_NS6detail17trampoline_kernelINS0_14default_configENS1_25transform_config_selectorIjLb0EEEZNS1_14transform_implILb0ES3_S5_PjN6thrust23THRUST_200600_302600_NS6detail15normal_iteratorINS9_10device_ptrIjEEEENS0_8identityIjEEEE10hipError_tT2_T3_mT4_P12ihipStream_tbEUlT_E_NS1_11comp_targetILNS1_3genE3ELNS1_11target_archE908ELNS1_3gpuE7ELNS1_3repE0EEENS1_30default_config_static_selectorELNS0_4arch9wavefront6targetE0EEEvT1_.has_indirect_call, 0
	.section	.AMDGPU.csdata,"",@progbits
; Kernel info:
; codeLenInByte = 0
; TotalNumSgprs: 0
; NumVgprs: 0
; ScratchSize: 0
; MemoryBound: 0
; FloatMode: 240
; IeeeMode: 1
; LDSByteSize: 0 bytes/workgroup (compile time only)
; SGPRBlocks: 0
; VGPRBlocks: 0
; NumSGPRsForWavesPerEU: 1
; NumVGPRsForWavesPerEU: 1
; Occupancy: 16
; WaveLimiterHint : 0
; COMPUTE_PGM_RSRC2:SCRATCH_EN: 0
; COMPUTE_PGM_RSRC2:USER_SGPR: 6
; COMPUTE_PGM_RSRC2:TRAP_HANDLER: 0
; COMPUTE_PGM_RSRC2:TGID_X_EN: 1
; COMPUTE_PGM_RSRC2:TGID_Y_EN: 0
; COMPUTE_PGM_RSRC2:TGID_Z_EN: 0
; COMPUTE_PGM_RSRC2:TIDIG_COMP_CNT: 0
	.section	.text._ZN7rocprim17ROCPRIM_400000_NS6detail17trampoline_kernelINS0_14default_configENS1_25transform_config_selectorIjLb0EEEZNS1_14transform_implILb0ES3_S5_PjN6thrust23THRUST_200600_302600_NS6detail15normal_iteratorINS9_10device_ptrIjEEEENS0_8identityIjEEEE10hipError_tT2_T3_mT4_P12ihipStream_tbEUlT_E_NS1_11comp_targetILNS1_3genE2ELNS1_11target_archE906ELNS1_3gpuE6ELNS1_3repE0EEENS1_30default_config_static_selectorELNS0_4arch9wavefront6targetE0EEEvT1_,"axG",@progbits,_ZN7rocprim17ROCPRIM_400000_NS6detail17trampoline_kernelINS0_14default_configENS1_25transform_config_selectorIjLb0EEEZNS1_14transform_implILb0ES3_S5_PjN6thrust23THRUST_200600_302600_NS6detail15normal_iteratorINS9_10device_ptrIjEEEENS0_8identityIjEEEE10hipError_tT2_T3_mT4_P12ihipStream_tbEUlT_E_NS1_11comp_targetILNS1_3genE2ELNS1_11target_archE906ELNS1_3gpuE6ELNS1_3repE0EEENS1_30default_config_static_selectorELNS0_4arch9wavefront6targetE0EEEvT1_,comdat
	.protected	_ZN7rocprim17ROCPRIM_400000_NS6detail17trampoline_kernelINS0_14default_configENS1_25transform_config_selectorIjLb0EEEZNS1_14transform_implILb0ES3_S5_PjN6thrust23THRUST_200600_302600_NS6detail15normal_iteratorINS9_10device_ptrIjEEEENS0_8identityIjEEEE10hipError_tT2_T3_mT4_P12ihipStream_tbEUlT_E_NS1_11comp_targetILNS1_3genE2ELNS1_11target_archE906ELNS1_3gpuE6ELNS1_3repE0EEENS1_30default_config_static_selectorELNS0_4arch9wavefront6targetE0EEEvT1_ ; -- Begin function _ZN7rocprim17ROCPRIM_400000_NS6detail17trampoline_kernelINS0_14default_configENS1_25transform_config_selectorIjLb0EEEZNS1_14transform_implILb0ES3_S5_PjN6thrust23THRUST_200600_302600_NS6detail15normal_iteratorINS9_10device_ptrIjEEEENS0_8identityIjEEEE10hipError_tT2_T3_mT4_P12ihipStream_tbEUlT_E_NS1_11comp_targetILNS1_3genE2ELNS1_11target_archE906ELNS1_3gpuE6ELNS1_3repE0EEENS1_30default_config_static_selectorELNS0_4arch9wavefront6targetE0EEEvT1_
	.globl	_ZN7rocprim17ROCPRIM_400000_NS6detail17trampoline_kernelINS0_14default_configENS1_25transform_config_selectorIjLb0EEEZNS1_14transform_implILb0ES3_S5_PjN6thrust23THRUST_200600_302600_NS6detail15normal_iteratorINS9_10device_ptrIjEEEENS0_8identityIjEEEE10hipError_tT2_T3_mT4_P12ihipStream_tbEUlT_E_NS1_11comp_targetILNS1_3genE2ELNS1_11target_archE906ELNS1_3gpuE6ELNS1_3repE0EEENS1_30default_config_static_selectorELNS0_4arch9wavefront6targetE0EEEvT1_
	.p2align	8
	.type	_ZN7rocprim17ROCPRIM_400000_NS6detail17trampoline_kernelINS0_14default_configENS1_25transform_config_selectorIjLb0EEEZNS1_14transform_implILb0ES3_S5_PjN6thrust23THRUST_200600_302600_NS6detail15normal_iteratorINS9_10device_ptrIjEEEENS0_8identityIjEEEE10hipError_tT2_T3_mT4_P12ihipStream_tbEUlT_E_NS1_11comp_targetILNS1_3genE2ELNS1_11target_archE906ELNS1_3gpuE6ELNS1_3repE0EEENS1_30default_config_static_selectorELNS0_4arch9wavefront6targetE0EEEvT1_,@function
_ZN7rocprim17ROCPRIM_400000_NS6detail17trampoline_kernelINS0_14default_configENS1_25transform_config_selectorIjLb0EEEZNS1_14transform_implILb0ES3_S5_PjN6thrust23THRUST_200600_302600_NS6detail15normal_iteratorINS9_10device_ptrIjEEEENS0_8identityIjEEEE10hipError_tT2_T3_mT4_P12ihipStream_tbEUlT_E_NS1_11comp_targetILNS1_3genE2ELNS1_11target_archE906ELNS1_3gpuE6ELNS1_3repE0EEENS1_30default_config_static_selectorELNS0_4arch9wavefront6targetE0EEEvT1_: ; @_ZN7rocprim17ROCPRIM_400000_NS6detail17trampoline_kernelINS0_14default_configENS1_25transform_config_selectorIjLb0EEEZNS1_14transform_implILb0ES3_S5_PjN6thrust23THRUST_200600_302600_NS6detail15normal_iteratorINS9_10device_ptrIjEEEENS0_8identityIjEEEE10hipError_tT2_T3_mT4_P12ihipStream_tbEUlT_E_NS1_11comp_targetILNS1_3genE2ELNS1_11target_archE906ELNS1_3gpuE6ELNS1_3repE0EEENS1_30default_config_static_selectorELNS0_4arch9wavefront6targetE0EEEvT1_
; %bb.0:
	.section	.rodata,"a",@progbits
	.p2align	6, 0x0
	.amdhsa_kernel _ZN7rocprim17ROCPRIM_400000_NS6detail17trampoline_kernelINS0_14default_configENS1_25transform_config_selectorIjLb0EEEZNS1_14transform_implILb0ES3_S5_PjN6thrust23THRUST_200600_302600_NS6detail15normal_iteratorINS9_10device_ptrIjEEEENS0_8identityIjEEEE10hipError_tT2_T3_mT4_P12ihipStream_tbEUlT_E_NS1_11comp_targetILNS1_3genE2ELNS1_11target_archE906ELNS1_3gpuE6ELNS1_3repE0EEENS1_30default_config_static_selectorELNS0_4arch9wavefront6targetE0EEEvT1_
		.amdhsa_group_segment_fixed_size 0
		.amdhsa_private_segment_fixed_size 0
		.amdhsa_kernarg_size 40
		.amdhsa_user_sgpr_count 6
		.amdhsa_user_sgpr_private_segment_buffer 1
		.amdhsa_user_sgpr_dispatch_ptr 0
		.amdhsa_user_sgpr_queue_ptr 0
		.amdhsa_user_sgpr_kernarg_segment_ptr 1
		.amdhsa_user_sgpr_dispatch_id 0
		.amdhsa_user_sgpr_flat_scratch_init 0
		.amdhsa_user_sgpr_private_segment_size 0
		.amdhsa_wavefront_size32 1
		.amdhsa_uses_dynamic_stack 0
		.amdhsa_system_sgpr_private_segment_wavefront_offset 0
		.amdhsa_system_sgpr_workgroup_id_x 1
		.amdhsa_system_sgpr_workgroup_id_y 0
		.amdhsa_system_sgpr_workgroup_id_z 0
		.amdhsa_system_sgpr_workgroup_info 0
		.amdhsa_system_vgpr_workitem_id 0
		.amdhsa_next_free_vgpr 1
		.amdhsa_next_free_sgpr 1
		.amdhsa_reserve_vcc 0
		.amdhsa_reserve_flat_scratch 0
		.amdhsa_float_round_mode_32 0
		.amdhsa_float_round_mode_16_64 0
		.amdhsa_float_denorm_mode_32 3
		.amdhsa_float_denorm_mode_16_64 3
		.amdhsa_dx10_clamp 1
		.amdhsa_ieee_mode 1
		.amdhsa_fp16_overflow 0
		.amdhsa_workgroup_processor_mode 1
		.amdhsa_memory_ordered 1
		.amdhsa_forward_progress 1
		.amdhsa_shared_vgpr_count 0
		.amdhsa_exception_fp_ieee_invalid_op 0
		.amdhsa_exception_fp_denorm_src 0
		.amdhsa_exception_fp_ieee_div_zero 0
		.amdhsa_exception_fp_ieee_overflow 0
		.amdhsa_exception_fp_ieee_underflow 0
		.amdhsa_exception_fp_ieee_inexact 0
		.amdhsa_exception_int_div_zero 0
	.end_amdhsa_kernel
	.section	.text._ZN7rocprim17ROCPRIM_400000_NS6detail17trampoline_kernelINS0_14default_configENS1_25transform_config_selectorIjLb0EEEZNS1_14transform_implILb0ES3_S5_PjN6thrust23THRUST_200600_302600_NS6detail15normal_iteratorINS9_10device_ptrIjEEEENS0_8identityIjEEEE10hipError_tT2_T3_mT4_P12ihipStream_tbEUlT_E_NS1_11comp_targetILNS1_3genE2ELNS1_11target_archE906ELNS1_3gpuE6ELNS1_3repE0EEENS1_30default_config_static_selectorELNS0_4arch9wavefront6targetE0EEEvT1_,"axG",@progbits,_ZN7rocprim17ROCPRIM_400000_NS6detail17trampoline_kernelINS0_14default_configENS1_25transform_config_selectorIjLb0EEEZNS1_14transform_implILb0ES3_S5_PjN6thrust23THRUST_200600_302600_NS6detail15normal_iteratorINS9_10device_ptrIjEEEENS0_8identityIjEEEE10hipError_tT2_T3_mT4_P12ihipStream_tbEUlT_E_NS1_11comp_targetILNS1_3genE2ELNS1_11target_archE906ELNS1_3gpuE6ELNS1_3repE0EEENS1_30default_config_static_selectorELNS0_4arch9wavefront6targetE0EEEvT1_,comdat
.Lfunc_end77:
	.size	_ZN7rocprim17ROCPRIM_400000_NS6detail17trampoline_kernelINS0_14default_configENS1_25transform_config_selectorIjLb0EEEZNS1_14transform_implILb0ES3_S5_PjN6thrust23THRUST_200600_302600_NS6detail15normal_iteratorINS9_10device_ptrIjEEEENS0_8identityIjEEEE10hipError_tT2_T3_mT4_P12ihipStream_tbEUlT_E_NS1_11comp_targetILNS1_3genE2ELNS1_11target_archE906ELNS1_3gpuE6ELNS1_3repE0EEENS1_30default_config_static_selectorELNS0_4arch9wavefront6targetE0EEEvT1_, .Lfunc_end77-_ZN7rocprim17ROCPRIM_400000_NS6detail17trampoline_kernelINS0_14default_configENS1_25transform_config_selectorIjLb0EEEZNS1_14transform_implILb0ES3_S5_PjN6thrust23THRUST_200600_302600_NS6detail15normal_iteratorINS9_10device_ptrIjEEEENS0_8identityIjEEEE10hipError_tT2_T3_mT4_P12ihipStream_tbEUlT_E_NS1_11comp_targetILNS1_3genE2ELNS1_11target_archE906ELNS1_3gpuE6ELNS1_3repE0EEENS1_30default_config_static_selectorELNS0_4arch9wavefront6targetE0EEEvT1_
                                        ; -- End function
	.set _ZN7rocprim17ROCPRIM_400000_NS6detail17trampoline_kernelINS0_14default_configENS1_25transform_config_selectorIjLb0EEEZNS1_14transform_implILb0ES3_S5_PjN6thrust23THRUST_200600_302600_NS6detail15normal_iteratorINS9_10device_ptrIjEEEENS0_8identityIjEEEE10hipError_tT2_T3_mT4_P12ihipStream_tbEUlT_E_NS1_11comp_targetILNS1_3genE2ELNS1_11target_archE906ELNS1_3gpuE6ELNS1_3repE0EEENS1_30default_config_static_selectorELNS0_4arch9wavefront6targetE0EEEvT1_.num_vgpr, 0
	.set _ZN7rocprim17ROCPRIM_400000_NS6detail17trampoline_kernelINS0_14default_configENS1_25transform_config_selectorIjLb0EEEZNS1_14transform_implILb0ES3_S5_PjN6thrust23THRUST_200600_302600_NS6detail15normal_iteratorINS9_10device_ptrIjEEEENS0_8identityIjEEEE10hipError_tT2_T3_mT4_P12ihipStream_tbEUlT_E_NS1_11comp_targetILNS1_3genE2ELNS1_11target_archE906ELNS1_3gpuE6ELNS1_3repE0EEENS1_30default_config_static_selectorELNS0_4arch9wavefront6targetE0EEEvT1_.num_agpr, 0
	.set _ZN7rocprim17ROCPRIM_400000_NS6detail17trampoline_kernelINS0_14default_configENS1_25transform_config_selectorIjLb0EEEZNS1_14transform_implILb0ES3_S5_PjN6thrust23THRUST_200600_302600_NS6detail15normal_iteratorINS9_10device_ptrIjEEEENS0_8identityIjEEEE10hipError_tT2_T3_mT4_P12ihipStream_tbEUlT_E_NS1_11comp_targetILNS1_3genE2ELNS1_11target_archE906ELNS1_3gpuE6ELNS1_3repE0EEENS1_30default_config_static_selectorELNS0_4arch9wavefront6targetE0EEEvT1_.numbered_sgpr, 0
	.set _ZN7rocprim17ROCPRIM_400000_NS6detail17trampoline_kernelINS0_14default_configENS1_25transform_config_selectorIjLb0EEEZNS1_14transform_implILb0ES3_S5_PjN6thrust23THRUST_200600_302600_NS6detail15normal_iteratorINS9_10device_ptrIjEEEENS0_8identityIjEEEE10hipError_tT2_T3_mT4_P12ihipStream_tbEUlT_E_NS1_11comp_targetILNS1_3genE2ELNS1_11target_archE906ELNS1_3gpuE6ELNS1_3repE0EEENS1_30default_config_static_selectorELNS0_4arch9wavefront6targetE0EEEvT1_.num_named_barrier, 0
	.set _ZN7rocprim17ROCPRIM_400000_NS6detail17trampoline_kernelINS0_14default_configENS1_25transform_config_selectorIjLb0EEEZNS1_14transform_implILb0ES3_S5_PjN6thrust23THRUST_200600_302600_NS6detail15normal_iteratorINS9_10device_ptrIjEEEENS0_8identityIjEEEE10hipError_tT2_T3_mT4_P12ihipStream_tbEUlT_E_NS1_11comp_targetILNS1_3genE2ELNS1_11target_archE906ELNS1_3gpuE6ELNS1_3repE0EEENS1_30default_config_static_selectorELNS0_4arch9wavefront6targetE0EEEvT1_.private_seg_size, 0
	.set _ZN7rocprim17ROCPRIM_400000_NS6detail17trampoline_kernelINS0_14default_configENS1_25transform_config_selectorIjLb0EEEZNS1_14transform_implILb0ES3_S5_PjN6thrust23THRUST_200600_302600_NS6detail15normal_iteratorINS9_10device_ptrIjEEEENS0_8identityIjEEEE10hipError_tT2_T3_mT4_P12ihipStream_tbEUlT_E_NS1_11comp_targetILNS1_3genE2ELNS1_11target_archE906ELNS1_3gpuE6ELNS1_3repE0EEENS1_30default_config_static_selectorELNS0_4arch9wavefront6targetE0EEEvT1_.uses_vcc, 0
	.set _ZN7rocprim17ROCPRIM_400000_NS6detail17trampoline_kernelINS0_14default_configENS1_25transform_config_selectorIjLb0EEEZNS1_14transform_implILb0ES3_S5_PjN6thrust23THRUST_200600_302600_NS6detail15normal_iteratorINS9_10device_ptrIjEEEENS0_8identityIjEEEE10hipError_tT2_T3_mT4_P12ihipStream_tbEUlT_E_NS1_11comp_targetILNS1_3genE2ELNS1_11target_archE906ELNS1_3gpuE6ELNS1_3repE0EEENS1_30default_config_static_selectorELNS0_4arch9wavefront6targetE0EEEvT1_.uses_flat_scratch, 0
	.set _ZN7rocprim17ROCPRIM_400000_NS6detail17trampoline_kernelINS0_14default_configENS1_25transform_config_selectorIjLb0EEEZNS1_14transform_implILb0ES3_S5_PjN6thrust23THRUST_200600_302600_NS6detail15normal_iteratorINS9_10device_ptrIjEEEENS0_8identityIjEEEE10hipError_tT2_T3_mT4_P12ihipStream_tbEUlT_E_NS1_11comp_targetILNS1_3genE2ELNS1_11target_archE906ELNS1_3gpuE6ELNS1_3repE0EEENS1_30default_config_static_selectorELNS0_4arch9wavefront6targetE0EEEvT1_.has_dyn_sized_stack, 0
	.set _ZN7rocprim17ROCPRIM_400000_NS6detail17trampoline_kernelINS0_14default_configENS1_25transform_config_selectorIjLb0EEEZNS1_14transform_implILb0ES3_S5_PjN6thrust23THRUST_200600_302600_NS6detail15normal_iteratorINS9_10device_ptrIjEEEENS0_8identityIjEEEE10hipError_tT2_T3_mT4_P12ihipStream_tbEUlT_E_NS1_11comp_targetILNS1_3genE2ELNS1_11target_archE906ELNS1_3gpuE6ELNS1_3repE0EEENS1_30default_config_static_selectorELNS0_4arch9wavefront6targetE0EEEvT1_.has_recursion, 0
	.set _ZN7rocprim17ROCPRIM_400000_NS6detail17trampoline_kernelINS0_14default_configENS1_25transform_config_selectorIjLb0EEEZNS1_14transform_implILb0ES3_S5_PjN6thrust23THRUST_200600_302600_NS6detail15normal_iteratorINS9_10device_ptrIjEEEENS0_8identityIjEEEE10hipError_tT2_T3_mT4_P12ihipStream_tbEUlT_E_NS1_11comp_targetILNS1_3genE2ELNS1_11target_archE906ELNS1_3gpuE6ELNS1_3repE0EEENS1_30default_config_static_selectorELNS0_4arch9wavefront6targetE0EEEvT1_.has_indirect_call, 0
	.section	.AMDGPU.csdata,"",@progbits
; Kernel info:
; codeLenInByte = 0
; TotalNumSgprs: 0
; NumVgprs: 0
; ScratchSize: 0
; MemoryBound: 0
; FloatMode: 240
; IeeeMode: 1
; LDSByteSize: 0 bytes/workgroup (compile time only)
; SGPRBlocks: 0
; VGPRBlocks: 0
; NumSGPRsForWavesPerEU: 1
; NumVGPRsForWavesPerEU: 1
; Occupancy: 16
; WaveLimiterHint : 0
; COMPUTE_PGM_RSRC2:SCRATCH_EN: 0
; COMPUTE_PGM_RSRC2:USER_SGPR: 6
; COMPUTE_PGM_RSRC2:TRAP_HANDLER: 0
; COMPUTE_PGM_RSRC2:TGID_X_EN: 1
; COMPUTE_PGM_RSRC2:TGID_Y_EN: 0
; COMPUTE_PGM_RSRC2:TGID_Z_EN: 0
; COMPUTE_PGM_RSRC2:TIDIG_COMP_CNT: 0
	.section	.text._ZN7rocprim17ROCPRIM_400000_NS6detail17trampoline_kernelINS0_14default_configENS1_25transform_config_selectorIjLb0EEEZNS1_14transform_implILb0ES3_S5_PjN6thrust23THRUST_200600_302600_NS6detail15normal_iteratorINS9_10device_ptrIjEEEENS0_8identityIjEEEE10hipError_tT2_T3_mT4_P12ihipStream_tbEUlT_E_NS1_11comp_targetILNS1_3genE10ELNS1_11target_archE1201ELNS1_3gpuE5ELNS1_3repE0EEENS1_30default_config_static_selectorELNS0_4arch9wavefront6targetE0EEEvT1_,"axG",@progbits,_ZN7rocprim17ROCPRIM_400000_NS6detail17trampoline_kernelINS0_14default_configENS1_25transform_config_selectorIjLb0EEEZNS1_14transform_implILb0ES3_S5_PjN6thrust23THRUST_200600_302600_NS6detail15normal_iteratorINS9_10device_ptrIjEEEENS0_8identityIjEEEE10hipError_tT2_T3_mT4_P12ihipStream_tbEUlT_E_NS1_11comp_targetILNS1_3genE10ELNS1_11target_archE1201ELNS1_3gpuE5ELNS1_3repE0EEENS1_30default_config_static_selectorELNS0_4arch9wavefront6targetE0EEEvT1_,comdat
	.protected	_ZN7rocprim17ROCPRIM_400000_NS6detail17trampoline_kernelINS0_14default_configENS1_25transform_config_selectorIjLb0EEEZNS1_14transform_implILb0ES3_S5_PjN6thrust23THRUST_200600_302600_NS6detail15normal_iteratorINS9_10device_ptrIjEEEENS0_8identityIjEEEE10hipError_tT2_T3_mT4_P12ihipStream_tbEUlT_E_NS1_11comp_targetILNS1_3genE10ELNS1_11target_archE1201ELNS1_3gpuE5ELNS1_3repE0EEENS1_30default_config_static_selectorELNS0_4arch9wavefront6targetE0EEEvT1_ ; -- Begin function _ZN7rocprim17ROCPRIM_400000_NS6detail17trampoline_kernelINS0_14default_configENS1_25transform_config_selectorIjLb0EEEZNS1_14transform_implILb0ES3_S5_PjN6thrust23THRUST_200600_302600_NS6detail15normal_iteratorINS9_10device_ptrIjEEEENS0_8identityIjEEEE10hipError_tT2_T3_mT4_P12ihipStream_tbEUlT_E_NS1_11comp_targetILNS1_3genE10ELNS1_11target_archE1201ELNS1_3gpuE5ELNS1_3repE0EEENS1_30default_config_static_selectorELNS0_4arch9wavefront6targetE0EEEvT1_
	.globl	_ZN7rocprim17ROCPRIM_400000_NS6detail17trampoline_kernelINS0_14default_configENS1_25transform_config_selectorIjLb0EEEZNS1_14transform_implILb0ES3_S5_PjN6thrust23THRUST_200600_302600_NS6detail15normal_iteratorINS9_10device_ptrIjEEEENS0_8identityIjEEEE10hipError_tT2_T3_mT4_P12ihipStream_tbEUlT_E_NS1_11comp_targetILNS1_3genE10ELNS1_11target_archE1201ELNS1_3gpuE5ELNS1_3repE0EEENS1_30default_config_static_selectorELNS0_4arch9wavefront6targetE0EEEvT1_
	.p2align	8
	.type	_ZN7rocprim17ROCPRIM_400000_NS6detail17trampoline_kernelINS0_14default_configENS1_25transform_config_selectorIjLb0EEEZNS1_14transform_implILb0ES3_S5_PjN6thrust23THRUST_200600_302600_NS6detail15normal_iteratorINS9_10device_ptrIjEEEENS0_8identityIjEEEE10hipError_tT2_T3_mT4_P12ihipStream_tbEUlT_E_NS1_11comp_targetILNS1_3genE10ELNS1_11target_archE1201ELNS1_3gpuE5ELNS1_3repE0EEENS1_30default_config_static_selectorELNS0_4arch9wavefront6targetE0EEEvT1_,@function
_ZN7rocprim17ROCPRIM_400000_NS6detail17trampoline_kernelINS0_14default_configENS1_25transform_config_selectorIjLb0EEEZNS1_14transform_implILb0ES3_S5_PjN6thrust23THRUST_200600_302600_NS6detail15normal_iteratorINS9_10device_ptrIjEEEENS0_8identityIjEEEE10hipError_tT2_T3_mT4_P12ihipStream_tbEUlT_E_NS1_11comp_targetILNS1_3genE10ELNS1_11target_archE1201ELNS1_3gpuE5ELNS1_3repE0EEENS1_30default_config_static_selectorELNS0_4arch9wavefront6targetE0EEEvT1_: ; @_ZN7rocprim17ROCPRIM_400000_NS6detail17trampoline_kernelINS0_14default_configENS1_25transform_config_selectorIjLb0EEEZNS1_14transform_implILb0ES3_S5_PjN6thrust23THRUST_200600_302600_NS6detail15normal_iteratorINS9_10device_ptrIjEEEENS0_8identityIjEEEE10hipError_tT2_T3_mT4_P12ihipStream_tbEUlT_E_NS1_11comp_targetILNS1_3genE10ELNS1_11target_archE1201ELNS1_3gpuE5ELNS1_3repE0EEENS1_30default_config_static_selectorELNS0_4arch9wavefront6targetE0EEEvT1_
; %bb.0:
	.section	.rodata,"a",@progbits
	.p2align	6, 0x0
	.amdhsa_kernel _ZN7rocprim17ROCPRIM_400000_NS6detail17trampoline_kernelINS0_14default_configENS1_25transform_config_selectorIjLb0EEEZNS1_14transform_implILb0ES3_S5_PjN6thrust23THRUST_200600_302600_NS6detail15normal_iteratorINS9_10device_ptrIjEEEENS0_8identityIjEEEE10hipError_tT2_T3_mT4_P12ihipStream_tbEUlT_E_NS1_11comp_targetILNS1_3genE10ELNS1_11target_archE1201ELNS1_3gpuE5ELNS1_3repE0EEENS1_30default_config_static_selectorELNS0_4arch9wavefront6targetE0EEEvT1_
		.amdhsa_group_segment_fixed_size 0
		.amdhsa_private_segment_fixed_size 0
		.amdhsa_kernarg_size 40
		.amdhsa_user_sgpr_count 6
		.amdhsa_user_sgpr_private_segment_buffer 1
		.amdhsa_user_sgpr_dispatch_ptr 0
		.amdhsa_user_sgpr_queue_ptr 0
		.amdhsa_user_sgpr_kernarg_segment_ptr 1
		.amdhsa_user_sgpr_dispatch_id 0
		.amdhsa_user_sgpr_flat_scratch_init 0
		.amdhsa_user_sgpr_private_segment_size 0
		.amdhsa_wavefront_size32 1
		.amdhsa_uses_dynamic_stack 0
		.amdhsa_system_sgpr_private_segment_wavefront_offset 0
		.amdhsa_system_sgpr_workgroup_id_x 1
		.amdhsa_system_sgpr_workgroup_id_y 0
		.amdhsa_system_sgpr_workgroup_id_z 0
		.amdhsa_system_sgpr_workgroup_info 0
		.amdhsa_system_vgpr_workitem_id 0
		.amdhsa_next_free_vgpr 1
		.amdhsa_next_free_sgpr 1
		.amdhsa_reserve_vcc 0
		.amdhsa_reserve_flat_scratch 0
		.amdhsa_float_round_mode_32 0
		.amdhsa_float_round_mode_16_64 0
		.amdhsa_float_denorm_mode_32 3
		.amdhsa_float_denorm_mode_16_64 3
		.amdhsa_dx10_clamp 1
		.amdhsa_ieee_mode 1
		.amdhsa_fp16_overflow 0
		.amdhsa_workgroup_processor_mode 1
		.amdhsa_memory_ordered 1
		.amdhsa_forward_progress 1
		.amdhsa_shared_vgpr_count 0
		.amdhsa_exception_fp_ieee_invalid_op 0
		.amdhsa_exception_fp_denorm_src 0
		.amdhsa_exception_fp_ieee_div_zero 0
		.amdhsa_exception_fp_ieee_overflow 0
		.amdhsa_exception_fp_ieee_underflow 0
		.amdhsa_exception_fp_ieee_inexact 0
		.amdhsa_exception_int_div_zero 0
	.end_amdhsa_kernel
	.section	.text._ZN7rocprim17ROCPRIM_400000_NS6detail17trampoline_kernelINS0_14default_configENS1_25transform_config_selectorIjLb0EEEZNS1_14transform_implILb0ES3_S5_PjN6thrust23THRUST_200600_302600_NS6detail15normal_iteratorINS9_10device_ptrIjEEEENS0_8identityIjEEEE10hipError_tT2_T3_mT4_P12ihipStream_tbEUlT_E_NS1_11comp_targetILNS1_3genE10ELNS1_11target_archE1201ELNS1_3gpuE5ELNS1_3repE0EEENS1_30default_config_static_selectorELNS0_4arch9wavefront6targetE0EEEvT1_,"axG",@progbits,_ZN7rocprim17ROCPRIM_400000_NS6detail17trampoline_kernelINS0_14default_configENS1_25transform_config_selectorIjLb0EEEZNS1_14transform_implILb0ES3_S5_PjN6thrust23THRUST_200600_302600_NS6detail15normal_iteratorINS9_10device_ptrIjEEEENS0_8identityIjEEEE10hipError_tT2_T3_mT4_P12ihipStream_tbEUlT_E_NS1_11comp_targetILNS1_3genE10ELNS1_11target_archE1201ELNS1_3gpuE5ELNS1_3repE0EEENS1_30default_config_static_selectorELNS0_4arch9wavefront6targetE0EEEvT1_,comdat
.Lfunc_end78:
	.size	_ZN7rocprim17ROCPRIM_400000_NS6detail17trampoline_kernelINS0_14default_configENS1_25transform_config_selectorIjLb0EEEZNS1_14transform_implILb0ES3_S5_PjN6thrust23THRUST_200600_302600_NS6detail15normal_iteratorINS9_10device_ptrIjEEEENS0_8identityIjEEEE10hipError_tT2_T3_mT4_P12ihipStream_tbEUlT_E_NS1_11comp_targetILNS1_3genE10ELNS1_11target_archE1201ELNS1_3gpuE5ELNS1_3repE0EEENS1_30default_config_static_selectorELNS0_4arch9wavefront6targetE0EEEvT1_, .Lfunc_end78-_ZN7rocprim17ROCPRIM_400000_NS6detail17trampoline_kernelINS0_14default_configENS1_25transform_config_selectorIjLb0EEEZNS1_14transform_implILb0ES3_S5_PjN6thrust23THRUST_200600_302600_NS6detail15normal_iteratorINS9_10device_ptrIjEEEENS0_8identityIjEEEE10hipError_tT2_T3_mT4_P12ihipStream_tbEUlT_E_NS1_11comp_targetILNS1_3genE10ELNS1_11target_archE1201ELNS1_3gpuE5ELNS1_3repE0EEENS1_30default_config_static_selectorELNS0_4arch9wavefront6targetE0EEEvT1_
                                        ; -- End function
	.set _ZN7rocprim17ROCPRIM_400000_NS6detail17trampoline_kernelINS0_14default_configENS1_25transform_config_selectorIjLb0EEEZNS1_14transform_implILb0ES3_S5_PjN6thrust23THRUST_200600_302600_NS6detail15normal_iteratorINS9_10device_ptrIjEEEENS0_8identityIjEEEE10hipError_tT2_T3_mT4_P12ihipStream_tbEUlT_E_NS1_11comp_targetILNS1_3genE10ELNS1_11target_archE1201ELNS1_3gpuE5ELNS1_3repE0EEENS1_30default_config_static_selectorELNS0_4arch9wavefront6targetE0EEEvT1_.num_vgpr, 0
	.set _ZN7rocprim17ROCPRIM_400000_NS6detail17trampoline_kernelINS0_14default_configENS1_25transform_config_selectorIjLb0EEEZNS1_14transform_implILb0ES3_S5_PjN6thrust23THRUST_200600_302600_NS6detail15normal_iteratorINS9_10device_ptrIjEEEENS0_8identityIjEEEE10hipError_tT2_T3_mT4_P12ihipStream_tbEUlT_E_NS1_11comp_targetILNS1_3genE10ELNS1_11target_archE1201ELNS1_3gpuE5ELNS1_3repE0EEENS1_30default_config_static_selectorELNS0_4arch9wavefront6targetE0EEEvT1_.num_agpr, 0
	.set _ZN7rocprim17ROCPRIM_400000_NS6detail17trampoline_kernelINS0_14default_configENS1_25transform_config_selectorIjLb0EEEZNS1_14transform_implILb0ES3_S5_PjN6thrust23THRUST_200600_302600_NS6detail15normal_iteratorINS9_10device_ptrIjEEEENS0_8identityIjEEEE10hipError_tT2_T3_mT4_P12ihipStream_tbEUlT_E_NS1_11comp_targetILNS1_3genE10ELNS1_11target_archE1201ELNS1_3gpuE5ELNS1_3repE0EEENS1_30default_config_static_selectorELNS0_4arch9wavefront6targetE0EEEvT1_.numbered_sgpr, 0
	.set _ZN7rocprim17ROCPRIM_400000_NS6detail17trampoline_kernelINS0_14default_configENS1_25transform_config_selectorIjLb0EEEZNS1_14transform_implILb0ES3_S5_PjN6thrust23THRUST_200600_302600_NS6detail15normal_iteratorINS9_10device_ptrIjEEEENS0_8identityIjEEEE10hipError_tT2_T3_mT4_P12ihipStream_tbEUlT_E_NS1_11comp_targetILNS1_3genE10ELNS1_11target_archE1201ELNS1_3gpuE5ELNS1_3repE0EEENS1_30default_config_static_selectorELNS0_4arch9wavefront6targetE0EEEvT1_.num_named_barrier, 0
	.set _ZN7rocprim17ROCPRIM_400000_NS6detail17trampoline_kernelINS0_14default_configENS1_25transform_config_selectorIjLb0EEEZNS1_14transform_implILb0ES3_S5_PjN6thrust23THRUST_200600_302600_NS6detail15normal_iteratorINS9_10device_ptrIjEEEENS0_8identityIjEEEE10hipError_tT2_T3_mT4_P12ihipStream_tbEUlT_E_NS1_11comp_targetILNS1_3genE10ELNS1_11target_archE1201ELNS1_3gpuE5ELNS1_3repE0EEENS1_30default_config_static_selectorELNS0_4arch9wavefront6targetE0EEEvT1_.private_seg_size, 0
	.set _ZN7rocprim17ROCPRIM_400000_NS6detail17trampoline_kernelINS0_14default_configENS1_25transform_config_selectorIjLb0EEEZNS1_14transform_implILb0ES3_S5_PjN6thrust23THRUST_200600_302600_NS6detail15normal_iteratorINS9_10device_ptrIjEEEENS0_8identityIjEEEE10hipError_tT2_T3_mT4_P12ihipStream_tbEUlT_E_NS1_11comp_targetILNS1_3genE10ELNS1_11target_archE1201ELNS1_3gpuE5ELNS1_3repE0EEENS1_30default_config_static_selectorELNS0_4arch9wavefront6targetE0EEEvT1_.uses_vcc, 0
	.set _ZN7rocprim17ROCPRIM_400000_NS6detail17trampoline_kernelINS0_14default_configENS1_25transform_config_selectorIjLb0EEEZNS1_14transform_implILb0ES3_S5_PjN6thrust23THRUST_200600_302600_NS6detail15normal_iteratorINS9_10device_ptrIjEEEENS0_8identityIjEEEE10hipError_tT2_T3_mT4_P12ihipStream_tbEUlT_E_NS1_11comp_targetILNS1_3genE10ELNS1_11target_archE1201ELNS1_3gpuE5ELNS1_3repE0EEENS1_30default_config_static_selectorELNS0_4arch9wavefront6targetE0EEEvT1_.uses_flat_scratch, 0
	.set _ZN7rocprim17ROCPRIM_400000_NS6detail17trampoline_kernelINS0_14default_configENS1_25transform_config_selectorIjLb0EEEZNS1_14transform_implILb0ES3_S5_PjN6thrust23THRUST_200600_302600_NS6detail15normal_iteratorINS9_10device_ptrIjEEEENS0_8identityIjEEEE10hipError_tT2_T3_mT4_P12ihipStream_tbEUlT_E_NS1_11comp_targetILNS1_3genE10ELNS1_11target_archE1201ELNS1_3gpuE5ELNS1_3repE0EEENS1_30default_config_static_selectorELNS0_4arch9wavefront6targetE0EEEvT1_.has_dyn_sized_stack, 0
	.set _ZN7rocprim17ROCPRIM_400000_NS6detail17trampoline_kernelINS0_14default_configENS1_25transform_config_selectorIjLb0EEEZNS1_14transform_implILb0ES3_S5_PjN6thrust23THRUST_200600_302600_NS6detail15normal_iteratorINS9_10device_ptrIjEEEENS0_8identityIjEEEE10hipError_tT2_T3_mT4_P12ihipStream_tbEUlT_E_NS1_11comp_targetILNS1_3genE10ELNS1_11target_archE1201ELNS1_3gpuE5ELNS1_3repE0EEENS1_30default_config_static_selectorELNS0_4arch9wavefront6targetE0EEEvT1_.has_recursion, 0
	.set _ZN7rocprim17ROCPRIM_400000_NS6detail17trampoline_kernelINS0_14default_configENS1_25transform_config_selectorIjLb0EEEZNS1_14transform_implILb0ES3_S5_PjN6thrust23THRUST_200600_302600_NS6detail15normal_iteratorINS9_10device_ptrIjEEEENS0_8identityIjEEEE10hipError_tT2_T3_mT4_P12ihipStream_tbEUlT_E_NS1_11comp_targetILNS1_3genE10ELNS1_11target_archE1201ELNS1_3gpuE5ELNS1_3repE0EEENS1_30default_config_static_selectorELNS0_4arch9wavefront6targetE0EEEvT1_.has_indirect_call, 0
	.section	.AMDGPU.csdata,"",@progbits
; Kernel info:
; codeLenInByte = 0
; TotalNumSgprs: 0
; NumVgprs: 0
; ScratchSize: 0
; MemoryBound: 0
; FloatMode: 240
; IeeeMode: 1
; LDSByteSize: 0 bytes/workgroup (compile time only)
; SGPRBlocks: 0
; VGPRBlocks: 0
; NumSGPRsForWavesPerEU: 1
; NumVGPRsForWavesPerEU: 1
; Occupancy: 16
; WaveLimiterHint : 0
; COMPUTE_PGM_RSRC2:SCRATCH_EN: 0
; COMPUTE_PGM_RSRC2:USER_SGPR: 6
; COMPUTE_PGM_RSRC2:TRAP_HANDLER: 0
; COMPUTE_PGM_RSRC2:TGID_X_EN: 1
; COMPUTE_PGM_RSRC2:TGID_Y_EN: 0
; COMPUTE_PGM_RSRC2:TGID_Z_EN: 0
; COMPUTE_PGM_RSRC2:TIDIG_COMP_CNT: 0
	.section	.text._ZN7rocprim17ROCPRIM_400000_NS6detail17trampoline_kernelINS0_14default_configENS1_25transform_config_selectorIjLb0EEEZNS1_14transform_implILb0ES3_S5_PjN6thrust23THRUST_200600_302600_NS6detail15normal_iteratorINS9_10device_ptrIjEEEENS0_8identityIjEEEE10hipError_tT2_T3_mT4_P12ihipStream_tbEUlT_E_NS1_11comp_targetILNS1_3genE10ELNS1_11target_archE1200ELNS1_3gpuE4ELNS1_3repE0EEENS1_30default_config_static_selectorELNS0_4arch9wavefront6targetE0EEEvT1_,"axG",@progbits,_ZN7rocprim17ROCPRIM_400000_NS6detail17trampoline_kernelINS0_14default_configENS1_25transform_config_selectorIjLb0EEEZNS1_14transform_implILb0ES3_S5_PjN6thrust23THRUST_200600_302600_NS6detail15normal_iteratorINS9_10device_ptrIjEEEENS0_8identityIjEEEE10hipError_tT2_T3_mT4_P12ihipStream_tbEUlT_E_NS1_11comp_targetILNS1_3genE10ELNS1_11target_archE1200ELNS1_3gpuE4ELNS1_3repE0EEENS1_30default_config_static_selectorELNS0_4arch9wavefront6targetE0EEEvT1_,comdat
	.protected	_ZN7rocprim17ROCPRIM_400000_NS6detail17trampoline_kernelINS0_14default_configENS1_25transform_config_selectorIjLb0EEEZNS1_14transform_implILb0ES3_S5_PjN6thrust23THRUST_200600_302600_NS6detail15normal_iteratorINS9_10device_ptrIjEEEENS0_8identityIjEEEE10hipError_tT2_T3_mT4_P12ihipStream_tbEUlT_E_NS1_11comp_targetILNS1_3genE10ELNS1_11target_archE1200ELNS1_3gpuE4ELNS1_3repE0EEENS1_30default_config_static_selectorELNS0_4arch9wavefront6targetE0EEEvT1_ ; -- Begin function _ZN7rocprim17ROCPRIM_400000_NS6detail17trampoline_kernelINS0_14default_configENS1_25transform_config_selectorIjLb0EEEZNS1_14transform_implILb0ES3_S5_PjN6thrust23THRUST_200600_302600_NS6detail15normal_iteratorINS9_10device_ptrIjEEEENS0_8identityIjEEEE10hipError_tT2_T3_mT4_P12ihipStream_tbEUlT_E_NS1_11comp_targetILNS1_3genE10ELNS1_11target_archE1200ELNS1_3gpuE4ELNS1_3repE0EEENS1_30default_config_static_selectorELNS0_4arch9wavefront6targetE0EEEvT1_
	.globl	_ZN7rocprim17ROCPRIM_400000_NS6detail17trampoline_kernelINS0_14default_configENS1_25transform_config_selectorIjLb0EEEZNS1_14transform_implILb0ES3_S5_PjN6thrust23THRUST_200600_302600_NS6detail15normal_iteratorINS9_10device_ptrIjEEEENS0_8identityIjEEEE10hipError_tT2_T3_mT4_P12ihipStream_tbEUlT_E_NS1_11comp_targetILNS1_3genE10ELNS1_11target_archE1200ELNS1_3gpuE4ELNS1_3repE0EEENS1_30default_config_static_selectorELNS0_4arch9wavefront6targetE0EEEvT1_
	.p2align	8
	.type	_ZN7rocprim17ROCPRIM_400000_NS6detail17trampoline_kernelINS0_14default_configENS1_25transform_config_selectorIjLb0EEEZNS1_14transform_implILb0ES3_S5_PjN6thrust23THRUST_200600_302600_NS6detail15normal_iteratorINS9_10device_ptrIjEEEENS0_8identityIjEEEE10hipError_tT2_T3_mT4_P12ihipStream_tbEUlT_E_NS1_11comp_targetILNS1_3genE10ELNS1_11target_archE1200ELNS1_3gpuE4ELNS1_3repE0EEENS1_30default_config_static_selectorELNS0_4arch9wavefront6targetE0EEEvT1_,@function
_ZN7rocprim17ROCPRIM_400000_NS6detail17trampoline_kernelINS0_14default_configENS1_25transform_config_selectorIjLb0EEEZNS1_14transform_implILb0ES3_S5_PjN6thrust23THRUST_200600_302600_NS6detail15normal_iteratorINS9_10device_ptrIjEEEENS0_8identityIjEEEE10hipError_tT2_T3_mT4_P12ihipStream_tbEUlT_E_NS1_11comp_targetILNS1_3genE10ELNS1_11target_archE1200ELNS1_3gpuE4ELNS1_3repE0EEENS1_30default_config_static_selectorELNS0_4arch9wavefront6targetE0EEEvT1_: ; @_ZN7rocprim17ROCPRIM_400000_NS6detail17trampoline_kernelINS0_14default_configENS1_25transform_config_selectorIjLb0EEEZNS1_14transform_implILb0ES3_S5_PjN6thrust23THRUST_200600_302600_NS6detail15normal_iteratorINS9_10device_ptrIjEEEENS0_8identityIjEEEE10hipError_tT2_T3_mT4_P12ihipStream_tbEUlT_E_NS1_11comp_targetILNS1_3genE10ELNS1_11target_archE1200ELNS1_3gpuE4ELNS1_3repE0EEENS1_30default_config_static_selectorELNS0_4arch9wavefront6targetE0EEEvT1_
; %bb.0:
	.section	.rodata,"a",@progbits
	.p2align	6, 0x0
	.amdhsa_kernel _ZN7rocprim17ROCPRIM_400000_NS6detail17trampoline_kernelINS0_14default_configENS1_25transform_config_selectorIjLb0EEEZNS1_14transform_implILb0ES3_S5_PjN6thrust23THRUST_200600_302600_NS6detail15normal_iteratorINS9_10device_ptrIjEEEENS0_8identityIjEEEE10hipError_tT2_T3_mT4_P12ihipStream_tbEUlT_E_NS1_11comp_targetILNS1_3genE10ELNS1_11target_archE1200ELNS1_3gpuE4ELNS1_3repE0EEENS1_30default_config_static_selectorELNS0_4arch9wavefront6targetE0EEEvT1_
		.amdhsa_group_segment_fixed_size 0
		.amdhsa_private_segment_fixed_size 0
		.amdhsa_kernarg_size 40
		.amdhsa_user_sgpr_count 6
		.amdhsa_user_sgpr_private_segment_buffer 1
		.amdhsa_user_sgpr_dispatch_ptr 0
		.amdhsa_user_sgpr_queue_ptr 0
		.amdhsa_user_sgpr_kernarg_segment_ptr 1
		.amdhsa_user_sgpr_dispatch_id 0
		.amdhsa_user_sgpr_flat_scratch_init 0
		.amdhsa_user_sgpr_private_segment_size 0
		.amdhsa_wavefront_size32 1
		.amdhsa_uses_dynamic_stack 0
		.amdhsa_system_sgpr_private_segment_wavefront_offset 0
		.amdhsa_system_sgpr_workgroup_id_x 1
		.amdhsa_system_sgpr_workgroup_id_y 0
		.amdhsa_system_sgpr_workgroup_id_z 0
		.amdhsa_system_sgpr_workgroup_info 0
		.amdhsa_system_vgpr_workitem_id 0
		.amdhsa_next_free_vgpr 1
		.amdhsa_next_free_sgpr 1
		.amdhsa_reserve_vcc 0
		.amdhsa_reserve_flat_scratch 0
		.amdhsa_float_round_mode_32 0
		.amdhsa_float_round_mode_16_64 0
		.amdhsa_float_denorm_mode_32 3
		.amdhsa_float_denorm_mode_16_64 3
		.amdhsa_dx10_clamp 1
		.amdhsa_ieee_mode 1
		.amdhsa_fp16_overflow 0
		.amdhsa_workgroup_processor_mode 1
		.amdhsa_memory_ordered 1
		.amdhsa_forward_progress 1
		.amdhsa_shared_vgpr_count 0
		.amdhsa_exception_fp_ieee_invalid_op 0
		.amdhsa_exception_fp_denorm_src 0
		.amdhsa_exception_fp_ieee_div_zero 0
		.amdhsa_exception_fp_ieee_overflow 0
		.amdhsa_exception_fp_ieee_underflow 0
		.amdhsa_exception_fp_ieee_inexact 0
		.amdhsa_exception_int_div_zero 0
	.end_amdhsa_kernel
	.section	.text._ZN7rocprim17ROCPRIM_400000_NS6detail17trampoline_kernelINS0_14default_configENS1_25transform_config_selectorIjLb0EEEZNS1_14transform_implILb0ES3_S5_PjN6thrust23THRUST_200600_302600_NS6detail15normal_iteratorINS9_10device_ptrIjEEEENS0_8identityIjEEEE10hipError_tT2_T3_mT4_P12ihipStream_tbEUlT_E_NS1_11comp_targetILNS1_3genE10ELNS1_11target_archE1200ELNS1_3gpuE4ELNS1_3repE0EEENS1_30default_config_static_selectorELNS0_4arch9wavefront6targetE0EEEvT1_,"axG",@progbits,_ZN7rocprim17ROCPRIM_400000_NS6detail17trampoline_kernelINS0_14default_configENS1_25transform_config_selectorIjLb0EEEZNS1_14transform_implILb0ES3_S5_PjN6thrust23THRUST_200600_302600_NS6detail15normal_iteratorINS9_10device_ptrIjEEEENS0_8identityIjEEEE10hipError_tT2_T3_mT4_P12ihipStream_tbEUlT_E_NS1_11comp_targetILNS1_3genE10ELNS1_11target_archE1200ELNS1_3gpuE4ELNS1_3repE0EEENS1_30default_config_static_selectorELNS0_4arch9wavefront6targetE0EEEvT1_,comdat
.Lfunc_end79:
	.size	_ZN7rocprim17ROCPRIM_400000_NS6detail17trampoline_kernelINS0_14default_configENS1_25transform_config_selectorIjLb0EEEZNS1_14transform_implILb0ES3_S5_PjN6thrust23THRUST_200600_302600_NS6detail15normal_iteratorINS9_10device_ptrIjEEEENS0_8identityIjEEEE10hipError_tT2_T3_mT4_P12ihipStream_tbEUlT_E_NS1_11comp_targetILNS1_3genE10ELNS1_11target_archE1200ELNS1_3gpuE4ELNS1_3repE0EEENS1_30default_config_static_selectorELNS0_4arch9wavefront6targetE0EEEvT1_, .Lfunc_end79-_ZN7rocprim17ROCPRIM_400000_NS6detail17trampoline_kernelINS0_14default_configENS1_25transform_config_selectorIjLb0EEEZNS1_14transform_implILb0ES3_S5_PjN6thrust23THRUST_200600_302600_NS6detail15normal_iteratorINS9_10device_ptrIjEEEENS0_8identityIjEEEE10hipError_tT2_T3_mT4_P12ihipStream_tbEUlT_E_NS1_11comp_targetILNS1_3genE10ELNS1_11target_archE1200ELNS1_3gpuE4ELNS1_3repE0EEENS1_30default_config_static_selectorELNS0_4arch9wavefront6targetE0EEEvT1_
                                        ; -- End function
	.set _ZN7rocprim17ROCPRIM_400000_NS6detail17trampoline_kernelINS0_14default_configENS1_25transform_config_selectorIjLb0EEEZNS1_14transform_implILb0ES3_S5_PjN6thrust23THRUST_200600_302600_NS6detail15normal_iteratorINS9_10device_ptrIjEEEENS0_8identityIjEEEE10hipError_tT2_T3_mT4_P12ihipStream_tbEUlT_E_NS1_11comp_targetILNS1_3genE10ELNS1_11target_archE1200ELNS1_3gpuE4ELNS1_3repE0EEENS1_30default_config_static_selectorELNS0_4arch9wavefront6targetE0EEEvT1_.num_vgpr, 0
	.set _ZN7rocprim17ROCPRIM_400000_NS6detail17trampoline_kernelINS0_14default_configENS1_25transform_config_selectorIjLb0EEEZNS1_14transform_implILb0ES3_S5_PjN6thrust23THRUST_200600_302600_NS6detail15normal_iteratorINS9_10device_ptrIjEEEENS0_8identityIjEEEE10hipError_tT2_T3_mT4_P12ihipStream_tbEUlT_E_NS1_11comp_targetILNS1_3genE10ELNS1_11target_archE1200ELNS1_3gpuE4ELNS1_3repE0EEENS1_30default_config_static_selectorELNS0_4arch9wavefront6targetE0EEEvT1_.num_agpr, 0
	.set _ZN7rocprim17ROCPRIM_400000_NS6detail17trampoline_kernelINS0_14default_configENS1_25transform_config_selectorIjLb0EEEZNS1_14transform_implILb0ES3_S5_PjN6thrust23THRUST_200600_302600_NS6detail15normal_iteratorINS9_10device_ptrIjEEEENS0_8identityIjEEEE10hipError_tT2_T3_mT4_P12ihipStream_tbEUlT_E_NS1_11comp_targetILNS1_3genE10ELNS1_11target_archE1200ELNS1_3gpuE4ELNS1_3repE0EEENS1_30default_config_static_selectorELNS0_4arch9wavefront6targetE0EEEvT1_.numbered_sgpr, 0
	.set _ZN7rocprim17ROCPRIM_400000_NS6detail17trampoline_kernelINS0_14default_configENS1_25transform_config_selectorIjLb0EEEZNS1_14transform_implILb0ES3_S5_PjN6thrust23THRUST_200600_302600_NS6detail15normal_iteratorINS9_10device_ptrIjEEEENS0_8identityIjEEEE10hipError_tT2_T3_mT4_P12ihipStream_tbEUlT_E_NS1_11comp_targetILNS1_3genE10ELNS1_11target_archE1200ELNS1_3gpuE4ELNS1_3repE0EEENS1_30default_config_static_selectorELNS0_4arch9wavefront6targetE0EEEvT1_.num_named_barrier, 0
	.set _ZN7rocprim17ROCPRIM_400000_NS6detail17trampoline_kernelINS0_14default_configENS1_25transform_config_selectorIjLb0EEEZNS1_14transform_implILb0ES3_S5_PjN6thrust23THRUST_200600_302600_NS6detail15normal_iteratorINS9_10device_ptrIjEEEENS0_8identityIjEEEE10hipError_tT2_T3_mT4_P12ihipStream_tbEUlT_E_NS1_11comp_targetILNS1_3genE10ELNS1_11target_archE1200ELNS1_3gpuE4ELNS1_3repE0EEENS1_30default_config_static_selectorELNS0_4arch9wavefront6targetE0EEEvT1_.private_seg_size, 0
	.set _ZN7rocprim17ROCPRIM_400000_NS6detail17trampoline_kernelINS0_14default_configENS1_25transform_config_selectorIjLb0EEEZNS1_14transform_implILb0ES3_S5_PjN6thrust23THRUST_200600_302600_NS6detail15normal_iteratorINS9_10device_ptrIjEEEENS0_8identityIjEEEE10hipError_tT2_T3_mT4_P12ihipStream_tbEUlT_E_NS1_11comp_targetILNS1_3genE10ELNS1_11target_archE1200ELNS1_3gpuE4ELNS1_3repE0EEENS1_30default_config_static_selectorELNS0_4arch9wavefront6targetE0EEEvT1_.uses_vcc, 0
	.set _ZN7rocprim17ROCPRIM_400000_NS6detail17trampoline_kernelINS0_14default_configENS1_25transform_config_selectorIjLb0EEEZNS1_14transform_implILb0ES3_S5_PjN6thrust23THRUST_200600_302600_NS6detail15normal_iteratorINS9_10device_ptrIjEEEENS0_8identityIjEEEE10hipError_tT2_T3_mT4_P12ihipStream_tbEUlT_E_NS1_11comp_targetILNS1_3genE10ELNS1_11target_archE1200ELNS1_3gpuE4ELNS1_3repE0EEENS1_30default_config_static_selectorELNS0_4arch9wavefront6targetE0EEEvT1_.uses_flat_scratch, 0
	.set _ZN7rocprim17ROCPRIM_400000_NS6detail17trampoline_kernelINS0_14default_configENS1_25transform_config_selectorIjLb0EEEZNS1_14transform_implILb0ES3_S5_PjN6thrust23THRUST_200600_302600_NS6detail15normal_iteratorINS9_10device_ptrIjEEEENS0_8identityIjEEEE10hipError_tT2_T3_mT4_P12ihipStream_tbEUlT_E_NS1_11comp_targetILNS1_3genE10ELNS1_11target_archE1200ELNS1_3gpuE4ELNS1_3repE0EEENS1_30default_config_static_selectorELNS0_4arch9wavefront6targetE0EEEvT1_.has_dyn_sized_stack, 0
	.set _ZN7rocprim17ROCPRIM_400000_NS6detail17trampoline_kernelINS0_14default_configENS1_25transform_config_selectorIjLb0EEEZNS1_14transform_implILb0ES3_S5_PjN6thrust23THRUST_200600_302600_NS6detail15normal_iteratorINS9_10device_ptrIjEEEENS0_8identityIjEEEE10hipError_tT2_T3_mT4_P12ihipStream_tbEUlT_E_NS1_11comp_targetILNS1_3genE10ELNS1_11target_archE1200ELNS1_3gpuE4ELNS1_3repE0EEENS1_30default_config_static_selectorELNS0_4arch9wavefront6targetE0EEEvT1_.has_recursion, 0
	.set _ZN7rocprim17ROCPRIM_400000_NS6detail17trampoline_kernelINS0_14default_configENS1_25transform_config_selectorIjLb0EEEZNS1_14transform_implILb0ES3_S5_PjN6thrust23THRUST_200600_302600_NS6detail15normal_iteratorINS9_10device_ptrIjEEEENS0_8identityIjEEEE10hipError_tT2_T3_mT4_P12ihipStream_tbEUlT_E_NS1_11comp_targetILNS1_3genE10ELNS1_11target_archE1200ELNS1_3gpuE4ELNS1_3repE0EEENS1_30default_config_static_selectorELNS0_4arch9wavefront6targetE0EEEvT1_.has_indirect_call, 0
	.section	.AMDGPU.csdata,"",@progbits
; Kernel info:
; codeLenInByte = 0
; TotalNumSgprs: 0
; NumVgprs: 0
; ScratchSize: 0
; MemoryBound: 0
; FloatMode: 240
; IeeeMode: 1
; LDSByteSize: 0 bytes/workgroup (compile time only)
; SGPRBlocks: 0
; VGPRBlocks: 0
; NumSGPRsForWavesPerEU: 1
; NumVGPRsForWavesPerEU: 1
; Occupancy: 16
; WaveLimiterHint : 0
; COMPUTE_PGM_RSRC2:SCRATCH_EN: 0
; COMPUTE_PGM_RSRC2:USER_SGPR: 6
; COMPUTE_PGM_RSRC2:TRAP_HANDLER: 0
; COMPUTE_PGM_RSRC2:TGID_X_EN: 1
; COMPUTE_PGM_RSRC2:TGID_Y_EN: 0
; COMPUTE_PGM_RSRC2:TGID_Z_EN: 0
; COMPUTE_PGM_RSRC2:TIDIG_COMP_CNT: 0
	.section	.text._ZN7rocprim17ROCPRIM_400000_NS6detail17trampoline_kernelINS0_14default_configENS1_25transform_config_selectorIjLb0EEEZNS1_14transform_implILb0ES3_S5_PjN6thrust23THRUST_200600_302600_NS6detail15normal_iteratorINS9_10device_ptrIjEEEENS0_8identityIjEEEE10hipError_tT2_T3_mT4_P12ihipStream_tbEUlT_E_NS1_11comp_targetILNS1_3genE9ELNS1_11target_archE1100ELNS1_3gpuE3ELNS1_3repE0EEENS1_30default_config_static_selectorELNS0_4arch9wavefront6targetE0EEEvT1_,"axG",@progbits,_ZN7rocprim17ROCPRIM_400000_NS6detail17trampoline_kernelINS0_14default_configENS1_25transform_config_selectorIjLb0EEEZNS1_14transform_implILb0ES3_S5_PjN6thrust23THRUST_200600_302600_NS6detail15normal_iteratorINS9_10device_ptrIjEEEENS0_8identityIjEEEE10hipError_tT2_T3_mT4_P12ihipStream_tbEUlT_E_NS1_11comp_targetILNS1_3genE9ELNS1_11target_archE1100ELNS1_3gpuE3ELNS1_3repE0EEENS1_30default_config_static_selectorELNS0_4arch9wavefront6targetE0EEEvT1_,comdat
	.protected	_ZN7rocprim17ROCPRIM_400000_NS6detail17trampoline_kernelINS0_14default_configENS1_25transform_config_selectorIjLb0EEEZNS1_14transform_implILb0ES3_S5_PjN6thrust23THRUST_200600_302600_NS6detail15normal_iteratorINS9_10device_ptrIjEEEENS0_8identityIjEEEE10hipError_tT2_T3_mT4_P12ihipStream_tbEUlT_E_NS1_11comp_targetILNS1_3genE9ELNS1_11target_archE1100ELNS1_3gpuE3ELNS1_3repE0EEENS1_30default_config_static_selectorELNS0_4arch9wavefront6targetE0EEEvT1_ ; -- Begin function _ZN7rocprim17ROCPRIM_400000_NS6detail17trampoline_kernelINS0_14default_configENS1_25transform_config_selectorIjLb0EEEZNS1_14transform_implILb0ES3_S5_PjN6thrust23THRUST_200600_302600_NS6detail15normal_iteratorINS9_10device_ptrIjEEEENS0_8identityIjEEEE10hipError_tT2_T3_mT4_P12ihipStream_tbEUlT_E_NS1_11comp_targetILNS1_3genE9ELNS1_11target_archE1100ELNS1_3gpuE3ELNS1_3repE0EEENS1_30default_config_static_selectorELNS0_4arch9wavefront6targetE0EEEvT1_
	.globl	_ZN7rocprim17ROCPRIM_400000_NS6detail17trampoline_kernelINS0_14default_configENS1_25transform_config_selectorIjLb0EEEZNS1_14transform_implILb0ES3_S5_PjN6thrust23THRUST_200600_302600_NS6detail15normal_iteratorINS9_10device_ptrIjEEEENS0_8identityIjEEEE10hipError_tT2_T3_mT4_P12ihipStream_tbEUlT_E_NS1_11comp_targetILNS1_3genE9ELNS1_11target_archE1100ELNS1_3gpuE3ELNS1_3repE0EEENS1_30default_config_static_selectorELNS0_4arch9wavefront6targetE0EEEvT1_
	.p2align	8
	.type	_ZN7rocprim17ROCPRIM_400000_NS6detail17trampoline_kernelINS0_14default_configENS1_25transform_config_selectorIjLb0EEEZNS1_14transform_implILb0ES3_S5_PjN6thrust23THRUST_200600_302600_NS6detail15normal_iteratorINS9_10device_ptrIjEEEENS0_8identityIjEEEE10hipError_tT2_T3_mT4_P12ihipStream_tbEUlT_E_NS1_11comp_targetILNS1_3genE9ELNS1_11target_archE1100ELNS1_3gpuE3ELNS1_3repE0EEENS1_30default_config_static_selectorELNS0_4arch9wavefront6targetE0EEEvT1_,@function
_ZN7rocprim17ROCPRIM_400000_NS6detail17trampoline_kernelINS0_14default_configENS1_25transform_config_selectorIjLb0EEEZNS1_14transform_implILb0ES3_S5_PjN6thrust23THRUST_200600_302600_NS6detail15normal_iteratorINS9_10device_ptrIjEEEENS0_8identityIjEEEE10hipError_tT2_T3_mT4_P12ihipStream_tbEUlT_E_NS1_11comp_targetILNS1_3genE9ELNS1_11target_archE1100ELNS1_3gpuE3ELNS1_3repE0EEENS1_30default_config_static_selectorELNS0_4arch9wavefront6targetE0EEEvT1_: ; @_ZN7rocprim17ROCPRIM_400000_NS6detail17trampoline_kernelINS0_14default_configENS1_25transform_config_selectorIjLb0EEEZNS1_14transform_implILb0ES3_S5_PjN6thrust23THRUST_200600_302600_NS6detail15normal_iteratorINS9_10device_ptrIjEEEENS0_8identityIjEEEE10hipError_tT2_T3_mT4_P12ihipStream_tbEUlT_E_NS1_11comp_targetILNS1_3genE9ELNS1_11target_archE1100ELNS1_3gpuE3ELNS1_3repE0EEENS1_30default_config_static_selectorELNS0_4arch9wavefront6targetE0EEEvT1_
; %bb.0:
	.section	.rodata,"a",@progbits
	.p2align	6, 0x0
	.amdhsa_kernel _ZN7rocprim17ROCPRIM_400000_NS6detail17trampoline_kernelINS0_14default_configENS1_25transform_config_selectorIjLb0EEEZNS1_14transform_implILb0ES3_S5_PjN6thrust23THRUST_200600_302600_NS6detail15normal_iteratorINS9_10device_ptrIjEEEENS0_8identityIjEEEE10hipError_tT2_T3_mT4_P12ihipStream_tbEUlT_E_NS1_11comp_targetILNS1_3genE9ELNS1_11target_archE1100ELNS1_3gpuE3ELNS1_3repE0EEENS1_30default_config_static_selectorELNS0_4arch9wavefront6targetE0EEEvT1_
		.amdhsa_group_segment_fixed_size 0
		.amdhsa_private_segment_fixed_size 0
		.amdhsa_kernarg_size 40
		.amdhsa_user_sgpr_count 6
		.amdhsa_user_sgpr_private_segment_buffer 1
		.amdhsa_user_sgpr_dispatch_ptr 0
		.amdhsa_user_sgpr_queue_ptr 0
		.amdhsa_user_sgpr_kernarg_segment_ptr 1
		.amdhsa_user_sgpr_dispatch_id 0
		.amdhsa_user_sgpr_flat_scratch_init 0
		.amdhsa_user_sgpr_private_segment_size 0
		.amdhsa_wavefront_size32 1
		.amdhsa_uses_dynamic_stack 0
		.amdhsa_system_sgpr_private_segment_wavefront_offset 0
		.amdhsa_system_sgpr_workgroup_id_x 1
		.amdhsa_system_sgpr_workgroup_id_y 0
		.amdhsa_system_sgpr_workgroup_id_z 0
		.amdhsa_system_sgpr_workgroup_info 0
		.amdhsa_system_vgpr_workitem_id 0
		.amdhsa_next_free_vgpr 1
		.amdhsa_next_free_sgpr 1
		.amdhsa_reserve_vcc 0
		.amdhsa_reserve_flat_scratch 0
		.amdhsa_float_round_mode_32 0
		.amdhsa_float_round_mode_16_64 0
		.amdhsa_float_denorm_mode_32 3
		.amdhsa_float_denorm_mode_16_64 3
		.amdhsa_dx10_clamp 1
		.amdhsa_ieee_mode 1
		.amdhsa_fp16_overflow 0
		.amdhsa_workgroup_processor_mode 1
		.amdhsa_memory_ordered 1
		.amdhsa_forward_progress 1
		.amdhsa_shared_vgpr_count 0
		.amdhsa_exception_fp_ieee_invalid_op 0
		.amdhsa_exception_fp_denorm_src 0
		.amdhsa_exception_fp_ieee_div_zero 0
		.amdhsa_exception_fp_ieee_overflow 0
		.amdhsa_exception_fp_ieee_underflow 0
		.amdhsa_exception_fp_ieee_inexact 0
		.amdhsa_exception_int_div_zero 0
	.end_amdhsa_kernel
	.section	.text._ZN7rocprim17ROCPRIM_400000_NS6detail17trampoline_kernelINS0_14default_configENS1_25transform_config_selectorIjLb0EEEZNS1_14transform_implILb0ES3_S5_PjN6thrust23THRUST_200600_302600_NS6detail15normal_iteratorINS9_10device_ptrIjEEEENS0_8identityIjEEEE10hipError_tT2_T3_mT4_P12ihipStream_tbEUlT_E_NS1_11comp_targetILNS1_3genE9ELNS1_11target_archE1100ELNS1_3gpuE3ELNS1_3repE0EEENS1_30default_config_static_selectorELNS0_4arch9wavefront6targetE0EEEvT1_,"axG",@progbits,_ZN7rocprim17ROCPRIM_400000_NS6detail17trampoline_kernelINS0_14default_configENS1_25transform_config_selectorIjLb0EEEZNS1_14transform_implILb0ES3_S5_PjN6thrust23THRUST_200600_302600_NS6detail15normal_iteratorINS9_10device_ptrIjEEEENS0_8identityIjEEEE10hipError_tT2_T3_mT4_P12ihipStream_tbEUlT_E_NS1_11comp_targetILNS1_3genE9ELNS1_11target_archE1100ELNS1_3gpuE3ELNS1_3repE0EEENS1_30default_config_static_selectorELNS0_4arch9wavefront6targetE0EEEvT1_,comdat
.Lfunc_end80:
	.size	_ZN7rocprim17ROCPRIM_400000_NS6detail17trampoline_kernelINS0_14default_configENS1_25transform_config_selectorIjLb0EEEZNS1_14transform_implILb0ES3_S5_PjN6thrust23THRUST_200600_302600_NS6detail15normal_iteratorINS9_10device_ptrIjEEEENS0_8identityIjEEEE10hipError_tT2_T3_mT4_P12ihipStream_tbEUlT_E_NS1_11comp_targetILNS1_3genE9ELNS1_11target_archE1100ELNS1_3gpuE3ELNS1_3repE0EEENS1_30default_config_static_selectorELNS0_4arch9wavefront6targetE0EEEvT1_, .Lfunc_end80-_ZN7rocprim17ROCPRIM_400000_NS6detail17trampoline_kernelINS0_14default_configENS1_25transform_config_selectorIjLb0EEEZNS1_14transform_implILb0ES3_S5_PjN6thrust23THRUST_200600_302600_NS6detail15normal_iteratorINS9_10device_ptrIjEEEENS0_8identityIjEEEE10hipError_tT2_T3_mT4_P12ihipStream_tbEUlT_E_NS1_11comp_targetILNS1_3genE9ELNS1_11target_archE1100ELNS1_3gpuE3ELNS1_3repE0EEENS1_30default_config_static_selectorELNS0_4arch9wavefront6targetE0EEEvT1_
                                        ; -- End function
	.set _ZN7rocprim17ROCPRIM_400000_NS6detail17trampoline_kernelINS0_14default_configENS1_25transform_config_selectorIjLb0EEEZNS1_14transform_implILb0ES3_S5_PjN6thrust23THRUST_200600_302600_NS6detail15normal_iteratorINS9_10device_ptrIjEEEENS0_8identityIjEEEE10hipError_tT2_T3_mT4_P12ihipStream_tbEUlT_E_NS1_11comp_targetILNS1_3genE9ELNS1_11target_archE1100ELNS1_3gpuE3ELNS1_3repE0EEENS1_30default_config_static_selectorELNS0_4arch9wavefront6targetE0EEEvT1_.num_vgpr, 0
	.set _ZN7rocprim17ROCPRIM_400000_NS6detail17trampoline_kernelINS0_14default_configENS1_25transform_config_selectorIjLb0EEEZNS1_14transform_implILb0ES3_S5_PjN6thrust23THRUST_200600_302600_NS6detail15normal_iteratorINS9_10device_ptrIjEEEENS0_8identityIjEEEE10hipError_tT2_T3_mT4_P12ihipStream_tbEUlT_E_NS1_11comp_targetILNS1_3genE9ELNS1_11target_archE1100ELNS1_3gpuE3ELNS1_3repE0EEENS1_30default_config_static_selectorELNS0_4arch9wavefront6targetE0EEEvT1_.num_agpr, 0
	.set _ZN7rocprim17ROCPRIM_400000_NS6detail17trampoline_kernelINS0_14default_configENS1_25transform_config_selectorIjLb0EEEZNS1_14transform_implILb0ES3_S5_PjN6thrust23THRUST_200600_302600_NS6detail15normal_iteratorINS9_10device_ptrIjEEEENS0_8identityIjEEEE10hipError_tT2_T3_mT4_P12ihipStream_tbEUlT_E_NS1_11comp_targetILNS1_3genE9ELNS1_11target_archE1100ELNS1_3gpuE3ELNS1_3repE0EEENS1_30default_config_static_selectorELNS0_4arch9wavefront6targetE0EEEvT1_.numbered_sgpr, 0
	.set _ZN7rocprim17ROCPRIM_400000_NS6detail17trampoline_kernelINS0_14default_configENS1_25transform_config_selectorIjLb0EEEZNS1_14transform_implILb0ES3_S5_PjN6thrust23THRUST_200600_302600_NS6detail15normal_iteratorINS9_10device_ptrIjEEEENS0_8identityIjEEEE10hipError_tT2_T3_mT4_P12ihipStream_tbEUlT_E_NS1_11comp_targetILNS1_3genE9ELNS1_11target_archE1100ELNS1_3gpuE3ELNS1_3repE0EEENS1_30default_config_static_selectorELNS0_4arch9wavefront6targetE0EEEvT1_.num_named_barrier, 0
	.set _ZN7rocprim17ROCPRIM_400000_NS6detail17trampoline_kernelINS0_14default_configENS1_25transform_config_selectorIjLb0EEEZNS1_14transform_implILb0ES3_S5_PjN6thrust23THRUST_200600_302600_NS6detail15normal_iteratorINS9_10device_ptrIjEEEENS0_8identityIjEEEE10hipError_tT2_T3_mT4_P12ihipStream_tbEUlT_E_NS1_11comp_targetILNS1_3genE9ELNS1_11target_archE1100ELNS1_3gpuE3ELNS1_3repE0EEENS1_30default_config_static_selectorELNS0_4arch9wavefront6targetE0EEEvT1_.private_seg_size, 0
	.set _ZN7rocprim17ROCPRIM_400000_NS6detail17trampoline_kernelINS0_14default_configENS1_25transform_config_selectorIjLb0EEEZNS1_14transform_implILb0ES3_S5_PjN6thrust23THRUST_200600_302600_NS6detail15normal_iteratorINS9_10device_ptrIjEEEENS0_8identityIjEEEE10hipError_tT2_T3_mT4_P12ihipStream_tbEUlT_E_NS1_11comp_targetILNS1_3genE9ELNS1_11target_archE1100ELNS1_3gpuE3ELNS1_3repE0EEENS1_30default_config_static_selectorELNS0_4arch9wavefront6targetE0EEEvT1_.uses_vcc, 0
	.set _ZN7rocprim17ROCPRIM_400000_NS6detail17trampoline_kernelINS0_14default_configENS1_25transform_config_selectorIjLb0EEEZNS1_14transform_implILb0ES3_S5_PjN6thrust23THRUST_200600_302600_NS6detail15normal_iteratorINS9_10device_ptrIjEEEENS0_8identityIjEEEE10hipError_tT2_T3_mT4_P12ihipStream_tbEUlT_E_NS1_11comp_targetILNS1_3genE9ELNS1_11target_archE1100ELNS1_3gpuE3ELNS1_3repE0EEENS1_30default_config_static_selectorELNS0_4arch9wavefront6targetE0EEEvT1_.uses_flat_scratch, 0
	.set _ZN7rocprim17ROCPRIM_400000_NS6detail17trampoline_kernelINS0_14default_configENS1_25transform_config_selectorIjLb0EEEZNS1_14transform_implILb0ES3_S5_PjN6thrust23THRUST_200600_302600_NS6detail15normal_iteratorINS9_10device_ptrIjEEEENS0_8identityIjEEEE10hipError_tT2_T3_mT4_P12ihipStream_tbEUlT_E_NS1_11comp_targetILNS1_3genE9ELNS1_11target_archE1100ELNS1_3gpuE3ELNS1_3repE0EEENS1_30default_config_static_selectorELNS0_4arch9wavefront6targetE0EEEvT1_.has_dyn_sized_stack, 0
	.set _ZN7rocprim17ROCPRIM_400000_NS6detail17trampoline_kernelINS0_14default_configENS1_25transform_config_selectorIjLb0EEEZNS1_14transform_implILb0ES3_S5_PjN6thrust23THRUST_200600_302600_NS6detail15normal_iteratorINS9_10device_ptrIjEEEENS0_8identityIjEEEE10hipError_tT2_T3_mT4_P12ihipStream_tbEUlT_E_NS1_11comp_targetILNS1_3genE9ELNS1_11target_archE1100ELNS1_3gpuE3ELNS1_3repE0EEENS1_30default_config_static_selectorELNS0_4arch9wavefront6targetE0EEEvT1_.has_recursion, 0
	.set _ZN7rocprim17ROCPRIM_400000_NS6detail17trampoline_kernelINS0_14default_configENS1_25transform_config_selectorIjLb0EEEZNS1_14transform_implILb0ES3_S5_PjN6thrust23THRUST_200600_302600_NS6detail15normal_iteratorINS9_10device_ptrIjEEEENS0_8identityIjEEEE10hipError_tT2_T3_mT4_P12ihipStream_tbEUlT_E_NS1_11comp_targetILNS1_3genE9ELNS1_11target_archE1100ELNS1_3gpuE3ELNS1_3repE0EEENS1_30default_config_static_selectorELNS0_4arch9wavefront6targetE0EEEvT1_.has_indirect_call, 0
	.section	.AMDGPU.csdata,"",@progbits
; Kernel info:
; codeLenInByte = 0
; TotalNumSgprs: 0
; NumVgprs: 0
; ScratchSize: 0
; MemoryBound: 0
; FloatMode: 240
; IeeeMode: 1
; LDSByteSize: 0 bytes/workgroup (compile time only)
; SGPRBlocks: 0
; VGPRBlocks: 0
; NumSGPRsForWavesPerEU: 1
; NumVGPRsForWavesPerEU: 1
; Occupancy: 16
; WaveLimiterHint : 0
; COMPUTE_PGM_RSRC2:SCRATCH_EN: 0
; COMPUTE_PGM_RSRC2:USER_SGPR: 6
; COMPUTE_PGM_RSRC2:TRAP_HANDLER: 0
; COMPUTE_PGM_RSRC2:TGID_X_EN: 1
; COMPUTE_PGM_RSRC2:TGID_Y_EN: 0
; COMPUTE_PGM_RSRC2:TGID_Z_EN: 0
; COMPUTE_PGM_RSRC2:TIDIG_COMP_CNT: 0
	.section	.text._ZN7rocprim17ROCPRIM_400000_NS6detail17trampoline_kernelINS0_14default_configENS1_25transform_config_selectorIjLb0EEEZNS1_14transform_implILb0ES3_S5_PjN6thrust23THRUST_200600_302600_NS6detail15normal_iteratorINS9_10device_ptrIjEEEENS0_8identityIjEEEE10hipError_tT2_T3_mT4_P12ihipStream_tbEUlT_E_NS1_11comp_targetILNS1_3genE8ELNS1_11target_archE1030ELNS1_3gpuE2ELNS1_3repE0EEENS1_30default_config_static_selectorELNS0_4arch9wavefront6targetE0EEEvT1_,"axG",@progbits,_ZN7rocprim17ROCPRIM_400000_NS6detail17trampoline_kernelINS0_14default_configENS1_25transform_config_selectorIjLb0EEEZNS1_14transform_implILb0ES3_S5_PjN6thrust23THRUST_200600_302600_NS6detail15normal_iteratorINS9_10device_ptrIjEEEENS0_8identityIjEEEE10hipError_tT2_T3_mT4_P12ihipStream_tbEUlT_E_NS1_11comp_targetILNS1_3genE8ELNS1_11target_archE1030ELNS1_3gpuE2ELNS1_3repE0EEENS1_30default_config_static_selectorELNS0_4arch9wavefront6targetE0EEEvT1_,comdat
	.protected	_ZN7rocprim17ROCPRIM_400000_NS6detail17trampoline_kernelINS0_14default_configENS1_25transform_config_selectorIjLb0EEEZNS1_14transform_implILb0ES3_S5_PjN6thrust23THRUST_200600_302600_NS6detail15normal_iteratorINS9_10device_ptrIjEEEENS0_8identityIjEEEE10hipError_tT2_T3_mT4_P12ihipStream_tbEUlT_E_NS1_11comp_targetILNS1_3genE8ELNS1_11target_archE1030ELNS1_3gpuE2ELNS1_3repE0EEENS1_30default_config_static_selectorELNS0_4arch9wavefront6targetE0EEEvT1_ ; -- Begin function _ZN7rocprim17ROCPRIM_400000_NS6detail17trampoline_kernelINS0_14default_configENS1_25transform_config_selectorIjLb0EEEZNS1_14transform_implILb0ES3_S5_PjN6thrust23THRUST_200600_302600_NS6detail15normal_iteratorINS9_10device_ptrIjEEEENS0_8identityIjEEEE10hipError_tT2_T3_mT4_P12ihipStream_tbEUlT_E_NS1_11comp_targetILNS1_3genE8ELNS1_11target_archE1030ELNS1_3gpuE2ELNS1_3repE0EEENS1_30default_config_static_selectorELNS0_4arch9wavefront6targetE0EEEvT1_
	.globl	_ZN7rocprim17ROCPRIM_400000_NS6detail17trampoline_kernelINS0_14default_configENS1_25transform_config_selectorIjLb0EEEZNS1_14transform_implILb0ES3_S5_PjN6thrust23THRUST_200600_302600_NS6detail15normal_iteratorINS9_10device_ptrIjEEEENS0_8identityIjEEEE10hipError_tT2_T3_mT4_P12ihipStream_tbEUlT_E_NS1_11comp_targetILNS1_3genE8ELNS1_11target_archE1030ELNS1_3gpuE2ELNS1_3repE0EEENS1_30default_config_static_selectorELNS0_4arch9wavefront6targetE0EEEvT1_
	.p2align	8
	.type	_ZN7rocprim17ROCPRIM_400000_NS6detail17trampoline_kernelINS0_14default_configENS1_25transform_config_selectorIjLb0EEEZNS1_14transform_implILb0ES3_S5_PjN6thrust23THRUST_200600_302600_NS6detail15normal_iteratorINS9_10device_ptrIjEEEENS0_8identityIjEEEE10hipError_tT2_T3_mT4_P12ihipStream_tbEUlT_E_NS1_11comp_targetILNS1_3genE8ELNS1_11target_archE1030ELNS1_3gpuE2ELNS1_3repE0EEENS1_30default_config_static_selectorELNS0_4arch9wavefront6targetE0EEEvT1_,@function
_ZN7rocprim17ROCPRIM_400000_NS6detail17trampoline_kernelINS0_14default_configENS1_25transform_config_selectorIjLb0EEEZNS1_14transform_implILb0ES3_S5_PjN6thrust23THRUST_200600_302600_NS6detail15normal_iteratorINS9_10device_ptrIjEEEENS0_8identityIjEEEE10hipError_tT2_T3_mT4_P12ihipStream_tbEUlT_E_NS1_11comp_targetILNS1_3genE8ELNS1_11target_archE1030ELNS1_3gpuE2ELNS1_3repE0EEENS1_30default_config_static_selectorELNS0_4arch9wavefront6targetE0EEEvT1_: ; @_ZN7rocprim17ROCPRIM_400000_NS6detail17trampoline_kernelINS0_14default_configENS1_25transform_config_selectorIjLb0EEEZNS1_14transform_implILb0ES3_S5_PjN6thrust23THRUST_200600_302600_NS6detail15normal_iteratorINS9_10device_ptrIjEEEENS0_8identityIjEEEE10hipError_tT2_T3_mT4_P12ihipStream_tbEUlT_E_NS1_11comp_targetILNS1_3genE8ELNS1_11target_archE1030ELNS1_3gpuE2ELNS1_3repE0EEENS1_30default_config_static_selectorELNS0_4arch9wavefront6targetE0EEEvT1_
; %bb.0:
	s_clause 0x1
	s_load_dword s0, s[4:5], 0x28
	s_load_dword s1, s[4:5], 0x10
	s_waitcnt lgkmcnt(0)
	s_add_i32 s2, s0, -1
	s_lshl_b32 s0, s6, 8
	s_cmp_lg_u32 s6, s2
	s_cselect_b32 s2, -1, 0
	s_sub_i32 s1, s1, s0
	v_cmp_gt_u32_e32 vcc_lo, s1, v0
	s_or_b32 s1, vcc_lo, s2
	s_and_saveexec_b32 s2, s1
	s_cbranch_execz .LBB81_2
; %bb.1:
	s_clause 0x1
	s_load_dwordx4 s[8:11], s[4:5], 0x0
	s_load_dwordx2 s[2:3], s[4:5], 0x18
	s_mov_b32 s1, 0
	v_lshlrev_b32_e32 v0, 2, v0
	s_waitcnt lgkmcnt(0)
	s_lshl_b64 s[4:5], s[10:11], 2
	s_add_u32 s6, s8, s4
	s_addc_u32 s7, s9, s5
	s_lshl_b64 s[0:1], s[0:1], 2
	s_add_u32 s6, s6, s0
	s_addc_u32 s7, s7, s1
	s_add_u32 s2, s2, s4
	global_load_dword v2, v0, s[6:7]
	s_addc_u32 s3, s3, s5
	s_add_u32 s0, s2, s0
	s_addc_u32 s1, s3, s1
	v_add_co_u32 v0, s0, s0, v0
	v_add_co_ci_u32_e64 v1, null, s1, 0, s0
	s_waitcnt vmcnt(0)
	flat_store_dword v[0:1], v2
.LBB81_2:
	s_endpgm
	.section	.rodata,"a",@progbits
	.p2align	6, 0x0
	.amdhsa_kernel _ZN7rocprim17ROCPRIM_400000_NS6detail17trampoline_kernelINS0_14default_configENS1_25transform_config_selectorIjLb0EEEZNS1_14transform_implILb0ES3_S5_PjN6thrust23THRUST_200600_302600_NS6detail15normal_iteratorINS9_10device_ptrIjEEEENS0_8identityIjEEEE10hipError_tT2_T3_mT4_P12ihipStream_tbEUlT_E_NS1_11comp_targetILNS1_3genE8ELNS1_11target_archE1030ELNS1_3gpuE2ELNS1_3repE0EEENS1_30default_config_static_selectorELNS0_4arch9wavefront6targetE0EEEvT1_
		.amdhsa_group_segment_fixed_size 0
		.amdhsa_private_segment_fixed_size 0
		.amdhsa_kernarg_size 296
		.amdhsa_user_sgpr_count 6
		.amdhsa_user_sgpr_private_segment_buffer 1
		.amdhsa_user_sgpr_dispatch_ptr 0
		.amdhsa_user_sgpr_queue_ptr 0
		.amdhsa_user_sgpr_kernarg_segment_ptr 1
		.amdhsa_user_sgpr_dispatch_id 0
		.amdhsa_user_sgpr_flat_scratch_init 0
		.amdhsa_user_sgpr_private_segment_size 0
		.amdhsa_wavefront_size32 1
		.amdhsa_uses_dynamic_stack 0
		.amdhsa_system_sgpr_private_segment_wavefront_offset 0
		.amdhsa_system_sgpr_workgroup_id_x 1
		.amdhsa_system_sgpr_workgroup_id_y 0
		.amdhsa_system_sgpr_workgroup_id_z 0
		.amdhsa_system_sgpr_workgroup_info 0
		.amdhsa_system_vgpr_workitem_id 0
		.amdhsa_next_free_vgpr 3
		.amdhsa_next_free_sgpr 12
		.amdhsa_reserve_vcc 1
		.amdhsa_reserve_flat_scratch 0
		.amdhsa_float_round_mode_32 0
		.amdhsa_float_round_mode_16_64 0
		.amdhsa_float_denorm_mode_32 3
		.amdhsa_float_denorm_mode_16_64 3
		.amdhsa_dx10_clamp 1
		.amdhsa_ieee_mode 1
		.amdhsa_fp16_overflow 0
		.amdhsa_workgroup_processor_mode 1
		.amdhsa_memory_ordered 1
		.amdhsa_forward_progress 1
		.amdhsa_shared_vgpr_count 0
		.amdhsa_exception_fp_ieee_invalid_op 0
		.amdhsa_exception_fp_denorm_src 0
		.amdhsa_exception_fp_ieee_div_zero 0
		.amdhsa_exception_fp_ieee_overflow 0
		.amdhsa_exception_fp_ieee_underflow 0
		.amdhsa_exception_fp_ieee_inexact 0
		.amdhsa_exception_int_div_zero 0
	.end_amdhsa_kernel
	.section	.text._ZN7rocprim17ROCPRIM_400000_NS6detail17trampoline_kernelINS0_14default_configENS1_25transform_config_selectorIjLb0EEEZNS1_14transform_implILb0ES3_S5_PjN6thrust23THRUST_200600_302600_NS6detail15normal_iteratorINS9_10device_ptrIjEEEENS0_8identityIjEEEE10hipError_tT2_T3_mT4_P12ihipStream_tbEUlT_E_NS1_11comp_targetILNS1_3genE8ELNS1_11target_archE1030ELNS1_3gpuE2ELNS1_3repE0EEENS1_30default_config_static_selectorELNS0_4arch9wavefront6targetE0EEEvT1_,"axG",@progbits,_ZN7rocprim17ROCPRIM_400000_NS6detail17trampoline_kernelINS0_14default_configENS1_25transform_config_selectorIjLb0EEEZNS1_14transform_implILb0ES3_S5_PjN6thrust23THRUST_200600_302600_NS6detail15normal_iteratorINS9_10device_ptrIjEEEENS0_8identityIjEEEE10hipError_tT2_T3_mT4_P12ihipStream_tbEUlT_E_NS1_11comp_targetILNS1_3genE8ELNS1_11target_archE1030ELNS1_3gpuE2ELNS1_3repE0EEENS1_30default_config_static_selectorELNS0_4arch9wavefront6targetE0EEEvT1_,comdat
.Lfunc_end81:
	.size	_ZN7rocprim17ROCPRIM_400000_NS6detail17trampoline_kernelINS0_14default_configENS1_25transform_config_selectorIjLb0EEEZNS1_14transform_implILb0ES3_S5_PjN6thrust23THRUST_200600_302600_NS6detail15normal_iteratorINS9_10device_ptrIjEEEENS0_8identityIjEEEE10hipError_tT2_T3_mT4_P12ihipStream_tbEUlT_E_NS1_11comp_targetILNS1_3genE8ELNS1_11target_archE1030ELNS1_3gpuE2ELNS1_3repE0EEENS1_30default_config_static_selectorELNS0_4arch9wavefront6targetE0EEEvT1_, .Lfunc_end81-_ZN7rocprim17ROCPRIM_400000_NS6detail17trampoline_kernelINS0_14default_configENS1_25transform_config_selectorIjLb0EEEZNS1_14transform_implILb0ES3_S5_PjN6thrust23THRUST_200600_302600_NS6detail15normal_iteratorINS9_10device_ptrIjEEEENS0_8identityIjEEEE10hipError_tT2_T3_mT4_P12ihipStream_tbEUlT_E_NS1_11comp_targetILNS1_3genE8ELNS1_11target_archE1030ELNS1_3gpuE2ELNS1_3repE0EEENS1_30default_config_static_selectorELNS0_4arch9wavefront6targetE0EEEvT1_
                                        ; -- End function
	.set _ZN7rocprim17ROCPRIM_400000_NS6detail17trampoline_kernelINS0_14default_configENS1_25transform_config_selectorIjLb0EEEZNS1_14transform_implILb0ES3_S5_PjN6thrust23THRUST_200600_302600_NS6detail15normal_iteratorINS9_10device_ptrIjEEEENS0_8identityIjEEEE10hipError_tT2_T3_mT4_P12ihipStream_tbEUlT_E_NS1_11comp_targetILNS1_3genE8ELNS1_11target_archE1030ELNS1_3gpuE2ELNS1_3repE0EEENS1_30default_config_static_selectorELNS0_4arch9wavefront6targetE0EEEvT1_.num_vgpr, 3
	.set _ZN7rocprim17ROCPRIM_400000_NS6detail17trampoline_kernelINS0_14default_configENS1_25transform_config_selectorIjLb0EEEZNS1_14transform_implILb0ES3_S5_PjN6thrust23THRUST_200600_302600_NS6detail15normal_iteratorINS9_10device_ptrIjEEEENS0_8identityIjEEEE10hipError_tT2_T3_mT4_P12ihipStream_tbEUlT_E_NS1_11comp_targetILNS1_3genE8ELNS1_11target_archE1030ELNS1_3gpuE2ELNS1_3repE0EEENS1_30default_config_static_selectorELNS0_4arch9wavefront6targetE0EEEvT1_.num_agpr, 0
	.set _ZN7rocprim17ROCPRIM_400000_NS6detail17trampoline_kernelINS0_14default_configENS1_25transform_config_selectorIjLb0EEEZNS1_14transform_implILb0ES3_S5_PjN6thrust23THRUST_200600_302600_NS6detail15normal_iteratorINS9_10device_ptrIjEEEENS0_8identityIjEEEE10hipError_tT2_T3_mT4_P12ihipStream_tbEUlT_E_NS1_11comp_targetILNS1_3genE8ELNS1_11target_archE1030ELNS1_3gpuE2ELNS1_3repE0EEENS1_30default_config_static_selectorELNS0_4arch9wavefront6targetE0EEEvT1_.numbered_sgpr, 12
	.set _ZN7rocprim17ROCPRIM_400000_NS6detail17trampoline_kernelINS0_14default_configENS1_25transform_config_selectorIjLb0EEEZNS1_14transform_implILb0ES3_S5_PjN6thrust23THRUST_200600_302600_NS6detail15normal_iteratorINS9_10device_ptrIjEEEENS0_8identityIjEEEE10hipError_tT2_T3_mT4_P12ihipStream_tbEUlT_E_NS1_11comp_targetILNS1_3genE8ELNS1_11target_archE1030ELNS1_3gpuE2ELNS1_3repE0EEENS1_30default_config_static_selectorELNS0_4arch9wavefront6targetE0EEEvT1_.num_named_barrier, 0
	.set _ZN7rocprim17ROCPRIM_400000_NS6detail17trampoline_kernelINS0_14default_configENS1_25transform_config_selectorIjLb0EEEZNS1_14transform_implILb0ES3_S5_PjN6thrust23THRUST_200600_302600_NS6detail15normal_iteratorINS9_10device_ptrIjEEEENS0_8identityIjEEEE10hipError_tT2_T3_mT4_P12ihipStream_tbEUlT_E_NS1_11comp_targetILNS1_3genE8ELNS1_11target_archE1030ELNS1_3gpuE2ELNS1_3repE0EEENS1_30default_config_static_selectorELNS0_4arch9wavefront6targetE0EEEvT1_.private_seg_size, 0
	.set _ZN7rocprim17ROCPRIM_400000_NS6detail17trampoline_kernelINS0_14default_configENS1_25transform_config_selectorIjLb0EEEZNS1_14transform_implILb0ES3_S5_PjN6thrust23THRUST_200600_302600_NS6detail15normal_iteratorINS9_10device_ptrIjEEEENS0_8identityIjEEEE10hipError_tT2_T3_mT4_P12ihipStream_tbEUlT_E_NS1_11comp_targetILNS1_3genE8ELNS1_11target_archE1030ELNS1_3gpuE2ELNS1_3repE0EEENS1_30default_config_static_selectorELNS0_4arch9wavefront6targetE0EEEvT1_.uses_vcc, 1
	.set _ZN7rocprim17ROCPRIM_400000_NS6detail17trampoline_kernelINS0_14default_configENS1_25transform_config_selectorIjLb0EEEZNS1_14transform_implILb0ES3_S5_PjN6thrust23THRUST_200600_302600_NS6detail15normal_iteratorINS9_10device_ptrIjEEEENS0_8identityIjEEEE10hipError_tT2_T3_mT4_P12ihipStream_tbEUlT_E_NS1_11comp_targetILNS1_3genE8ELNS1_11target_archE1030ELNS1_3gpuE2ELNS1_3repE0EEENS1_30default_config_static_selectorELNS0_4arch9wavefront6targetE0EEEvT1_.uses_flat_scratch, 0
	.set _ZN7rocprim17ROCPRIM_400000_NS6detail17trampoline_kernelINS0_14default_configENS1_25transform_config_selectorIjLb0EEEZNS1_14transform_implILb0ES3_S5_PjN6thrust23THRUST_200600_302600_NS6detail15normal_iteratorINS9_10device_ptrIjEEEENS0_8identityIjEEEE10hipError_tT2_T3_mT4_P12ihipStream_tbEUlT_E_NS1_11comp_targetILNS1_3genE8ELNS1_11target_archE1030ELNS1_3gpuE2ELNS1_3repE0EEENS1_30default_config_static_selectorELNS0_4arch9wavefront6targetE0EEEvT1_.has_dyn_sized_stack, 0
	.set _ZN7rocprim17ROCPRIM_400000_NS6detail17trampoline_kernelINS0_14default_configENS1_25transform_config_selectorIjLb0EEEZNS1_14transform_implILb0ES3_S5_PjN6thrust23THRUST_200600_302600_NS6detail15normal_iteratorINS9_10device_ptrIjEEEENS0_8identityIjEEEE10hipError_tT2_T3_mT4_P12ihipStream_tbEUlT_E_NS1_11comp_targetILNS1_3genE8ELNS1_11target_archE1030ELNS1_3gpuE2ELNS1_3repE0EEENS1_30default_config_static_selectorELNS0_4arch9wavefront6targetE0EEEvT1_.has_recursion, 0
	.set _ZN7rocprim17ROCPRIM_400000_NS6detail17trampoline_kernelINS0_14default_configENS1_25transform_config_selectorIjLb0EEEZNS1_14transform_implILb0ES3_S5_PjN6thrust23THRUST_200600_302600_NS6detail15normal_iteratorINS9_10device_ptrIjEEEENS0_8identityIjEEEE10hipError_tT2_T3_mT4_P12ihipStream_tbEUlT_E_NS1_11comp_targetILNS1_3genE8ELNS1_11target_archE1030ELNS1_3gpuE2ELNS1_3repE0EEENS1_30default_config_static_selectorELNS0_4arch9wavefront6targetE0EEEvT1_.has_indirect_call, 0
	.section	.AMDGPU.csdata,"",@progbits
; Kernel info:
; codeLenInByte = 172
; TotalNumSgprs: 14
; NumVgprs: 3
; ScratchSize: 0
; MemoryBound: 0
; FloatMode: 240
; IeeeMode: 1
; LDSByteSize: 0 bytes/workgroup (compile time only)
; SGPRBlocks: 0
; VGPRBlocks: 0
; NumSGPRsForWavesPerEU: 14
; NumVGPRsForWavesPerEU: 3
; Occupancy: 16
; WaveLimiterHint : 0
; COMPUTE_PGM_RSRC2:SCRATCH_EN: 0
; COMPUTE_PGM_RSRC2:USER_SGPR: 6
; COMPUTE_PGM_RSRC2:TRAP_HANDLER: 0
; COMPUTE_PGM_RSRC2:TGID_X_EN: 1
; COMPUTE_PGM_RSRC2:TGID_Y_EN: 0
; COMPUTE_PGM_RSRC2:TGID_Z_EN: 0
; COMPUTE_PGM_RSRC2:TIDIG_COMP_CNT: 0
	.section	.text._ZN7rocprim17ROCPRIM_400000_NS6detail17trampoline_kernelINS0_14default_configENS1_25transform_config_selectorIN6thrust23THRUST_200600_302600_NS5tupleIffNS6_9null_typeES8_S8_S8_S8_S8_S8_S8_EELb0EEEZNS1_14transform_implILb0ES3_SA_PS9_NS6_6detail15normal_iteratorINS6_10device_ptrIS9_EEEENS0_8identityIS9_EEEE10hipError_tT2_T3_mT4_P12ihipStream_tbEUlT_E_NS1_11comp_targetILNS1_3genE0ELNS1_11target_archE4294967295ELNS1_3gpuE0ELNS1_3repE0EEENS1_30default_config_static_selectorELNS0_4arch9wavefront6targetE0EEEvT1_,"axG",@progbits,_ZN7rocprim17ROCPRIM_400000_NS6detail17trampoline_kernelINS0_14default_configENS1_25transform_config_selectorIN6thrust23THRUST_200600_302600_NS5tupleIffNS6_9null_typeES8_S8_S8_S8_S8_S8_S8_EELb0EEEZNS1_14transform_implILb0ES3_SA_PS9_NS6_6detail15normal_iteratorINS6_10device_ptrIS9_EEEENS0_8identityIS9_EEEE10hipError_tT2_T3_mT4_P12ihipStream_tbEUlT_E_NS1_11comp_targetILNS1_3genE0ELNS1_11target_archE4294967295ELNS1_3gpuE0ELNS1_3repE0EEENS1_30default_config_static_selectorELNS0_4arch9wavefront6targetE0EEEvT1_,comdat
	.protected	_ZN7rocprim17ROCPRIM_400000_NS6detail17trampoline_kernelINS0_14default_configENS1_25transform_config_selectorIN6thrust23THRUST_200600_302600_NS5tupleIffNS6_9null_typeES8_S8_S8_S8_S8_S8_S8_EELb0EEEZNS1_14transform_implILb0ES3_SA_PS9_NS6_6detail15normal_iteratorINS6_10device_ptrIS9_EEEENS0_8identityIS9_EEEE10hipError_tT2_T3_mT4_P12ihipStream_tbEUlT_E_NS1_11comp_targetILNS1_3genE0ELNS1_11target_archE4294967295ELNS1_3gpuE0ELNS1_3repE0EEENS1_30default_config_static_selectorELNS0_4arch9wavefront6targetE0EEEvT1_ ; -- Begin function _ZN7rocprim17ROCPRIM_400000_NS6detail17trampoline_kernelINS0_14default_configENS1_25transform_config_selectorIN6thrust23THRUST_200600_302600_NS5tupleIffNS6_9null_typeES8_S8_S8_S8_S8_S8_S8_EELb0EEEZNS1_14transform_implILb0ES3_SA_PS9_NS6_6detail15normal_iteratorINS6_10device_ptrIS9_EEEENS0_8identityIS9_EEEE10hipError_tT2_T3_mT4_P12ihipStream_tbEUlT_E_NS1_11comp_targetILNS1_3genE0ELNS1_11target_archE4294967295ELNS1_3gpuE0ELNS1_3repE0EEENS1_30default_config_static_selectorELNS0_4arch9wavefront6targetE0EEEvT1_
	.globl	_ZN7rocprim17ROCPRIM_400000_NS6detail17trampoline_kernelINS0_14default_configENS1_25transform_config_selectorIN6thrust23THRUST_200600_302600_NS5tupleIffNS6_9null_typeES8_S8_S8_S8_S8_S8_S8_EELb0EEEZNS1_14transform_implILb0ES3_SA_PS9_NS6_6detail15normal_iteratorINS6_10device_ptrIS9_EEEENS0_8identityIS9_EEEE10hipError_tT2_T3_mT4_P12ihipStream_tbEUlT_E_NS1_11comp_targetILNS1_3genE0ELNS1_11target_archE4294967295ELNS1_3gpuE0ELNS1_3repE0EEENS1_30default_config_static_selectorELNS0_4arch9wavefront6targetE0EEEvT1_
	.p2align	8
	.type	_ZN7rocprim17ROCPRIM_400000_NS6detail17trampoline_kernelINS0_14default_configENS1_25transform_config_selectorIN6thrust23THRUST_200600_302600_NS5tupleIffNS6_9null_typeES8_S8_S8_S8_S8_S8_S8_EELb0EEEZNS1_14transform_implILb0ES3_SA_PS9_NS6_6detail15normal_iteratorINS6_10device_ptrIS9_EEEENS0_8identityIS9_EEEE10hipError_tT2_T3_mT4_P12ihipStream_tbEUlT_E_NS1_11comp_targetILNS1_3genE0ELNS1_11target_archE4294967295ELNS1_3gpuE0ELNS1_3repE0EEENS1_30default_config_static_selectorELNS0_4arch9wavefront6targetE0EEEvT1_,@function
_ZN7rocprim17ROCPRIM_400000_NS6detail17trampoline_kernelINS0_14default_configENS1_25transform_config_selectorIN6thrust23THRUST_200600_302600_NS5tupleIffNS6_9null_typeES8_S8_S8_S8_S8_S8_S8_EELb0EEEZNS1_14transform_implILb0ES3_SA_PS9_NS6_6detail15normal_iteratorINS6_10device_ptrIS9_EEEENS0_8identityIS9_EEEE10hipError_tT2_T3_mT4_P12ihipStream_tbEUlT_E_NS1_11comp_targetILNS1_3genE0ELNS1_11target_archE4294967295ELNS1_3gpuE0ELNS1_3repE0EEENS1_30default_config_static_selectorELNS0_4arch9wavefront6targetE0EEEvT1_: ; @_ZN7rocprim17ROCPRIM_400000_NS6detail17trampoline_kernelINS0_14default_configENS1_25transform_config_selectorIN6thrust23THRUST_200600_302600_NS5tupleIffNS6_9null_typeES8_S8_S8_S8_S8_S8_S8_EELb0EEEZNS1_14transform_implILb0ES3_SA_PS9_NS6_6detail15normal_iteratorINS6_10device_ptrIS9_EEEENS0_8identityIS9_EEEE10hipError_tT2_T3_mT4_P12ihipStream_tbEUlT_E_NS1_11comp_targetILNS1_3genE0ELNS1_11target_archE4294967295ELNS1_3gpuE0ELNS1_3repE0EEENS1_30default_config_static_selectorELNS0_4arch9wavefront6targetE0EEEvT1_
; %bb.0:
	.section	.rodata,"a",@progbits
	.p2align	6, 0x0
	.amdhsa_kernel _ZN7rocprim17ROCPRIM_400000_NS6detail17trampoline_kernelINS0_14default_configENS1_25transform_config_selectorIN6thrust23THRUST_200600_302600_NS5tupleIffNS6_9null_typeES8_S8_S8_S8_S8_S8_S8_EELb0EEEZNS1_14transform_implILb0ES3_SA_PS9_NS6_6detail15normal_iteratorINS6_10device_ptrIS9_EEEENS0_8identityIS9_EEEE10hipError_tT2_T3_mT4_P12ihipStream_tbEUlT_E_NS1_11comp_targetILNS1_3genE0ELNS1_11target_archE4294967295ELNS1_3gpuE0ELNS1_3repE0EEENS1_30default_config_static_selectorELNS0_4arch9wavefront6targetE0EEEvT1_
		.amdhsa_group_segment_fixed_size 0
		.amdhsa_private_segment_fixed_size 0
		.amdhsa_kernarg_size 40
		.amdhsa_user_sgpr_count 6
		.amdhsa_user_sgpr_private_segment_buffer 1
		.amdhsa_user_sgpr_dispatch_ptr 0
		.amdhsa_user_sgpr_queue_ptr 0
		.amdhsa_user_sgpr_kernarg_segment_ptr 1
		.amdhsa_user_sgpr_dispatch_id 0
		.amdhsa_user_sgpr_flat_scratch_init 0
		.amdhsa_user_sgpr_private_segment_size 0
		.amdhsa_wavefront_size32 1
		.amdhsa_uses_dynamic_stack 0
		.amdhsa_system_sgpr_private_segment_wavefront_offset 0
		.amdhsa_system_sgpr_workgroup_id_x 1
		.amdhsa_system_sgpr_workgroup_id_y 0
		.amdhsa_system_sgpr_workgroup_id_z 0
		.amdhsa_system_sgpr_workgroup_info 0
		.amdhsa_system_vgpr_workitem_id 0
		.amdhsa_next_free_vgpr 1
		.amdhsa_next_free_sgpr 1
		.amdhsa_reserve_vcc 0
		.amdhsa_reserve_flat_scratch 0
		.amdhsa_float_round_mode_32 0
		.amdhsa_float_round_mode_16_64 0
		.amdhsa_float_denorm_mode_32 3
		.amdhsa_float_denorm_mode_16_64 3
		.amdhsa_dx10_clamp 1
		.amdhsa_ieee_mode 1
		.amdhsa_fp16_overflow 0
		.amdhsa_workgroup_processor_mode 1
		.amdhsa_memory_ordered 1
		.amdhsa_forward_progress 1
		.amdhsa_shared_vgpr_count 0
		.amdhsa_exception_fp_ieee_invalid_op 0
		.amdhsa_exception_fp_denorm_src 0
		.amdhsa_exception_fp_ieee_div_zero 0
		.amdhsa_exception_fp_ieee_overflow 0
		.amdhsa_exception_fp_ieee_underflow 0
		.amdhsa_exception_fp_ieee_inexact 0
		.amdhsa_exception_int_div_zero 0
	.end_amdhsa_kernel
	.section	.text._ZN7rocprim17ROCPRIM_400000_NS6detail17trampoline_kernelINS0_14default_configENS1_25transform_config_selectorIN6thrust23THRUST_200600_302600_NS5tupleIffNS6_9null_typeES8_S8_S8_S8_S8_S8_S8_EELb0EEEZNS1_14transform_implILb0ES3_SA_PS9_NS6_6detail15normal_iteratorINS6_10device_ptrIS9_EEEENS0_8identityIS9_EEEE10hipError_tT2_T3_mT4_P12ihipStream_tbEUlT_E_NS1_11comp_targetILNS1_3genE0ELNS1_11target_archE4294967295ELNS1_3gpuE0ELNS1_3repE0EEENS1_30default_config_static_selectorELNS0_4arch9wavefront6targetE0EEEvT1_,"axG",@progbits,_ZN7rocprim17ROCPRIM_400000_NS6detail17trampoline_kernelINS0_14default_configENS1_25transform_config_selectorIN6thrust23THRUST_200600_302600_NS5tupleIffNS6_9null_typeES8_S8_S8_S8_S8_S8_S8_EELb0EEEZNS1_14transform_implILb0ES3_SA_PS9_NS6_6detail15normal_iteratorINS6_10device_ptrIS9_EEEENS0_8identityIS9_EEEE10hipError_tT2_T3_mT4_P12ihipStream_tbEUlT_E_NS1_11comp_targetILNS1_3genE0ELNS1_11target_archE4294967295ELNS1_3gpuE0ELNS1_3repE0EEENS1_30default_config_static_selectorELNS0_4arch9wavefront6targetE0EEEvT1_,comdat
.Lfunc_end82:
	.size	_ZN7rocprim17ROCPRIM_400000_NS6detail17trampoline_kernelINS0_14default_configENS1_25transform_config_selectorIN6thrust23THRUST_200600_302600_NS5tupleIffNS6_9null_typeES8_S8_S8_S8_S8_S8_S8_EELb0EEEZNS1_14transform_implILb0ES3_SA_PS9_NS6_6detail15normal_iteratorINS6_10device_ptrIS9_EEEENS0_8identityIS9_EEEE10hipError_tT2_T3_mT4_P12ihipStream_tbEUlT_E_NS1_11comp_targetILNS1_3genE0ELNS1_11target_archE4294967295ELNS1_3gpuE0ELNS1_3repE0EEENS1_30default_config_static_selectorELNS0_4arch9wavefront6targetE0EEEvT1_, .Lfunc_end82-_ZN7rocprim17ROCPRIM_400000_NS6detail17trampoline_kernelINS0_14default_configENS1_25transform_config_selectorIN6thrust23THRUST_200600_302600_NS5tupleIffNS6_9null_typeES8_S8_S8_S8_S8_S8_S8_EELb0EEEZNS1_14transform_implILb0ES3_SA_PS9_NS6_6detail15normal_iteratorINS6_10device_ptrIS9_EEEENS0_8identityIS9_EEEE10hipError_tT2_T3_mT4_P12ihipStream_tbEUlT_E_NS1_11comp_targetILNS1_3genE0ELNS1_11target_archE4294967295ELNS1_3gpuE0ELNS1_3repE0EEENS1_30default_config_static_selectorELNS0_4arch9wavefront6targetE0EEEvT1_
                                        ; -- End function
	.set _ZN7rocprim17ROCPRIM_400000_NS6detail17trampoline_kernelINS0_14default_configENS1_25transform_config_selectorIN6thrust23THRUST_200600_302600_NS5tupleIffNS6_9null_typeES8_S8_S8_S8_S8_S8_S8_EELb0EEEZNS1_14transform_implILb0ES3_SA_PS9_NS6_6detail15normal_iteratorINS6_10device_ptrIS9_EEEENS0_8identityIS9_EEEE10hipError_tT2_T3_mT4_P12ihipStream_tbEUlT_E_NS1_11comp_targetILNS1_3genE0ELNS1_11target_archE4294967295ELNS1_3gpuE0ELNS1_3repE0EEENS1_30default_config_static_selectorELNS0_4arch9wavefront6targetE0EEEvT1_.num_vgpr, 0
	.set _ZN7rocprim17ROCPRIM_400000_NS6detail17trampoline_kernelINS0_14default_configENS1_25transform_config_selectorIN6thrust23THRUST_200600_302600_NS5tupleIffNS6_9null_typeES8_S8_S8_S8_S8_S8_S8_EELb0EEEZNS1_14transform_implILb0ES3_SA_PS9_NS6_6detail15normal_iteratorINS6_10device_ptrIS9_EEEENS0_8identityIS9_EEEE10hipError_tT2_T3_mT4_P12ihipStream_tbEUlT_E_NS1_11comp_targetILNS1_3genE0ELNS1_11target_archE4294967295ELNS1_3gpuE0ELNS1_3repE0EEENS1_30default_config_static_selectorELNS0_4arch9wavefront6targetE0EEEvT1_.num_agpr, 0
	.set _ZN7rocprim17ROCPRIM_400000_NS6detail17trampoline_kernelINS0_14default_configENS1_25transform_config_selectorIN6thrust23THRUST_200600_302600_NS5tupleIffNS6_9null_typeES8_S8_S8_S8_S8_S8_S8_EELb0EEEZNS1_14transform_implILb0ES3_SA_PS9_NS6_6detail15normal_iteratorINS6_10device_ptrIS9_EEEENS0_8identityIS9_EEEE10hipError_tT2_T3_mT4_P12ihipStream_tbEUlT_E_NS1_11comp_targetILNS1_3genE0ELNS1_11target_archE4294967295ELNS1_3gpuE0ELNS1_3repE0EEENS1_30default_config_static_selectorELNS0_4arch9wavefront6targetE0EEEvT1_.numbered_sgpr, 0
	.set _ZN7rocprim17ROCPRIM_400000_NS6detail17trampoline_kernelINS0_14default_configENS1_25transform_config_selectorIN6thrust23THRUST_200600_302600_NS5tupleIffNS6_9null_typeES8_S8_S8_S8_S8_S8_S8_EELb0EEEZNS1_14transform_implILb0ES3_SA_PS9_NS6_6detail15normal_iteratorINS6_10device_ptrIS9_EEEENS0_8identityIS9_EEEE10hipError_tT2_T3_mT4_P12ihipStream_tbEUlT_E_NS1_11comp_targetILNS1_3genE0ELNS1_11target_archE4294967295ELNS1_3gpuE0ELNS1_3repE0EEENS1_30default_config_static_selectorELNS0_4arch9wavefront6targetE0EEEvT1_.num_named_barrier, 0
	.set _ZN7rocprim17ROCPRIM_400000_NS6detail17trampoline_kernelINS0_14default_configENS1_25transform_config_selectorIN6thrust23THRUST_200600_302600_NS5tupleIffNS6_9null_typeES8_S8_S8_S8_S8_S8_S8_EELb0EEEZNS1_14transform_implILb0ES3_SA_PS9_NS6_6detail15normal_iteratorINS6_10device_ptrIS9_EEEENS0_8identityIS9_EEEE10hipError_tT2_T3_mT4_P12ihipStream_tbEUlT_E_NS1_11comp_targetILNS1_3genE0ELNS1_11target_archE4294967295ELNS1_3gpuE0ELNS1_3repE0EEENS1_30default_config_static_selectorELNS0_4arch9wavefront6targetE0EEEvT1_.private_seg_size, 0
	.set _ZN7rocprim17ROCPRIM_400000_NS6detail17trampoline_kernelINS0_14default_configENS1_25transform_config_selectorIN6thrust23THRUST_200600_302600_NS5tupleIffNS6_9null_typeES8_S8_S8_S8_S8_S8_S8_EELb0EEEZNS1_14transform_implILb0ES3_SA_PS9_NS6_6detail15normal_iteratorINS6_10device_ptrIS9_EEEENS0_8identityIS9_EEEE10hipError_tT2_T3_mT4_P12ihipStream_tbEUlT_E_NS1_11comp_targetILNS1_3genE0ELNS1_11target_archE4294967295ELNS1_3gpuE0ELNS1_3repE0EEENS1_30default_config_static_selectorELNS0_4arch9wavefront6targetE0EEEvT1_.uses_vcc, 0
	.set _ZN7rocprim17ROCPRIM_400000_NS6detail17trampoline_kernelINS0_14default_configENS1_25transform_config_selectorIN6thrust23THRUST_200600_302600_NS5tupleIffNS6_9null_typeES8_S8_S8_S8_S8_S8_S8_EELb0EEEZNS1_14transform_implILb0ES3_SA_PS9_NS6_6detail15normal_iteratorINS6_10device_ptrIS9_EEEENS0_8identityIS9_EEEE10hipError_tT2_T3_mT4_P12ihipStream_tbEUlT_E_NS1_11comp_targetILNS1_3genE0ELNS1_11target_archE4294967295ELNS1_3gpuE0ELNS1_3repE0EEENS1_30default_config_static_selectorELNS0_4arch9wavefront6targetE0EEEvT1_.uses_flat_scratch, 0
	.set _ZN7rocprim17ROCPRIM_400000_NS6detail17trampoline_kernelINS0_14default_configENS1_25transform_config_selectorIN6thrust23THRUST_200600_302600_NS5tupleIffNS6_9null_typeES8_S8_S8_S8_S8_S8_S8_EELb0EEEZNS1_14transform_implILb0ES3_SA_PS9_NS6_6detail15normal_iteratorINS6_10device_ptrIS9_EEEENS0_8identityIS9_EEEE10hipError_tT2_T3_mT4_P12ihipStream_tbEUlT_E_NS1_11comp_targetILNS1_3genE0ELNS1_11target_archE4294967295ELNS1_3gpuE0ELNS1_3repE0EEENS1_30default_config_static_selectorELNS0_4arch9wavefront6targetE0EEEvT1_.has_dyn_sized_stack, 0
	.set _ZN7rocprim17ROCPRIM_400000_NS6detail17trampoline_kernelINS0_14default_configENS1_25transform_config_selectorIN6thrust23THRUST_200600_302600_NS5tupleIffNS6_9null_typeES8_S8_S8_S8_S8_S8_S8_EELb0EEEZNS1_14transform_implILb0ES3_SA_PS9_NS6_6detail15normal_iteratorINS6_10device_ptrIS9_EEEENS0_8identityIS9_EEEE10hipError_tT2_T3_mT4_P12ihipStream_tbEUlT_E_NS1_11comp_targetILNS1_3genE0ELNS1_11target_archE4294967295ELNS1_3gpuE0ELNS1_3repE0EEENS1_30default_config_static_selectorELNS0_4arch9wavefront6targetE0EEEvT1_.has_recursion, 0
	.set _ZN7rocprim17ROCPRIM_400000_NS6detail17trampoline_kernelINS0_14default_configENS1_25transform_config_selectorIN6thrust23THRUST_200600_302600_NS5tupleIffNS6_9null_typeES8_S8_S8_S8_S8_S8_S8_EELb0EEEZNS1_14transform_implILb0ES3_SA_PS9_NS6_6detail15normal_iteratorINS6_10device_ptrIS9_EEEENS0_8identityIS9_EEEE10hipError_tT2_T3_mT4_P12ihipStream_tbEUlT_E_NS1_11comp_targetILNS1_3genE0ELNS1_11target_archE4294967295ELNS1_3gpuE0ELNS1_3repE0EEENS1_30default_config_static_selectorELNS0_4arch9wavefront6targetE0EEEvT1_.has_indirect_call, 0
	.section	.AMDGPU.csdata,"",@progbits
; Kernel info:
; codeLenInByte = 0
; TotalNumSgprs: 0
; NumVgprs: 0
; ScratchSize: 0
; MemoryBound: 0
; FloatMode: 240
; IeeeMode: 1
; LDSByteSize: 0 bytes/workgroup (compile time only)
; SGPRBlocks: 0
; VGPRBlocks: 0
; NumSGPRsForWavesPerEU: 1
; NumVGPRsForWavesPerEU: 1
; Occupancy: 16
; WaveLimiterHint : 0
; COMPUTE_PGM_RSRC2:SCRATCH_EN: 0
; COMPUTE_PGM_RSRC2:USER_SGPR: 6
; COMPUTE_PGM_RSRC2:TRAP_HANDLER: 0
; COMPUTE_PGM_RSRC2:TGID_X_EN: 1
; COMPUTE_PGM_RSRC2:TGID_Y_EN: 0
; COMPUTE_PGM_RSRC2:TGID_Z_EN: 0
; COMPUTE_PGM_RSRC2:TIDIG_COMP_CNT: 0
	.section	.text._ZN7rocprim17ROCPRIM_400000_NS6detail17trampoline_kernelINS0_14default_configENS1_25transform_config_selectorIN6thrust23THRUST_200600_302600_NS5tupleIffNS6_9null_typeES8_S8_S8_S8_S8_S8_S8_EELb0EEEZNS1_14transform_implILb0ES3_SA_PS9_NS6_6detail15normal_iteratorINS6_10device_ptrIS9_EEEENS0_8identityIS9_EEEE10hipError_tT2_T3_mT4_P12ihipStream_tbEUlT_E_NS1_11comp_targetILNS1_3genE5ELNS1_11target_archE942ELNS1_3gpuE9ELNS1_3repE0EEENS1_30default_config_static_selectorELNS0_4arch9wavefront6targetE0EEEvT1_,"axG",@progbits,_ZN7rocprim17ROCPRIM_400000_NS6detail17trampoline_kernelINS0_14default_configENS1_25transform_config_selectorIN6thrust23THRUST_200600_302600_NS5tupleIffNS6_9null_typeES8_S8_S8_S8_S8_S8_S8_EELb0EEEZNS1_14transform_implILb0ES3_SA_PS9_NS6_6detail15normal_iteratorINS6_10device_ptrIS9_EEEENS0_8identityIS9_EEEE10hipError_tT2_T3_mT4_P12ihipStream_tbEUlT_E_NS1_11comp_targetILNS1_3genE5ELNS1_11target_archE942ELNS1_3gpuE9ELNS1_3repE0EEENS1_30default_config_static_selectorELNS0_4arch9wavefront6targetE0EEEvT1_,comdat
	.protected	_ZN7rocprim17ROCPRIM_400000_NS6detail17trampoline_kernelINS0_14default_configENS1_25transform_config_selectorIN6thrust23THRUST_200600_302600_NS5tupleIffNS6_9null_typeES8_S8_S8_S8_S8_S8_S8_EELb0EEEZNS1_14transform_implILb0ES3_SA_PS9_NS6_6detail15normal_iteratorINS6_10device_ptrIS9_EEEENS0_8identityIS9_EEEE10hipError_tT2_T3_mT4_P12ihipStream_tbEUlT_E_NS1_11comp_targetILNS1_3genE5ELNS1_11target_archE942ELNS1_3gpuE9ELNS1_3repE0EEENS1_30default_config_static_selectorELNS0_4arch9wavefront6targetE0EEEvT1_ ; -- Begin function _ZN7rocprim17ROCPRIM_400000_NS6detail17trampoline_kernelINS0_14default_configENS1_25transform_config_selectorIN6thrust23THRUST_200600_302600_NS5tupleIffNS6_9null_typeES8_S8_S8_S8_S8_S8_S8_EELb0EEEZNS1_14transform_implILb0ES3_SA_PS9_NS6_6detail15normal_iteratorINS6_10device_ptrIS9_EEEENS0_8identityIS9_EEEE10hipError_tT2_T3_mT4_P12ihipStream_tbEUlT_E_NS1_11comp_targetILNS1_3genE5ELNS1_11target_archE942ELNS1_3gpuE9ELNS1_3repE0EEENS1_30default_config_static_selectorELNS0_4arch9wavefront6targetE0EEEvT1_
	.globl	_ZN7rocprim17ROCPRIM_400000_NS6detail17trampoline_kernelINS0_14default_configENS1_25transform_config_selectorIN6thrust23THRUST_200600_302600_NS5tupleIffNS6_9null_typeES8_S8_S8_S8_S8_S8_S8_EELb0EEEZNS1_14transform_implILb0ES3_SA_PS9_NS6_6detail15normal_iteratorINS6_10device_ptrIS9_EEEENS0_8identityIS9_EEEE10hipError_tT2_T3_mT4_P12ihipStream_tbEUlT_E_NS1_11comp_targetILNS1_3genE5ELNS1_11target_archE942ELNS1_3gpuE9ELNS1_3repE0EEENS1_30default_config_static_selectorELNS0_4arch9wavefront6targetE0EEEvT1_
	.p2align	8
	.type	_ZN7rocprim17ROCPRIM_400000_NS6detail17trampoline_kernelINS0_14default_configENS1_25transform_config_selectorIN6thrust23THRUST_200600_302600_NS5tupleIffNS6_9null_typeES8_S8_S8_S8_S8_S8_S8_EELb0EEEZNS1_14transform_implILb0ES3_SA_PS9_NS6_6detail15normal_iteratorINS6_10device_ptrIS9_EEEENS0_8identityIS9_EEEE10hipError_tT2_T3_mT4_P12ihipStream_tbEUlT_E_NS1_11comp_targetILNS1_3genE5ELNS1_11target_archE942ELNS1_3gpuE9ELNS1_3repE0EEENS1_30default_config_static_selectorELNS0_4arch9wavefront6targetE0EEEvT1_,@function
_ZN7rocprim17ROCPRIM_400000_NS6detail17trampoline_kernelINS0_14default_configENS1_25transform_config_selectorIN6thrust23THRUST_200600_302600_NS5tupleIffNS6_9null_typeES8_S8_S8_S8_S8_S8_S8_EELb0EEEZNS1_14transform_implILb0ES3_SA_PS9_NS6_6detail15normal_iteratorINS6_10device_ptrIS9_EEEENS0_8identityIS9_EEEE10hipError_tT2_T3_mT4_P12ihipStream_tbEUlT_E_NS1_11comp_targetILNS1_3genE5ELNS1_11target_archE942ELNS1_3gpuE9ELNS1_3repE0EEENS1_30default_config_static_selectorELNS0_4arch9wavefront6targetE0EEEvT1_: ; @_ZN7rocprim17ROCPRIM_400000_NS6detail17trampoline_kernelINS0_14default_configENS1_25transform_config_selectorIN6thrust23THRUST_200600_302600_NS5tupleIffNS6_9null_typeES8_S8_S8_S8_S8_S8_S8_EELb0EEEZNS1_14transform_implILb0ES3_SA_PS9_NS6_6detail15normal_iteratorINS6_10device_ptrIS9_EEEENS0_8identityIS9_EEEE10hipError_tT2_T3_mT4_P12ihipStream_tbEUlT_E_NS1_11comp_targetILNS1_3genE5ELNS1_11target_archE942ELNS1_3gpuE9ELNS1_3repE0EEENS1_30default_config_static_selectorELNS0_4arch9wavefront6targetE0EEEvT1_
; %bb.0:
	.section	.rodata,"a",@progbits
	.p2align	6, 0x0
	.amdhsa_kernel _ZN7rocprim17ROCPRIM_400000_NS6detail17trampoline_kernelINS0_14default_configENS1_25transform_config_selectorIN6thrust23THRUST_200600_302600_NS5tupleIffNS6_9null_typeES8_S8_S8_S8_S8_S8_S8_EELb0EEEZNS1_14transform_implILb0ES3_SA_PS9_NS6_6detail15normal_iteratorINS6_10device_ptrIS9_EEEENS0_8identityIS9_EEEE10hipError_tT2_T3_mT4_P12ihipStream_tbEUlT_E_NS1_11comp_targetILNS1_3genE5ELNS1_11target_archE942ELNS1_3gpuE9ELNS1_3repE0EEENS1_30default_config_static_selectorELNS0_4arch9wavefront6targetE0EEEvT1_
		.amdhsa_group_segment_fixed_size 0
		.amdhsa_private_segment_fixed_size 0
		.amdhsa_kernarg_size 40
		.amdhsa_user_sgpr_count 6
		.amdhsa_user_sgpr_private_segment_buffer 1
		.amdhsa_user_sgpr_dispatch_ptr 0
		.amdhsa_user_sgpr_queue_ptr 0
		.amdhsa_user_sgpr_kernarg_segment_ptr 1
		.amdhsa_user_sgpr_dispatch_id 0
		.amdhsa_user_sgpr_flat_scratch_init 0
		.amdhsa_user_sgpr_private_segment_size 0
		.amdhsa_wavefront_size32 1
		.amdhsa_uses_dynamic_stack 0
		.amdhsa_system_sgpr_private_segment_wavefront_offset 0
		.amdhsa_system_sgpr_workgroup_id_x 1
		.amdhsa_system_sgpr_workgroup_id_y 0
		.amdhsa_system_sgpr_workgroup_id_z 0
		.amdhsa_system_sgpr_workgroup_info 0
		.amdhsa_system_vgpr_workitem_id 0
		.amdhsa_next_free_vgpr 1
		.amdhsa_next_free_sgpr 1
		.amdhsa_reserve_vcc 0
		.amdhsa_reserve_flat_scratch 0
		.amdhsa_float_round_mode_32 0
		.amdhsa_float_round_mode_16_64 0
		.amdhsa_float_denorm_mode_32 3
		.amdhsa_float_denorm_mode_16_64 3
		.amdhsa_dx10_clamp 1
		.amdhsa_ieee_mode 1
		.amdhsa_fp16_overflow 0
		.amdhsa_workgroup_processor_mode 1
		.amdhsa_memory_ordered 1
		.amdhsa_forward_progress 1
		.amdhsa_shared_vgpr_count 0
		.amdhsa_exception_fp_ieee_invalid_op 0
		.amdhsa_exception_fp_denorm_src 0
		.amdhsa_exception_fp_ieee_div_zero 0
		.amdhsa_exception_fp_ieee_overflow 0
		.amdhsa_exception_fp_ieee_underflow 0
		.amdhsa_exception_fp_ieee_inexact 0
		.amdhsa_exception_int_div_zero 0
	.end_amdhsa_kernel
	.section	.text._ZN7rocprim17ROCPRIM_400000_NS6detail17trampoline_kernelINS0_14default_configENS1_25transform_config_selectorIN6thrust23THRUST_200600_302600_NS5tupleIffNS6_9null_typeES8_S8_S8_S8_S8_S8_S8_EELb0EEEZNS1_14transform_implILb0ES3_SA_PS9_NS6_6detail15normal_iteratorINS6_10device_ptrIS9_EEEENS0_8identityIS9_EEEE10hipError_tT2_T3_mT4_P12ihipStream_tbEUlT_E_NS1_11comp_targetILNS1_3genE5ELNS1_11target_archE942ELNS1_3gpuE9ELNS1_3repE0EEENS1_30default_config_static_selectorELNS0_4arch9wavefront6targetE0EEEvT1_,"axG",@progbits,_ZN7rocprim17ROCPRIM_400000_NS6detail17trampoline_kernelINS0_14default_configENS1_25transform_config_selectorIN6thrust23THRUST_200600_302600_NS5tupleIffNS6_9null_typeES8_S8_S8_S8_S8_S8_S8_EELb0EEEZNS1_14transform_implILb0ES3_SA_PS9_NS6_6detail15normal_iteratorINS6_10device_ptrIS9_EEEENS0_8identityIS9_EEEE10hipError_tT2_T3_mT4_P12ihipStream_tbEUlT_E_NS1_11comp_targetILNS1_3genE5ELNS1_11target_archE942ELNS1_3gpuE9ELNS1_3repE0EEENS1_30default_config_static_selectorELNS0_4arch9wavefront6targetE0EEEvT1_,comdat
.Lfunc_end83:
	.size	_ZN7rocprim17ROCPRIM_400000_NS6detail17trampoline_kernelINS0_14default_configENS1_25transform_config_selectorIN6thrust23THRUST_200600_302600_NS5tupleIffNS6_9null_typeES8_S8_S8_S8_S8_S8_S8_EELb0EEEZNS1_14transform_implILb0ES3_SA_PS9_NS6_6detail15normal_iteratorINS6_10device_ptrIS9_EEEENS0_8identityIS9_EEEE10hipError_tT2_T3_mT4_P12ihipStream_tbEUlT_E_NS1_11comp_targetILNS1_3genE5ELNS1_11target_archE942ELNS1_3gpuE9ELNS1_3repE0EEENS1_30default_config_static_selectorELNS0_4arch9wavefront6targetE0EEEvT1_, .Lfunc_end83-_ZN7rocprim17ROCPRIM_400000_NS6detail17trampoline_kernelINS0_14default_configENS1_25transform_config_selectorIN6thrust23THRUST_200600_302600_NS5tupleIffNS6_9null_typeES8_S8_S8_S8_S8_S8_S8_EELb0EEEZNS1_14transform_implILb0ES3_SA_PS9_NS6_6detail15normal_iteratorINS6_10device_ptrIS9_EEEENS0_8identityIS9_EEEE10hipError_tT2_T3_mT4_P12ihipStream_tbEUlT_E_NS1_11comp_targetILNS1_3genE5ELNS1_11target_archE942ELNS1_3gpuE9ELNS1_3repE0EEENS1_30default_config_static_selectorELNS0_4arch9wavefront6targetE0EEEvT1_
                                        ; -- End function
	.set _ZN7rocprim17ROCPRIM_400000_NS6detail17trampoline_kernelINS0_14default_configENS1_25transform_config_selectorIN6thrust23THRUST_200600_302600_NS5tupleIffNS6_9null_typeES8_S8_S8_S8_S8_S8_S8_EELb0EEEZNS1_14transform_implILb0ES3_SA_PS9_NS6_6detail15normal_iteratorINS6_10device_ptrIS9_EEEENS0_8identityIS9_EEEE10hipError_tT2_T3_mT4_P12ihipStream_tbEUlT_E_NS1_11comp_targetILNS1_3genE5ELNS1_11target_archE942ELNS1_3gpuE9ELNS1_3repE0EEENS1_30default_config_static_selectorELNS0_4arch9wavefront6targetE0EEEvT1_.num_vgpr, 0
	.set _ZN7rocprim17ROCPRIM_400000_NS6detail17trampoline_kernelINS0_14default_configENS1_25transform_config_selectorIN6thrust23THRUST_200600_302600_NS5tupleIffNS6_9null_typeES8_S8_S8_S8_S8_S8_S8_EELb0EEEZNS1_14transform_implILb0ES3_SA_PS9_NS6_6detail15normal_iteratorINS6_10device_ptrIS9_EEEENS0_8identityIS9_EEEE10hipError_tT2_T3_mT4_P12ihipStream_tbEUlT_E_NS1_11comp_targetILNS1_3genE5ELNS1_11target_archE942ELNS1_3gpuE9ELNS1_3repE0EEENS1_30default_config_static_selectorELNS0_4arch9wavefront6targetE0EEEvT1_.num_agpr, 0
	.set _ZN7rocprim17ROCPRIM_400000_NS6detail17trampoline_kernelINS0_14default_configENS1_25transform_config_selectorIN6thrust23THRUST_200600_302600_NS5tupleIffNS6_9null_typeES8_S8_S8_S8_S8_S8_S8_EELb0EEEZNS1_14transform_implILb0ES3_SA_PS9_NS6_6detail15normal_iteratorINS6_10device_ptrIS9_EEEENS0_8identityIS9_EEEE10hipError_tT2_T3_mT4_P12ihipStream_tbEUlT_E_NS1_11comp_targetILNS1_3genE5ELNS1_11target_archE942ELNS1_3gpuE9ELNS1_3repE0EEENS1_30default_config_static_selectorELNS0_4arch9wavefront6targetE0EEEvT1_.numbered_sgpr, 0
	.set _ZN7rocprim17ROCPRIM_400000_NS6detail17trampoline_kernelINS0_14default_configENS1_25transform_config_selectorIN6thrust23THRUST_200600_302600_NS5tupleIffNS6_9null_typeES8_S8_S8_S8_S8_S8_S8_EELb0EEEZNS1_14transform_implILb0ES3_SA_PS9_NS6_6detail15normal_iteratorINS6_10device_ptrIS9_EEEENS0_8identityIS9_EEEE10hipError_tT2_T3_mT4_P12ihipStream_tbEUlT_E_NS1_11comp_targetILNS1_3genE5ELNS1_11target_archE942ELNS1_3gpuE9ELNS1_3repE0EEENS1_30default_config_static_selectorELNS0_4arch9wavefront6targetE0EEEvT1_.num_named_barrier, 0
	.set _ZN7rocprim17ROCPRIM_400000_NS6detail17trampoline_kernelINS0_14default_configENS1_25transform_config_selectorIN6thrust23THRUST_200600_302600_NS5tupleIffNS6_9null_typeES8_S8_S8_S8_S8_S8_S8_EELb0EEEZNS1_14transform_implILb0ES3_SA_PS9_NS6_6detail15normal_iteratorINS6_10device_ptrIS9_EEEENS0_8identityIS9_EEEE10hipError_tT2_T3_mT4_P12ihipStream_tbEUlT_E_NS1_11comp_targetILNS1_3genE5ELNS1_11target_archE942ELNS1_3gpuE9ELNS1_3repE0EEENS1_30default_config_static_selectorELNS0_4arch9wavefront6targetE0EEEvT1_.private_seg_size, 0
	.set _ZN7rocprim17ROCPRIM_400000_NS6detail17trampoline_kernelINS0_14default_configENS1_25transform_config_selectorIN6thrust23THRUST_200600_302600_NS5tupleIffNS6_9null_typeES8_S8_S8_S8_S8_S8_S8_EELb0EEEZNS1_14transform_implILb0ES3_SA_PS9_NS6_6detail15normal_iteratorINS6_10device_ptrIS9_EEEENS0_8identityIS9_EEEE10hipError_tT2_T3_mT4_P12ihipStream_tbEUlT_E_NS1_11comp_targetILNS1_3genE5ELNS1_11target_archE942ELNS1_3gpuE9ELNS1_3repE0EEENS1_30default_config_static_selectorELNS0_4arch9wavefront6targetE0EEEvT1_.uses_vcc, 0
	.set _ZN7rocprim17ROCPRIM_400000_NS6detail17trampoline_kernelINS0_14default_configENS1_25transform_config_selectorIN6thrust23THRUST_200600_302600_NS5tupleIffNS6_9null_typeES8_S8_S8_S8_S8_S8_S8_EELb0EEEZNS1_14transform_implILb0ES3_SA_PS9_NS6_6detail15normal_iteratorINS6_10device_ptrIS9_EEEENS0_8identityIS9_EEEE10hipError_tT2_T3_mT4_P12ihipStream_tbEUlT_E_NS1_11comp_targetILNS1_3genE5ELNS1_11target_archE942ELNS1_3gpuE9ELNS1_3repE0EEENS1_30default_config_static_selectorELNS0_4arch9wavefront6targetE0EEEvT1_.uses_flat_scratch, 0
	.set _ZN7rocprim17ROCPRIM_400000_NS6detail17trampoline_kernelINS0_14default_configENS1_25transform_config_selectorIN6thrust23THRUST_200600_302600_NS5tupleIffNS6_9null_typeES8_S8_S8_S8_S8_S8_S8_EELb0EEEZNS1_14transform_implILb0ES3_SA_PS9_NS6_6detail15normal_iteratorINS6_10device_ptrIS9_EEEENS0_8identityIS9_EEEE10hipError_tT2_T3_mT4_P12ihipStream_tbEUlT_E_NS1_11comp_targetILNS1_3genE5ELNS1_11target_archE942ELNS1_3gpuE9ELNS1_3repE0EEENS1_30default_config_static_selectorELNS0_4arch9wavefront6targetE0EEEvT1_.has_dyn_sized_stack, 0
	.set _ZN7rocprim17ROCPRIM_400000_NS6detail17trampoline_kernelINS0_14default_configENS1_25transform_config_selectorIN6thrust23THRUST_200600_302600_NS5tupleIffNS6_9null_typeES8_S8_S8_S8_S8_S8_S8_EELb0EEEZNS1_14transform_implILb0ES3_SA_PS9_NS6_6detail15normal_iteratorINS6_10device_ptrIS9_EEEENS0_8identityIS9_EEEE10hipError_tT2_T3_mT4_P12ihipStream_tbEUlT_E_NS1_11comp_targetILNS1_3genE5ELNS1_11target_archE942ELNS1_3gpuE9ELNS1_3repE0EEENS1_30default_config_static_selectorELNS0_4arch9wavefront6targetE0EEEvT1_.has_recursion, 0
	.set _ZN7rocprim17ROCPRIM_400000_NS6detail17trampoline_kernelINS0_14default_configENS1_25transform_config_selectorIN6thrust23THRUST_200600_302600_NS5tupleIffNS6_9null_typeES8_S8_S8_S8_S8_S8_S8_EELb0EEEZNS1_14transform_implILb0ES3_SA_PS9_NS6_6detail15normal_iteratorINS6_10device_ptrIS9_EEEENS0_8identityIS9_EEEE10hipError_tT2_T3_mT4_P12ihipStream_tbEUlT_E_NS1_11comp_targetILNS1_3genE5ELNS1_11target_archE942ELNS1_3gpuE9ELNS1_3repE0EEENS1_30default_config_static_selectorELNS0_4arch9wavefront6targetE0EEEvT1_.has_indirect_call, 0
	.section	.AMDGPU.csdata,"",@progbits
; Kernel info:
; codeLenInByte = 0
; TotalNumSgprs: 0
; NumVgprs: 0
; ScratchSize: 0
; MemoryBound: 0
; FloatMode: 240
; IeeeMode: 1
; LDSByteSize: 0 bytes/workgroup (compile time only)
; SGPRBlocks: 0
; VGPRBlocks: 0
; NumSGPRsForWavesPerEU: 1
; NumVGPRsForWavesPerEU: 1
; Occupancy: 16
; WaveLimiterHint : 0
; COMPUTE_PGM_RSRC2:SCRATCH_EN: 0
; COMPUTE_PGM_RSRC2:USER_SGPR: 6
; COMPUTE_PGM_RSRC2:TRAP_HANDLER: 0
; COMPUTE_PGM_RSRC2:TGID_X_EN: 1
; COMPUTE_PGM_RSRC2:TGID_Y_EN: 0
; COMPUTE_PGM_RSRC2:TGID_Z_EN: 0
; COMPUTE_PGM_RSRC2:TIDIG_COMP_CNT: 0
	.section	.text._ZN7rocprim17ROCPRIM_400000_NS6detail17trampoline_kernelINS0_14default_configENS1_25transform_config_selectorIN6thrust23THRUST_200600_302600_NS5tupleIffNS6_9null_typeES8_S8_S8_S8_S8_S8_S8_EELb0EEEZNS1_14transform_implILb0ES3_SA_PS9_NS6_6detail15normal_iteratorINS6_10device_ptrIS9_EEEENS0_8identityIS9_EEEE10hipError_tT2_T3_mT4_P12ihipStream_tbEUlT_E_NS1_11comp_targetILNS1_3genE4ELNS1_11target_archE910ELNS1_3gpuE8ELNS1_3repE0EEENS1_30default_config_static_selectorELNS0_4arch9wavefront6targetE0EEEvT1_,"axG",@progbits,_ZN7rocprim17ROCPRIM_400000_NS6detail17trampoline_kernelINS0_14default_configENS1_25transform_config_selectorIN6thrust23THRUST_200600_302600_NS5tupleIffNS6_9null_typeES8_S8_S8_S8_S8_S8_S8_EELb0EEEZNS1_14transform_implILb0ES3_SA_PS9_NS6_6detail15normal_iteratorINS6_10device_ptrIS9_EEEENS0_8identityIS9_EEEE10hipError_tT2_T3_mT4_P12ihipStream_tbEUlT_E_NS1_11comp_targetILNS1_3genE4ELNS1_11target_archE910ELNS1_3gpuE8ELNS1_3repE0EEENS1_30default_config_static_selectorELNS0_4arch9wavefront6targetE0EEEvT1_,comdat
	.protected	_ZN7rocprim17ROCPRIM_400000_NS6detail17trampoline_kernelINS0_14default_configENS1_25transform_config_selectorIN6thrust23THRUST_200600_302600_NS5tupleIffNS6_9null_typeES8_S8_S8_S8_S8_S8_S8_EELb0EEEZNS1_14transform_implILb0ES3_SA_PS9_NS6_6detail15normal_iteratorINS6_10device_ptrIS9_EEEENS0_8identityIS9_EEEE10hipError_tT2_T3_mT4_P12ihipStream_tbEUlT_E_NS1_11comp_targetILNS1_3genE4ELNS1_11target_archE910ELNS1_3gpuE8ELNS1_3repE0EEENS1_30default_config_static_selectorELNS0_4arch9wavefront6targetE0EEEvT1_ ; -- Begin function _ZN7rocprim17ROCPRIM_400000_NS6detail17trampoline_kernelINS0_14default_configENS1_25transform_config_selectorIN6thrust23THRUST_200600_302600_NS5tupleIffNS6_9null_typeES8_S8_S8_S8_S8_S8_S8_EELb0EEEZNS1_14transform_implILb0ES3_SA_PS9_NS6_6detail15normal_iteratorINS6_10device_ptrIS9_EEEENS0_8identityIS9_EEEE10hipError_tT2_T3_mT4_P12ihipStream_tbEUlT_E_NS1_11comp_targetILNS1_3genE4ELNS1_11target_archE910ELNS1_3gpuE8ELNS1_3repE0EEENS1_30default_config_static_selectorELNS0_4arch9wavefront6targetE0EEEvT1_
	.globl	_ZN7rocprim17ROCPRIM_400000_NS6detail17trampoline_kernelINS0_14default_configENS1_25transform_config_selectorIN6thrust23THRUST_200600_302600_NS5tupleIffNS6_9null_typeES8_S8_S8_S8_S8_S8_S8_EELb0EEEZNS1_14transform_implILb0ES3_SA_PS9_NS6_6detail15normal_iteratorINS6_10device_ptrIS9_EEEENS0_8identityIS9_EEEE10hipError_tT2_T3_mT4_P12ihipStream_tbEUlT_E_NS1_11comp_targetILNS1_3genE4ELNS1_11target_archE910ELNS1_3gpuE8ELNS1_3repE0EEENS1_30default_config_static_selectorELNS0_4arch9wavefront6targetE0EEEvT1_
	.p2align	8
	.type	_ZN7rocprim17ROCPRIM_400000_NS6detail17trampoline_kernelINS0_14default_configENS1_25transform_config_selectorIN6thrust23THRUST_200600_302600_NS5tupleIffNS6_9null_typeES8_S8_S8_S8_S8_S8_S8_EELb0EEEZNS1_14transform_implILb0ES3_SA_PS9_NS6_6detail15normal_iteratorINS6_10device_ptrIS9_EEEENS0_8identityIS9_EEEE10hipError_tT2_T3_mT4_P12ihipStream_tbEUlT_E_NS1_11comp_targetILNS1_3genE4ELNS1_11target_archE910ELNS1_3gpuE8ELNS1_3repE0EEENS1_30default_config_static_selectorELNS0_4arch9wavefront6targetE0EEEvT1_,@function
_ZN7rocprim17ROCPRIM_400000_NS6detail17trampoline_kernelINS0_14default_configENS1_25transform_config_selectorIN6thrust23THRUST_200600_302600_NS5tupleIffNS6_9null_typeES8_S8_S8_S8_S8_S8_S8_EELb0EEEZNS1_14transform_implILb0ES3_SA_PS9_NS6_6detail15normal_iteratorINS6_10device_ptrIS9_EEEENS0_8identityIS9_EEEE10hipError_tT2_T3_mT4_P12ihipStream_tbEUlT_E_NS1_11comp_targetILNS1_3genE4ELNS1_11target_archE910ELNS1_3gpuE8ELNS1_3repE0EEENS1_30default_config_static_selectorELNS0_4arch9wavefront6targetE0EEEvT1_: ; @_ZN7rocprim17ROCPRIM_400000_NS6detail17trampoline_kernelINS0_14default_configENS1_25transform_config_selectorIN6thrust23THRUST_200600_302600_NS5tupleIffNS6_9null_typeES8_S8_S8_S8_S8_S8_S8_EELb0EEEZNS1_14transform_implILb0ES3_SA_PS9_NS6_6detail15normal_iteratorINS6_10device_ptrIS9_EEEENS0_8identityIS9_EEEE10hipError_tT2_T3_mT4_P12ihipStream_tbEUlT_E_NS1_11comp_targetILNS1_3genE4ELNS1_11target_archE910ELNS1_3gpuE8ELNS1_3repE0EEENS1_30default_config_static_selectorELNS0_4arch9wavefront6targetE0EEEvT1_
; %bb.0:
	.section	.rodata,"a",@progbits
	.p2align	6, 0x0
	.amdhsa_kernel _ZN7rocprim17ROCPRIM_400000_NS6detail17trampoline_kernelINS0_14default_configENS1_25transform_config_selectorIN6thrust23THRUST_200600_302600_NS5tupleIffNS6_9null_typeES8_S8_S8_S8_S8_S8_S8_EELb0EEEZNS1_14transform_implILb0ES3_SA_PS9_NS6_6detail15normal_iteratorINS6_10device_ptrIS9_EEEENS0_8identityIS9_EEEE10hipError_tT2_T3_mT4_P12ihipStream_tbEUlT_E_NS1_11comp_targetILNS1_3genE4ELNS1_11target_archE910ELNS1_3gpuE8ELNS1_3repE0EEENS1_30default_config_static_selectorELNS0_4arch9wavefront6targetE0EEEvT1_
		.amdhsa_group_segment_fixed_size 0
		.amdhsa_private_segment_fixed_size 0
		.amdhsa_kernarg_size 40
		.amdhsa_user_sgpr_count 6
		.amdhsa_user_sgpr_private_segment_buffer 1
		.amdhsa_user_sgpr_dispatch_ptr 0
		.amdhsa_user_sgpr_queue_ptr 0
		.amdhsa_user_sgpr_kernarg_segment_ptr 1
		.amdhsa_user_sgpr_dispatch_id 0
		.amdhsa_user_sgpr_flat_scratch_init 0
		.amdhsa_user_sgpr_private_segment_size 0
		.amdhsa_wavefront_size32 1
		.amdhsa_uses_dynamic_stack 0
		.amdhsa_system_sgpr_private_segment_wavefront_offset 0
		.amdhsa_system_sgpr_workgroup_id_x 1
		.amdhsa_system_sgpr_workgroup_id_y 0
		.amdhsa_system_sgpr_workgroup_id_z 0
		.amdhsa_system_sgpr_workgroup_info 0
		.amdhsa_system_vgpr_workitem_id 0
		.amdhsa_next_free_vgpr 1
		.amdhsa_next_free_sgpr 1
		.amdhsa_reserve_vcc 0
		.amdhsa_reserve_flat_scratch 0
		.amdhsa_float_round_mode_32 0
		.amdhsa_float_round_mode_16_64 0
		.amdhsa_float_denorm_mode_32 3
		.amdhsa_float_denorm_mode_16_64 3
		.amdhsa_dx10_clamp 1
		.amdhsa_ieee_mode 1
		.amdhsa_fp16_overflow 0
		.amdhsa_workgroup_processor_mode 1
		.amdhsa_memory_ordered 1
		.amdhsa_forward_progress 1
		.amdhsa_shared_vgpr_count 0
		.amdhsa_exception_fp_ieee_invalid_op 0
		.amdhsa_exception_fp_denorm_src 0
		.amdhsa_exception_fp_ieee_div_zero 0
		.amdhsa_exception_fp_ieee_overflow 0
		.amdhsa_exception_fp_ieee_underflow 0
		.amdhsa_exception_fp_ieee_inexact 0
		.amdhsa_exception_int_div_zero 0
	.end_amdhsa_kernel
	.section	.text._ZN7rocprim17ROCPRIM_400000_NS6detail17trampoline_kernelINS0_14default_configENS1_25transform_config_selectorIN6thrust23THRUST_200600_302600_NS5tupleIffNS6_9null_typeES8_S8_S8_S8_S8_S8_S8_EELb0EEEZNS1_14transform_implILb0ES3_SA_PS9_NS6_6detail15normal_iteratorINS6_10device_ptrIS9_EEEENS0_8identityIS9_EEEE10hipError_tT2_T3_mT4_P12ihipStream_tbEUlT_E_NS1_11comp_targetILNS1_3genE4ELNS1_11target_archE910ELNS1_3gpuE8ELNS1_3repE0EEENS1_30default_config_static_selectorELNS0_4arch9wavefront6targetE0EEEvT1_,"axG",@progbits,_ZN7rocprim17ROCPRIM_400000_NS6detail17trampoline_kernelINS0_14default_configENS1_25transform_config_selectorIN6thrust23THRUST_200600_302600_NS5tupleIffNS6_9null_typeES8_S8_S8_S8_S8_S8_S8_EELb0EEEZNS1_14transform_implILb0ES3_SA_PS9_NS6_6detail15normal_iteratorINS6_10device_ptrIS9_EEEENS0_8identityIS9_EEEE10hipError_tT2_T3_mT4_P12ihipStream_tbEUlT_E_NS1_11comp_targetILNS1_3genE4ELNS1_11target_archE910ELNS1_3gpuE8ELNS1_3repE0EEENS1_30default_config_static_selectorELNS0_4arch9wavefront6targetE0EEEvT1_,comdat
.Lfunc_end84:
	.size	_ZN7rocprim17ROCPRIM_400000_NS6detail17trampoline_kernelINS0_14default_configENS1_25transform_config_selectorIN6thrust23THRUST_200600_302600_NS5tupleIffNS6_9null_typeES8_S8_S8_S8_S8_S8_S8_EELb0EEEZNS1_14transform_implILb0ES3_SA_PS9_NS6_6detail15normal_iteratorINS6_10device_ptrIS9_EEEENS0_8identityIS9_EEEE10hipError_tT2_T3_mT4_P12ihipStream_tbEUlT_E_NS1_11comp_targetILNS1_3genE4ELNS1_11target_archE910ELNS1_3gpuE8ELNS1_3repE0EEENS1_30default_config_static_selectorELNS0_4arch9wavefront6targetE0EEEvT1_, .Lfunc_end84-_ZN7rocprim17ROCPRIM_400000_NS6detail17trampoline_kernelINS0_14default_configENS1_25transform_config_selectorIN6thrust23THRUST_200600_302600_NS5tupleIffNS6_9null_typeES8_S8_S8_S8_S8_S8_S8_EELb0EEEZNS1_14transform_implILb0ES3_SA_PS9_NS6_6detail15normal_iteratorINS6_10device_ptrIS9_EEEENS0_8identityIS9_EEEE10hipError_tT2_T3_mT4_P12ihipStream_tbEUlT_E_NS1_11comp_targetILNS1_3genE4ELNS1_11target_archE910ELNS1_3gpuE8ELNS1_3repE0EEENS1_30default_config_static_selectorELNS0_4arch9wavefront6targetE0EEEvT1_
                                        ; -- End function
	.set _ZN7rocprim17ROCPRIM_400000_NS6detail17trampoline_kernelINS0_14default_configENS1_25transform_config_selectorIN6thrust23THRUST_200600_302600_NS5tupleIffNS6_9null_typeES8_S8_S8_S8_S8_S8_S8_EELb0EEEZNS1_14transform_implILb0ES3_SA_PS9_NS6_6detail15normal_iteratorINS6_10device_ptrIS9_EEEENS0_8identityIS9_EEEE10hipError_tT2_T3_mT4_P12ihipStream_tbEUlT_E_NS1_11comp_targetILNS1_3genE4ELNS1_11target_archE910ELNS1_3gpuE8ELNS1_3repE0EEENS1_30default_config_static_selectorELNS0_4arch9wavefront6targetE0EEEvT1_.num_vgpr, 0
	.set _ZN7rocprim17ROCPRIM_400000_NS6detail17trampoline_kernelINS0_14default_configENS1_25transform_config_selectorIN6thrust23THRUST_200600_302600_NS5tupleIffNS6_9null_typeES8_S8_S8_S8_S8_S8_S8_EELb0EEEZNS1_14transform_implILb0ES3_SA_PS9_NS6_6detail15normal_iteratorINS6_10device_ptrIS9_EEEENS0_8identityIS9_EEEE10hipError_tT2_T3_mT4_P12ihipStream_tbEUlT_E_NS1_11comp_targetILNS1_3genE4ELNS1_11target_archE910ELNS1_3gpuE8ELNS1_3repE0EEENS1_30default_config_static_selectorELNS0_4arch9wavefront6targetE0EEEvT1_.num_agpr, 0
	.set _ZN7rocprim17ROCPRIM_400000_NS6detail17trampoline_kernelINS0_14default_configENS1_25transform_config_selectorIN6thrust23THRUST_200600_302600_NS5tupleIffNS6_9null_typeES8_S8_S8_S8_S8_S8_S8_EELb0EEEZNS1_14transform_implILb0ES3_SA_PS9_NS6_6detail15normal_iteratorINS6_10device_ptrIS9_EEEENS0_8identityIS9_EEEE10hipError_tT2_T3_mT4_P12ihipStream_tbEUlT_E_NS1_11comp_targetILNS1_3genE4ELNS1_11target_archE910ELNS1_3gpuE8ELNS1_3repE0EEENS1_30default_config_static_selectorELNS0_4arch9wavefront6targetE0EEEvT1_.numbered_sgpr, 0
	.set _ZN7rocprim17ROCPRIM_400000_NS6detail17trampoline_kernelINS0_14default_configENS1_25transform_config_selectorIN6thrust23THRUST_200600_302600_NS5tupleIffNS6_9null_typeES8_S8_S8_S8_S8_S8_S8_EELb0EEEZNS1_14transform_implILb0ES3_SA_PS9_NS6_6detail15normal_iteratorINS6_10device_ptrIS9_EEEENS0_8identityIS9_EEEE10hipError_tT2_T3_mT4_P12ihipStream_tbEUlT_E_NS1_11comp_targetILNS1_3genE4ELNS1_11target_archE910ELNS1_3gpuE8ELNS1_3repE0EEENS1_30default_config_static_selectorELNS0_4arch9wavefront6targetE0EEEvT1_.num_named_barrier, 0
	.set _ZN7rocprim17ROCPRIM_400000_NS6detail17trampoline_kernelINS0_14default_configENS1_25transform_config_selectorIN6thrust23THRUST_200600_302600_NS5tupleIffNS6_9null_typeES8_S8_S8_S8_S8_S8_S8_EELb0EEEZNS1_14transform_implILb0ES3_SA_PS9_NS6_6detail15normal_iteratorINS6_10device_ptrIS9_EEEENS0_8identityIS9_EEEE10hipError_tT2_T3_mT4_P12ihipStream_tbEUlT_E_NS1_11comp_targetILNS1_3genE4ELNS1_11target_archE910ELNS1_3gpuE8ELNS1_3repE0EEENS1_30default_config_static_selectorELNS0_4arch9wavefront6targetE0EEEvT1_.private_seg_size, 0
	.set _ZN7rocprim17ROCPRIM_400000_NS6detail17trampoline_kernelINS0_14default_configENS1_25transform_config_selectorIN6thrust23THRUST_200600_302600_NS5tupleIffNS6_9null_typeES8_S8_S8_S8_S8_S8_S8_EELb0EEEZNS1_14transform_implILb0ES3_SA_PS9_NS6_6detail15normal_iteratorINS6_10device_ptrIS9_EEEENS0_8identityIS9_EEEE10hipError_tT2_T3_mT4_P12ihipStream_tbEUlT_E_NS1_11comp_targetILNS1_3genE4ELNS1_11target_archE910ELNS1_3gpuE8ELNS1_3repE0EEENS1_30default_config_static_selectorELNS0_4arch9wavefront6targetE0EEEvT1_.uses_vcc, 0
	.set _ZN7rocprim17ROCPRIM_400000_NS6detail17trampoline_kernelINS0_14default_configENS1_25transform_config_selectorIN6thrust23THRUST_200600_302600_NS5tupleIffNS6_9null_typeES8_S8_S8_S8_S8_S8_S8_EELb0EEEZNS1_14transform_implILb0ES3_SA_PS9_NS6_6detail15normal_iteratorINS6_10device_ptrIS9_EEEENS0_8identityIS9_EEEE10hipError_tT2_T3_mT4_P12ihipStream_tbEUlT_E_NS1_11comp_targetILNS1_3genE4ELNS1_11target_archE910ELNS1_3gpuE8ELNS1_3repE0EEENS1_30default_config_static_selectorELNS0_4arch9wavefront6targetE0EEEvT1_.uses_flat_scratch, 0
	.set _ZN7rocprim17ROCPRIM_400000_NS6detail17trampoline_kernelINS0_14default_configENS1_25transform_config_selectorIN6thrust23THRUST_200600_302600_NS5tupleIffNS6_9null_typeES8_S8_S8_S8_S8_S8_S8_EELb0EEEZNS1_14transform_implILb0ES3_SA_PS9_NS6_6detail15normal_iteratorINS6_10device_ptrIS9_EEEENS0_8identityIS9_EEEE10hipError_tT2_T3_mT4_P12ihipStream_tbEUlT_E_NS1_11comp_targetILNS1_3genE4ELNS1_11target_archE910ELNS1_3gpuE8ELNS1_3repE0EEENS1_30default_config_static_selectorELNS0_4arch9wavefront6targetE0EEEvT1_.has_dyn_sized_stack, 0
	.set _ZN7rocprim17ROCPRIM_400000_NS6detail17trampoline_kernelINS0_14default_configENS1_25transform_config_selectorIN6thrust23THRUST_200600_302600_NS5tupleIffNS6_9null_typeES8_S8_S8_S8_S8_S8_S8_EELb0EEEZNS1_14transform_implILb0ES3_SA_PS9_NS6_6detail15normal_iteratorINS6_10device_ptrIS9_EEEENS0_8identityIS9_EEEE10hipError_tT2_T3_mT4_P12ihipStream_tbEUlT_E_NS1_11comp_targetILNS1_3genE4ELNS1_11target_archE910ELNS1_3gpuE8ELNS1_3repE0EEENS1_30default_config_static_selectorELNS0_4arch9wavefront6targetE0EEEvT1_.has_recursion, 0
	.set _ZN7rocprim17ROCPRIM_400000_NS6detail17trampoline_kernelINS0_14default_configENS1_25transform_config_selectorIN6thrust23THRUST_200600_302600_NS5tupleIffNS6_9null_typeES8_S8_S8_S8_S8_S8_S8_EELb0EEEZNS1_14transform_implILb0ES3_SA_PS9_NS6_6detail15normal_iteratorINS6_10device_ptrIS9_EEEENS0_8identityIS9_EEEE10hipError_tT2_T3_mT4_P12ihipStream_tbEUlT_E_NS1_11comp_targetILNS1_3genE4ELNS1_11target_archE910ELNS1_3gpuE8ELNS1_3repE0EEENS1_30default_config_static_selectorELNS0_4arch9wavefront6targetE0EEEvT1_.has_indirect_call, 0
	.section	.AMDGPU.csdata,"",@progbits
; Kernel info:
; codeLenInByte = 0
; TotalNumSgprs: 0
; NumVgprs: 0
; ScratchSize: 0
; MemoryBound: 0
; FloatMode: 240
; IeeeMode: 1
; LDSByteSize: 0 bytes/workgroup (compile time only)
; SGPRBlocks: 0
; VGPRBlocks: 0
; NumSGPRsForWavesPerEU: 1
; NumVGPRsForWavesPerEU: 1
; Occupancy: 16
; WaveLimiterHint : 0
; COMPUTE_PGM_RSRC2:SCRATCH_EN: 0
; COMPUTE_PGM_RSRC2:USER_SGPR: 6
; COMPUTE_PGM_RSRC2:TRAP_HANDLER: 0
; COMPUTE_PGM_RSRC2:TGID_X_EN: 1
; COMPUTE_PGM_RSRC2:TGID_Y_EN: 0
; COMPUTE_PGM_RSRC2:TGID_Z_EN: 0
; COMPUTE_PGM_RSRC2:TIDIG_COMP_CNT: 0
	.section	.text._ZN7rocprim17ROCPRIM_400000_NS6detail17trampoline_kernelINS0_14default_configENS1_25transform_config_selectorIN6thrust23THRUST_200600_302600_NS5tupleIffNS6_9null_typeES8_S8_S8_S8_S8_S8_S8_EELb0EEEZNS1_14transform_implILb0ES3_SA_PS9_NS6_6detail15normal_iteratorINS6_10device_ptrIS9_EEEENS0_8identityIS9_EEEE10hipError_tT2_T3_mT4_P12ihipStream_tbEUlT_E_NS1_11comp_targetILNS1_3genE3ELNS1_11target_archE908ELNS1_3gpuE7ELNS1_3repE0EEENS1_30default_config_static_selectorELNS0_4arch9wavefront6targetE0EEEvT1_,"axG",@progbits,_ZN7rocprim17ROCPRIM_400000_NS6detail17trampoline_kernelINS0_14default_configENS1_25transform_config_selectorIN6thrust23THRUST_200600_302600_NS5tupleIffNS6_9null_typeES8_S8_S8_S8_S8_S8_S8_EELb0EEEZNS1_14transform_implILb0ES3_SA_PS9_NS6_6detail15normal_iteratorINS6_10device_ptrIS9_EEEENS0_8identityIS9_EEEE10hipError_tT2_T3_mT4_P12ihipStream_tbEUlT_E_NS1_11comp_targetILNS1_3genE3ELNS1_11target_archE908ELNS1_3gpuE7ELNS1_3repE0EEENS1_30default_config_static_selectorELNS0_4arch9wavefront6targetE0EEEvT1_,comdat
	.protected	_ZN7rocprim17ROCPRIM_400000_NS6detail17trampoline_kernelINS0_14default_configENS1_25transform_config_selectorIN6thrust23THRUST_200600_302600_NS5tupleIffNS6_9null_typeES8_S8_S8_S8_S8_S8_S8_EELb0EEEZNS1_14transform_implILb0ES3_SA_PS9_NS6_6detail15normal_iteratorINS6_10device_ptrIS9_EEEENS0_8identityIS9_EEEE10hipError_tT2_T3_mT4_P12ihipStream_tbEUlT_E_NS1_11comp_targetILNS1_3genE3ELNS1_11target_archE908ELNS1_3gpuE7ELNS1_3repE0EEENS1_30default_config_static_selectorELNS0_4arch9wavefront6targetE0EEEvT1_ ; -- Begin function _ZN7rocprim17ROCPRIM_400000_NS6detail17trampoline_kernelINS0_14default_configENS1_25transform_config_selectorIN6thrust23THRUST_200600_302600_NS5tupleIffNS6_9null_typeES8_S8_S8_S8_S8_S8_S8_EELb0EEEZNS1_14transform_implILb0ES3_SA_PS9_NS6_6detail15normal_iteratorINS6_10device_ptrIS9_EEEENS0_8identityIS9_EEEE10hipError_tT2_T3_mT4_P12ihipStream_tbEUlT_E_NS1_11comp_targetILNS1_3genE3ELNS1_11target_archE908ELNS1_3gpuE7ELNS1_3repE0EEENS1_30default_config_static_selectorELNS0_4arch9wavefront6targetE0EEEvT1_
	.globl	_ZN7rocprim17ROCPRIM_400000_NS6detail17trampoline_kernelINS0_14default_configENS1_25transform_config_selectorIN6thrust23THRUST_200600_302600_NS5tupleIffNS6_9null_typeES8_S8_S8_S8_S8_S8_S8_EELb0EEEZNS1_14transform_implILb0ES3_SA_PS9_NS6_6detail15normal_iteratorINS6_10device_ptrIS9_EEEENS0_8identityIS9_EEEE10hipError_tT2_T3_mT4_P12ihipStream_tbEUlT_E_NS1_11comp_targetILNS1_3genE3ELNS1_11target_archE908ELNS1_3gpuE7ELNS1_3repE0EEENS1_30default_config_static_selectorELNS0_4arch9wavefront6targetE0EEEvT1_
	.p2align	8
	.type	_ZN7rocprim17ROCPRIM_400000_NS6detail17trampoline_kernelINS0_14default_configENS1_25transform_config_selectorIN6thrust23THRUST_200600_302600_NS5tupleIffNS6_9null_typeES8_S8_S8_S8_S8_S8_S8_EELb0EEEZNS1_14transform_implILb0ES3_SA_PS9_NS6_6detail15normal_iteratorINS6_10device_ptrIS9_EEEENS0_8identityIS9_EEEE10hipError_tT2_T3_mT4_P12ihipStream_tbEUlT_E_NS1_11comp_targetILNS1_3genE3ELNS1_11target_archE908ELNS1_3gpuE7ELNS1_3repE0EEENS1_30default_config_static_selectorELNS0_4arch9wavefront6targetE0EEEvT1_,@function
_ZN7rocprim17ROCPRIM_400000_NS6detail17trampoline_kernelINS0_14default_configENS1_25transform_config_selectorIN6thrust23THRUST_200600_302600_NS5tupleIffNS6_9null_typeES8_S8_S8_S8_S8_S8_S8_EELb0EEEZNS1_14transform_implILb0ES3_SA_PS9_NS6_6detail15normal_iteratorINS6_10device_ptrIS9_EEEENS0_8identityIS9_EEEE10hipError_tT2_T3_mT4_P12ihipStream_tbEUlT_E_NS1_11comp_targetILNS1_3genE3ELNS1_11target_archE908ELNS1_3gpuE7ELNS1_3repE0EEENS1_30default_config_static_selectorELNS0_4arch9wavefront6targetE0EEEvT1_: ; @_ZN7rocprim17ROCPRIM_400000_NS6detail17trampoline_kernelINS0_14default_configENS1_25transform_config_selectorIN6thrust23THRUST_200600_302600_NS5tupleIffNS6_9null_typeES8_S8_S8_S8_S8_S8_S8_EELb0EEEZNS1_14transform_implILb0ES3_SA_PS9_NS6_6detail15normal_iteratorINS6_10device_ptrIS9_EEEENS0_8identityIS9_EEEE10hipError_tT2_T3_mT4_P12ihipStream_tbEUlT_E_NS1_11comp_targetILNS1_3genE3ELNS1_11target_archE908ELNS1_3gpuE7ELNS1_3repE0EEENS1_30default_config_static_selectorELNS0_4arch9wavefront6targetE0EEEvT1_
; %bb.0:
	.section	.rodata,"a",@progbits
	.p2align	6, 0x0
	.amdhsa_kernel _ZN7rocprim17ROCPRIM_400000_NS6detail17trampoline_kernelINS0_14default_configENS1_25transform_config_selectorIN6thrust23THRUST_200600_302600_NS5tupleIffNS6_9null_typeES8_S8_S8_S8_S8_S8_S8_EELb0EEEZNS1_14transform_implILb0ES3_SA_PS9_NS6_6detail15normal_iteratorINS6_10device_ptrIS9_EEEENS0_8identityIS9_EEEE10hipError_tT2_T3_mT4_P12ihipStream_tbEUlT_E_NS1_11comp_targetILNS1_3genE3ELNS1_11target_archE908ELNS1_3gpuE7ELNS1_3repE0EEENS1_30default_config_static_selectorELNS0_4arch9wavefront6targetE0EEEvT1_
		.amdhsa_group_segment_fixed_size 0
		.amdhsa_private_segment_fixed_size 0
		.amdhsa_kernarg_size 40
		.amdhsa_user_sgpr_count 6
		.amdhsa_user_sgpr_private_segment_buffer 1
		.amdhsa_user_sgpr_dispatch_ptr 0
		.amdhsa_user_sgpr_queue_ptr 0
		.amdhsa_user_sgpr_kernarg_segment_ptr 1
		.amdhsa_user_sgpr_dispatch_id 0
		.amdhsa_user_sgpr_flat_scratch_init 0
		.amdhsa_user_sgpr_private_segment_size 0
		.amdhsa_wavefront_size32 1
		.amdhsa_uses_dynamic_stack 0
		.amdhsa_system_sgpr_private_segment_wavefront_offset 0
		.amdhsa_system_sgpr_workgroup_id_x 1
		.amdhsa_system_sgpr_workgroup_id_y 0
		.amdhsa_system_sgpr_workgroup_id_z 0
		.amdhsa_system_sgpr_workgroup_info 0
		.amdhsa_system_vgpr_workitem_id 0
		.amdhsa_next_free_vgpr 1
		.amdhsa_next_free_sgpr 1
		.amdhsa_reserve_vcc 0
		.amdhsa_reserve_flat_scratch 0
		.amdhsa_float_round_mode_32 0
		.amdhsa_float_round_mode_16_64 0
		.amdhsa_float_denorm_mode_32 3
		.amdhsa_float_denorm_mode_16_64 3
		.amdhsa_dx10_clamp 1
		.amdhsa_ieee_mode 1
		.amdhsa_fp16_overflow 0
		.amdhsa_workgroup_processor_mode 1
		.amdhsa_memory_ordered 1
		.amdhsa_forward_progress 1
		.amdhsa_shared_vgpr_count 0
		.amdhsa_exception_fp_ieee_invalid_op 0
		.amdhsa_exception_fp_denorm_src 0
		.amdhsa_exception_fp_ieee_div_zero 0
		.amdhsa_exception_fp_ieee_overflow 0
		.amdhsa_exception_fp_ieee_underflow 0
		.amdhsa_exception_fp_ieee_inexact 0
		.amdhsa_exception_int_div_zero 0
	.end_amdhsa_kernel
	.section	.text._ZN7rocprim17ROCPRIM_400000_NS6detail17trampoline_kernelINS0_14default_configENS1_25transform_config_selectorIN6thrust23THRUST_200600_302600_NS5tupleIffNS6_9null_typeES8_S8_S8_S8_S8_S8_S8_EELb0EEEZNS1_14transform_implILb0ES3_SA_PS9_NS6_6detail15normal_iteratorINS6_10device_ptrIS9_EEEENS0_8identityIS9_EEEE10hipError_tT2_T3_mT4_P12ihipStream_tbEUlT_E_NS1_11comp_targetILNS1_3genE3ELNS1_11target_archE908ELNS1_3gpuE7ELNS1_3repE0EEENS1_30default_config_static_selectorELNS0_4arch9wavefront6targetE0EEEvT1_,"axG",@progbits,_ZN7rocprim17ROCPRIM_400000_NS6detail17trampoline_kernelINS0_14default_configENS1_25transform_config_selectorIN6thrust23THRUST_200600_302600_NS5tupleIffNS6_9null_typeES8_S8_S8_S8_S8_S8_S8_EELb0EEEZNS1_14transform_implILb0ES3_SA_PS9_NS6_6detail15normal_iteratorINS6_10device_ptrIS9_EEEENS0_8identityIS9_EEEE10hipError_tT2_T3_mT4_P12ihipStream_tbEUlT_E_NS1_11comp_targetILNS1_3genE3ELNS1_11target_archE908ELNS1_3gpuE7ELNS1_3repE0EEENS1_30default_config_static_selectorELNS0_4arch9wavefront6targetE0EEEvT1_,comdat
.Lfunc_end85:
	.size	_ZN7rocprim17ROCPRIM_400000_NS6detail17trampoline_kernelINS0_14default_configENS1_25transform_config_selectorIN6thrust23THRUST_200600_302600_NS5tupleIffNS6_9null_typeES8_S8_S8_S8_S8_S8_S8_EELb0EEEZNS1_14transform_implILb0ES3_SA_PS9_NS6_6detail15normal_iteratorINS6_10device_ptrIS9_EEEENS0_8identityIS9_EEEE10hipError_tT2_T3_mT4_P12ihipStream_tbEUlT_E_NS1_11comp_targetILNS1_3genE3ELNS1_11target_archE908ELNS1_3gpuE7ELNS1_3repE0EEENS1_30default_config_static_selectorELNS0_4arch9wavefront6targetE0EEEvT1_, .Lfunc_end85-_ZN7rocprim17ROCPRIM_400000_NS6detail17trampoline_kernelINS0_14default_configENS1_25transform_config_selectorIN6thrust23THRUST_200600_302600_NS5tupleIffNS6_9null_typeES8_S8_S8_S8_S8_S8_S8_EELb0EEEZNS1_14transform_implILb0ES3_SA_PS9_NS6_6detail15normal_iteratorINS6_10device_ptrIS9_EEEENS0_8identityIS9_EEEE10hipError_tT2_T3_mT4_P12ihipStream_tbEUlT_E_NS1_11comp_targetILNS1_3genE3ELNS1_11target_archE908ELNS1_3gpuE7ELNS1_3repE0EEENS1_30default_config_static_selectorELNS0_4arch9wavefront6targetE0EEEvT1_
                                        ; -- End function
	.set _ZN7rocprim17ROCPRIM_400000_NS6detail17trampoline_kernelINS0_14default_configENS1_25transform_config_selectorIN6thrust23THRUST_200600_302600_NS5tupleIffNS6_9null_typeES8_S8_S8_S8_S8_S8_S8_EELb0EEEZNS1_14transform_implILb0ES3_SA_PS9_NS6_6detail15normal_iteratorINS6_10device_ptrIS9_EEEENS0_8identityIS9_EEEE10hipError_tT2_T3_mT4_P12ihipStream_tbEUlT_E_NS1_11comp_targetILNS1_3genE3ELNS1_11target_archE908ELNS1_3gpuE7ELNS1_3repE0EEENS1_30default_config_static_selectorELNS0_4arch9wavefront6targetE0EEEvT1_.num_vgpr, 0
	.set _ZN7rocprim17ROCPRIM_400000_NS6detail17trampoline_kernelINS0_14default_configENS1_25transform_config_selectorIN6thrust23THRUST_200600_302600_NS5tupleIffNS6_9null_typeES8_S8_S8_S8_S8_S8_S8_EELb0EEEZNS1_14transform_implILb0ES3_SA_PS9_NS6_6detail15normal_iteratorINS6_10device_ptrIS9_EEEENS0_8identityIS9_EEEE10hipError_tT2_T3_mT4_P12ihipStream_tbEUlT_E_NS1_11comp_targetILNS1_3genE3ELNS1_11target_archE908ELNS1_3gpuE7ELNS1_3repE0EEENS1_30default_config_static_selectorELNS0_4arch9wavefront6targetE0EEEvT1_.num_agpr, 0
	.set _ZN7rocprim17ROCPRIM_400000_NS6detail17trampoline_kernelINS0_14default_configENS1_25transform_config_selectorIN6thrust23THRUST_200600_302600_NS5tupleIffNS6_9null_typeES8_S8_S8_S8_S8_S8_S8_EELb0EEEZNS1_14transform_implILb0ES3_SA_PS9_NS6_6detail15normal_iteratorINS6_10device_ptrIS9_EEEENS0_8identityIS9_EEEE10hipError_tT2_T3_mT4_P12ihipStream_tbEUlT_E_NS1_11comp_targetILNS1_3genE3ELNS1_11target_archE908ELNS1_3gpuE7ELNS1_3repE0EEENS1_30default_config_static_selectorELNS0_4arch9wavefront6targetE0EEEvT1_.numbered_sgpr, 0
	.set _ZN7rocprim17ROCPRIM_400000_NS6detail17trampoline_kernelINS0_14default_configENS1_25transform_config_selectorIN6thrust23THRUST_200600_302600_NS5tupleIffNS6_9null_typeES8_S8_S8_S8_S8_S8_S8_EELb0EEEZNS1_14transform_implILb0ES3_SA_PS9_NS6_6detail15normal_iteratorINS6_10device_ptrIS9_EEEENS0_8identityIS9_EEEE10hipError_tT2_T3_mT4_P12ihipStream_tbEUlT_E_NS1_11comp_targetILNS1_3genE3ELNS1_11target_archE908ELNS1_3gpuE7ELNS1_3repE0EEENS1_30default_config_static_selectorELNS0_4arch9wavefront6targetE0EEEvT1_.num_named_barrier, 0
	.set _ZN7rocprim17ROCPRIM_400000_NS6detail17trampoline_kernelINS0_14default_configENS1_25transform_config_selectorIN6thrust23THRUST_200600_302600_NS5tupleIffNS6_9null_typeES8_S8_S8_S8_S8_S8_S8_EELb0EEEZNS1_14transform_implILb0ES3_SA_PS9_NS6_6detail15normal_iteratorINS6_10device_ptrIS9_EEEENS0_8identityIS9_EEEE10hipError_tT2_T3_mT4_P12ihipStream_tbEUlT_E_NS1_11comp_targetILNS1_3genE3ELNS1_11target_archE908ELNS1_3gpuE7ELNS1_3repE0EEENS1_30default_config_static_selectorELNS0_4arch9wavefront6targetE0EEEvT1_.private_seg_size, 0
	.set _ZN7rocprim17ROCPRIM_400000_NS6detail17trampoline_kernelINS0_14default_configENS1_25transform_config_selectorIN6thrust23THRUST_200600_302600_NS5tupleIffNS6_9null_typeES8_S8_S8_S8_S8_S8_S8_EELb0EEEZNS1_14transform_implILb0ES3_SA_PS9_NS6_6detail15normal_iteratorINS6_10device_ptrIS9_EEEENS0_8identityIS9_EEEE10hipError_tT2_T3_mT4_P12ihipStream_tbEUlT_E_NS1_11comp_targetILNS1_3genE3ELNS1_11target_archE908ELNS1_3gpuE7ELNS1_3repE0EEENS1_30default_config_static_selectorELNS0_4arch9wavefront6targetE0EEEvT1_.uses_vcc, 0
	.set _ZN7rocprim17ROCPRIM_400000_NS6detail17trampoline_kernelINS0_14default_configENS1_25transform_config_selectorIN6thrust23THRUST_200600_302600_NS5tupleIffNS6_9null_typeES8_S8_S8_S8_S8_S8_S8_EELb0EEEZNS1_14transform_implILb0ES3_SA_PS9_NS6_6detail15normal_iteratorINS6_10device_ptrIS9_EEEENS0_8identityIS9_EEEE10hipError_tT2_T3_mT4_P12ihipStream_tbEUlT_E_NS1_11comp_targetILNS1_3genE3ELNS1_11target_archE908ELNS1_3gpuE7ELNS1_3repE0EEENS1_30default_config_static_selectorELNS0_4arch9wavefront6targetE0EEEvT1_.uses_flat_scratch, 0
	.set _ZN7rocprim17ROCPRIM_400000_NS6detail17trampoline_kernelINS0_14default_configENS1_25transform_config_selectorIN6thrust23THRUST_200600_302600_NS5tupleIffNS6_9null_typeES8_S8_S8_S8_S8_S8_S8_EELb0EEEZNS1_14transform_implILb0ES3_SA_PS9_NS6_6detail15normal_iteratorINS6_10device_ptrIS9_EEEENS0_8identityIS9_EEEE10hipError_tT2_T3_mT4_P12ihipStream_tbEUlT_E_NS1_11comp_targetILNS1_3genE3ELNS1_11target_archE908ELNS1_3gpuE7ELNS1_3repE0EEENS1_30default_config_static_selectorELNS0_4arch9wavefront6targetE0EEEvT1_.has_dyn_sized_stack, 0
	.set _ZN7rocprim17ROCPRIM_400000_NS6detail17trampoline_kernelINS0_14default_configENS1_25transform_config_selectorIN6thrust23THRUST_200600_302600_NS5tupleIffNS6_9null_typeES8_S8_S8_S8_S8_S8_S8_EELb0EEEZNS1_14transform_implILb0ES3_SA_PS9_NS6_6detail15normal_iteratorINS6_10device_ptrIS9_EEEENS0_8identityIS9_EEEE10hipError_tT2_T3_mT4_P12ihipStream_tbEUlT_E_NS1_11comp_targetILNS1_3genE3ELNS1_11target_archE908ELNS1_3gpuE7ELNS1_3repE0EEENS1_30default_config_static_selectorELNS0_4arch9wavefront6targetE0EEEvT1_.has_recursion, 0
	.set _ZN7rocprim17ROCPRIM_400000_NS6detail17trampoline_kernelINS0_14default_configENS1_25transform_config_selectorIN6thrust23THRUST_200600_302600_NS5tupleIffNS6_9null_typeES8_S8_S8_S8_S8_S8_S8_EELb0EEEZNS1_14transform_implILb0ES3_SA_PS9_NS6_6detail15normal_iteratorINS6_10device_ptrIS9_EEEENS0_8identityIS9_EEEE10hipError_tT2_T3_mT4_P12ihipStream_tbEUlT_E_NS1_11comp_targetILNS1_3genE3ELNS1_11target_archE908ELNS1_3gpuE7ELNS1_3repE0EEENS1_30default_config_static_selectorELNS0_4arch9wavefront6targetE0EEEvT1_.has_indirect_call, 0
	.section	.AMDGPU.csdata,"",@progbits
; Kernel info:
; codeLenInByte = 0
; TotalNumSgprs: 0
; NumVgprs: 0
; ScratchSize: 0
; MemoryBound: 0
; FloatMode: 240
; IeeeMode: 1
; LDSByteSize: 0 bytes/workgroup (compile time only)
; SGPRBlocks: 0
; VGPRBlocks: 0
; NumSGPRsForWavesPerEU: 1
; NumVGPRsForWavesPerEU: 1
; Occupancy: 16
; WaveLimiterHint : 0
; COMPUTE_PGM_RSRC2:SCRATCH_EN: 0
; COMPUTE_PGM_RSRC2:USER_SGPR: 6
; COMPUTE_PGM_RSRC2:TRAP_HANDLER: 0
; COMPUTE_PGM_RSRC2:TGID_X_EN: 1
; COMPUTE_PGM_RSRC2:TGID_Y_EN: 0
; COMPUTE_PGM_RSRC2:TGID_Z_EN: 0
; COMPUTE_PGM_RSRC2:TIDIG_COMP_CNT: 0
	.section	.text._ZN7rocprim17ROCPRIM_400000_NS6detail17trampoline_kernelINS0_14default_configENS1_25transform_config_selectorIN6thrust23THRUST_200600_302600_NS5tupleIffNS6_9null_typeES8_S8_S8_S8_S8_S8_S8_EELb0EEEZNS1_14transform_implILb0ES3_SA_PS9_NS6_6detail15normal_iteratorINS6_10device_ptrIS9_EEEENS0_8identityIS9_EEEE10hipError_tT2_T3_mT4_P12ihipStream_tbEUlT_E_NS1_11comp_targetILNS1_3genE2ELNS1_11target_archE906ELNS1_3gpuE6ELNS1_3repE0EEENS1_30default_config_static_selectorELNS0_4arch9wavefront6targetE0EEEvT1_,"axG",@progbits,_ZN7rocprim17ROCPRIM_400000_NS6detail17trampoline_kernelINS0_14default_configENS1_25transform_config_selectorIN6thrust23THRUST_200600_302600_NS5tupleIffNS6_9null_typeES8_S8_S8_S8_S8_S8_S8_EELb0EEEZNS1_14transform_implILb0ES3_SA_PS9_NS6_6detail15normal_iteratorINS6_10device_ptrIS9_EEEENS0_8identityIS9_EEEE10hipError_tT2_T3_mT4_P12ihipStream_tbEUlT_E_NS1_11comp_targetILNS1_3genE2ELNS1_11target_archE906ELNS1_3gpuE6ELNS1_3repE0EEENS1_30default_config_static_selectorELNS0_4arch9wavefront6targetE0EEEvT1_,comdat
	.protected	_ZN7rocprim17ROCPRIM_400000_NS6detail17trampoline_kernelINS0_14default_configENS1_25transform_config_selectorIN6thrust23THRUST_200600_302600_NS5tupleIffNS6_9null_typeES8_S8_S8_S8_S8_S8_S8_EELb0EEEZNS1_14transform_implILb0ES3_SA_PS9_NS6_6detail15normal_iteratorINS6_10device_ptrIS9_EEEENS0_8identityIS9_EEEE10hipError_tT2_T3_mT4_P12ihipStream_tbEUlT_E_NS1_11comp_targetILNS1_3genE2ELNS1_11target_archE906ELNS1_3gpuE6ELNS1_3repE0EEENS1_30default_config_static_selectorELNS0_4arch9wavefront6targetE0EEEvT1_ ; -- Begin function _ZN7rocprim17ROCPRIM_400000_NS6detail17trampoline_kernelINS0_14default_configENS1_25transform_config_selectorIN6thrust23THRUST_200600_302600_NS5tupleIffNS6_9null_typeES8_S8_S8_S8_S8_S8_S8_EELb0EEEZNS1_14transform_implILb0ES3_SA_PS9_NS6_6detail15normal_iteratorINS6_10device_ptrIS9_EEEENS0_8identityIS9_EEEE10hipError_tT2_T3_mT4_P12ihipStream_tbEUlT_E_NS1_11comp_targetILNS1_3genE2ELNS1_11target_archE906ELNS1_3gpuE6ELNS1_3repE0EEENS1_30default_config_static_selectorELNS0_4arch9wavefront6targetE0EEEvT1_
	.globl	_ZN7rocprim17ROCPRIM_400000_NS6detail17trampoline_kernelINS0_14default_configENS1_25transform_config_selectorIN6thrust23THRUST_200600_302600_NS5tupleIffNS6_9null_typeES8_S8_S8_S8_S8_S8_S8_EELb0EEEZNS1_14transform_implILb0ES3_SA_PS9_NS6_6detail15normal_iteratorINS6_10device_ptrIS9_EEEENS0_8identityIS9_EEEE10hipError_tT2_T3_mT4_P12ihipStream_tbEUlT_E_NS1_11comp_targetILNS1_3genE2ELNS1_11target_archE906ELNS1_3gpuE6ELNS1_3repE0EEENS1_30default_config_static_selectorELNS0_4arch9wavefront6targetE0EEEvT1_
	.p2align	8
	.type	_ZN7rocprim17ROCPRIM_400000_NS6detail17trampoline_kernelINS0_14default_configENS1_25transform_config_selectorIN6thrust23THRUST_200600_302600_NS5tupleIffNS6_9null_typeES8_S8_S8_S8_S8_S8_S8_EELb0EEEZNS1_14transform_implILb0ES3_SA_PS9_NS6_6detail15normal_iteratorINS6_10device_ptrIS9_EEEENS0_8identityIS9_EEEE10hipError_tT2_T3_mT4_P12ihipStream_tbEUlT_E_NS1_11comp_targetILNS1_3genE2ELNS1_11target_archE906ELNS1_3gpuE6ELNS1_3repE0EEENS1_30default_config_static_selectorELNS0_4arch9wavefront6targetE0EEEvT1_,@function
_ZN7rocprim17ROCPRIM_400000_NS6detail17trampoline_kernelINS0_14default_configENS1_25transform_config_selectorIN6thrust23THRUST_200600_302600_NS5tupleIffNS6_9null_typeES8_S8_S8_S8_S8_S8_S8_EELb0EEEZNS1_14transform_implILb0ES3_SA_PS9_NS6_6detail15normal_iteratorINS6_10device_ptrIS9_EEEENS0_8identityIS9_EEEE10hipError_tT2_T3_mT4_P12ihipStream_tbEUlT_E_NS1_11comp_targetILNS1_3genE2ELNS1_11target_archE906ELNS1_3gpuE6ELNS1_3repE0EEENS1_30default_config_static_selectorELNS0_4arch9wavefront6targetE0EEEvT1_: ; @_ZN7rocprim17ROCPRIM_400000_NS6detail17trampoline_kernelINS0_14default_configENS1_25transform_config_selectorIN6thrust23THRUST_200600_302600_NS5tupleIffNS6_9null_typeES8_S8_S8_S8_S8_S8_S8_EELb0EEEZNS1_14transform_implILb0ES3_SA_PS9_NS6_6detail15normal_iteratorINS6_10device_ptrIS9_EEEENS0_8identityIS9_EEEE10hipError_tT2_T3_mT4_P12ihipStream_tbEUlT_E_NS1_11comp_targetILNS1_3genE2ELNS1_11target_archE906ELNS1_3gpuE6ELNS1_3repE0EEENS1_30default_config_static_selectorELNS0_4arch9wavefront6targetE0EEEvT1_
; %bb.0:
	.section	.rodata,"a",@progbits
	.p2align	6, 0x0
	.amdhsa_kernel _ZN7rocprim17ROCPRIM_400000_NS6detail17trampoline_kernelINS0_14default_configENS1_25transform_config_selectorIN6thrust23THRUST_200600_302600_NS5tupleIffNS6_9null_typeES8_S8_S8_S8_S8_S8_S8_EELb0EEEZNS1_14transform_implILb0ES3_SA_PS9_NS6_6detail15normal_iteratorINS6_10device_ptrIS9_EEEENS0_8identityIS9_EEEE10hipError_tT2_T3_mT4_P12ihipStream_tbEUlT_E_NS1_11comp_targetILNS1_3genE2ELNS1_11target_archE906ELNS1_3gpuE6ELNS1_3repE0EEENS1_30default_config_static_selectorELNS0_4arch9wavefront6targetE0EEEvT1_
		.amdhsa_group_segment_fixed_size 0
		.amdhsa_private_segment_fixed_size 0
		.amdhsa_kernarg_size 40
		.amdhsa_user_sgpr_count 6
		.amdhsa_user_sgpr_private_segment_buffer 1
		.amdhsa_user_sgpr_dispatch_ptr 0
		.amdhsa_user_sgpr_queue_ptr 0
		.amdhsa_user_sgpr_kernarg_segment_ptr 1
		.amdhsa_user_sgpr_dispatch_id 0
		.amdhsa_user_sgpr_flat_scratch_init 0
		.amdhsa_user_sgpr_private_segment_size 0
		.amdhsa_wavefront_size32 1
		.amdhsa_uses_dynamic_stack 0
		.amdhsa_system_sgpr_private_segment_wavefront_offset 0
		.amdhsa_system_sgpr_workgroup_id_x 1
		.amdhsa_system_sgpr_workgroup_id_y 0
		.amdhsa_system_sgpr_workgroup_id_z 0
		.amdhsa_system_sgpr_workgroup_info 0
		.amdhsa_system_vgpr_workitem_id 0
		.amdhsa_next_free_vgpr 1
		.amdhsa_next_free_sgpr 1
		.amdhsa_reserve_vcc 0
		.amdhsa_reserve_flat_scratch 0
		.amdhsa_float_round_mode_32 0
		.amdhsa_float_round_mode_16_64 0
		.amdhsa_float_denorm_mode_32 3
		.amdhsa_float_denorm_mode_16_64 3
		.amdhsa_dx10_clamp 1
		.amdhsa_ieee_mode 1
		.amdhsa_fp16_overflow 0
		.amdhsa_workgroup_processor_mode 1
		.amdhsa_memory_ordered 1
		.amdhsa_forward_progress 1
		.amdhsa_shared_vgpr_count 0
		.amdhsa_exception_fp_ieee_invalid_op 0
		.amdhsa_exception_fp_denorm_src 0
		.amdhsa_exception_fp_ieee_div_zero 0
		.amdhsa_exception_fp_ieee_overflow 0
		.amdhsa_exception_fp_ieee_underflow 0
		.amdhsa_exception_fp_ieee_inexact 0
		.amdhsa_exception_int_div_zero 0
	.end_amdhsa_kernel
	.section	.text._ZN7rocprim17ROCPRIM_400000_NS6detail17trampoline_kernelINS0_14default_configENS1_25transform_config_selectorIN6thrust23THRUST_200600_302600_NS5tupleIffNS6_9null_typeES8_S8_S8_S8_S8_S8_S8_EELb0EEEZNS1_14transform_implILb0ES3_SA_PS9_NS6_6detail15normal_iteratorINS6_10device_ptrIS9_EEEENS0_8identityIS9_EEEE10hipError_tT2_T3_mT4_P12ihipStream_tbEUlT_E_NS1_11comp_targetILNS1_3genE2ELNS1_11target_archE906ELNS1_3gpuE6ELNS1_3repE0EEENS1_30default_config_static_selectorELNS0_4arch9wavefront6targetE0EEEvT1_,"axG",@progbits,_ZN7rocprim17ROCPRIM_400000_NS6detail17trampoline_kernelINS0_14default_configENS1_25transform_config_selectorIN6thrust23THRUST_200600_302600_NS5tupleIffNS6_9null_typeES8_S8_S8_S8_S8_S8_S8_EELb0EEEZNS1_14transform_implILb0ES3_SA_PS9_NS6_6detail15normal_iteratorINS6_10device_ptrIS9_EEEENS0_8identityIS9_EEEE10hipError_tT2_T3_mT4_P12ihipStream_tbEUlT_E_NS1_11comp_targetILNS1_3genE2ELNS1_11target_archE906ELNS1_3gpuE6ELNS1_3repE0EEENS1_30default_config_static_selectorELNS0_4arch9wavefront6targetE0EEEvT1_,comdat
.Lfunc_end86:
	.size	_ZN7rocprim17ROCPRIM_400000_NS6detail17trampoline_kernelINS0_14default_configENS1_25transform_config_selectorIN6thrust23THRUST_200600_302600_NS5tupleIffNS6_9null_typeES8_S8_S8_S8_S8_S8_S8_EELb0EEEZNS1_14transform_implILb0ES3_SA_PS9_NS6_6detail15normal_iteratorINS6_10device_ptrIS9_EEEENS0_8identityIS9_EEEE10hipError_tT2_T3_mT4_P12ihipStream_tbEUlT_E_NS1_11comp_targetILNS1_3genE2ELNS1_11target_archE906ELNS1_3gpuE6ELNS1_3repE0EEENS1_30default_config_static_selectorELNS0_4arch9wavefront6targetE0EEEvT1_, .Lfunc_end86-_ZN7rocprim17ROCPRIM_400000_NS6detail17trampoline_kernelINS0_14default_configENS1_25transform_config_selectorIN6thrust23THRUST_200600_302600_NS5tupleIffNS6_9null_typeES8_S8_S8_S8_S8_S8_S8_EELb0EEEZNS1_14transform_implILb0ES3_SA_PS9_NS6_6detail15normal_iteratorINS6_10device_ptrIS9_EEEENS0_8identityIS9_EEEE10hipError_tT2_T3_mT4_P12ihipStream_tbEUlT_E_NS1_11comp_targetILNS1_3genE2ELNS1_11target_archE906ELNS1_3gpuE6ELNS1_3repE0EEENS1_30default_config_static_selectorELNS0_4arch9wavefront6targetE0EEEvT1_
                                        ; -- End function
	.set _ZN7rocprim17ROCPRIM_400000_NS6detail17trampoline_kernelINS0_14default_configENS1_25transform_config_selectorIN6thrust23THRUST_200600_302600_NS5tupleIffNS6_9null_typeES8_S8_S8_S8_S8_S8_S8_EELb0EEEZNS1_14transform_implILb0ES3_SA_PS9_NS6_6detail15normal_iteratorINS6_10device_ptrIS9_EEEENS0_8identityIS9_EEEE10hipError_tT2_T3_mT4_P12ihipStream_tbEUlT_E_NS1_11comp_targetILNS1_3genE2ELNS1_11target_archE906ELNS1_3gpuE6ELNS1_3repE0EEENS1_30default_config_static_selectorELNS0_4arch9wavefront6targetE0EEEvT1_.num_vgpr, 0
	.set _ZN7rocprim17ROCPRIM_400000_NS6detail17trampoline_kernelINS0_14default_configENS1_25transform_config_selectorIN6thrust23THRUST_200600_302600_NS5tupleIffNS6_9null_typeES8_S8_S8_S8_S8_S8_S8_EELb0EEEZNS1_14transform_implILb0ES3_SA_PS9_NS6_6detail15normal_iteratorINS6_10device_ptrIS9_EEEENS0_8identityIS9_EEEE10hipError_tT2_T3_mT4_P12ihipStream_tbEUlT_E_NS1_11comp_targetILNS1_3genE2ELNS1_11target_archE906ELNS1_3gpuE6ELNS1_3repE0EEENS1_30default_config_static_selectorELNS0_4arch9wavefront6targetE0EEEvT1_.num_agpr, 0
	.set _ZN7rocprim17ROCPRIM_400000_NS6detail17trampoline_kernelINS0_14default_configENS1_25transform_config_selectorIN6thrust23THRUST_200600_302600_NS5tupleIffNS6_9null_typeES8_S8_S8_S8_S8_S8_S8_EELb0EEEZNS1_14transform_implILb0ES3_SA_PS9_NS6_6detail15normal_iteratorINS6_10device_ptrIS9_EEEENS0_8identityIS9_EEEE10hipError_tT2_T3_mT4_P12ihipStream_tbEUlT_E_NS1_11comp_targetILNS1_3genE2ELNS1_11target_archE906ELNS1_3gpuE6ELNS1_3repE0EEENS1_30default_config_static_selectorELNS0_4arch9wavefront6targetE0EEEvT1_.numbered_sgpr, 0
	.set _ZN7rocprim17ROCPRIM_400000_NS6detail17trampoline_kernelINS0_14default_configENS1_25transform_config_selectorIN6thrust23THRUST_200600_302600_NS5tupleIffNS6_9null_typeES8_S8_S8_S8_S8_S8_S8_EELb0EEEZNS1_14transform_implILb0ES3_SA_PS9_NS6_6detail15normal_iteratorINS6_10device_ptrIS9_EEEENS0_8identityIS9_EEEE10hipError_tT2_T3_mT4_P12ihipStream_tbEUlT_E_NS1_11comp_targetILNS1_3genE2ELNS1_11target_archE906ELNS1_3gpuE6ELNS1_3repE0EEENS1_30default_config_static_selectorELNS0_4arch9wavefront6targetE0EEEvT1_.num_named_barrier, 0
	.set _ZN7rocprim17ROCPRIM_400000_NS6detail17trampoline_kernelINS0_14default_configENS1_25transform_config_selectorIN6thrust23THRUST_200600_302600_NS5tupleIffNS6_9null_typeES8_S8_S8_S8_S8_S8_S8_EELb0EEEZNS1_14transform_implILb0ES3_SA_PS9_NS6_6detail15normal_iteratorINS6_10device_ptrIS9_EEEENS0_8identityIS9_EEEE10hipError_tT2_T3_mT4_P12ihipStream_tbEUlT_E_NS1_11comp_targetILNS1_3genE2ELNS1_11target_archE906ELNS1_3gpuE6ELNS1_3repE0EEENS1_30default_config_static_selectorELNS0_4arch9wavefront6targetE0EEEvT1_.private_seg_size, 0
	.set _ZN7rocprim17ROCPRIM_400000_NS6detail17trampoline_kernelINS0_14default_configENS1_25transform_config_selectorIN6thrust23THRUST_200600_302600_NS5tupleIffNS6_9null_typeES8_S8_S8_S8_S8_S8_S8_EELb0EEEZNS1_14transform_implILb0ES3_SA_PS9_NS6_6detail15normal_iteratorINS6_10device_ptrIS9_EEEENS0_8identityIS9_EEEE10hipError_tT2_T3_mT4_P12ihipStream_tbEUlT_E_NS1_11comp_targetILNS1_3genE2ELNS1_11target_archE906ELNS1_3gpuE6ELNS1_3repE0EEENS1_30default_config_static_selectorELNS0_4arch9wavefront6targetE0EEEvT1_.uses_vcc, 0
	.set _ZN7rocprim17ROCPRIM_400000_NS6detail17trampoline_kernelINS0_14default_configENS1_25transform_config_selectorIN6thrust23THRUST_200600_302600_NS5tupleIffNS6_9null_typeES8_S8_S8_S8_S8_S8_S8_EELb0EEEZNS1_14transform_implILb0ES3_SA_PS9_NS6_6detail15normal_iteratorINS6_10device_ptrIS9_EEEENS0_8identityIS9_EEEE10hipError_tT2_T3_mT4_P12ihipStream_tbEUlT_E_NS1_11comp_targetILNS1_3genE2ELNS1_11target_archE906ELNS1_3gpuE6ELNS1_3repE0EEENS1_30default_config_static_selectorELNS0_4arch9wavefront6targetE0EEEvT1_.uses_flat_scratch, 0
	.set _ZN7rocprim17ROCPRIM_400000_NS6detail17trampoline_kernelINS0_14default_configENS1_25transform_config_selectorIN6thrust23THRUST_200600_302600_NS5tupleIffNS6_9null_typeES8_S8_S8_S8_S8_S8_S8_EELb0EEEZNS1_14transform_implILb0ES3_SA_PS9_NS6_6detail15normal_iteratorINS6_10device_ptrIS9_EEEENS0_8identityIS9_EEEE10hipError_tT2_T3_mT4_P12ihipStream_tbEUlT_E_NS1_11comp_targetILNS1_3genE2ELNS1_11target_archE906ELNS1_3gpuE6ELNS1_3repE0EEENS1_30default_config_static_selectorELNS0_4arch9wavefront6targetE0EEEvT1_.has_dyn_sized_stack, 0
	.set _ZN7rocprim17ROCPRIM_400000_NS6detail17trampoline_kernelINS0_14default_configENS1_25transform_config_selectorIN6thrust23THRUST_200600_302600_NS5tupleIffNS6_9null_typeES8_S8_S8_S8_S8_S8_S8_EELb0EEEZNS1_14transform_implILb0ES3_SA_PS9_NS6_6detail15normal_iteratorINS6_10device_ptrIS9_EEEENS0_8identityIS9_EEEE10hipError_tT2_T3_mT4_P12ihipStream_tbEUlT_E_NS1_11comp_targetILNS1_3genE2ELNS1_11target_archE906ELNS1_3gpuE6ELNS1_3repE0EEENS1_30default_config_static_selectorELNS0_4arch9wavefront6targetE0EEEvT1_.has_recursion, 0
	.set _ZN7rocprim17ROCPRIM_400000_NS6detail17trampoline_kernelINS0_14default_configENS1_25transform_config_selectorIN6thrust23THRUST_200600_302600_NS5tupleIffNS6_9null_typeES8_S8_S8_S8_S8_S8_S8_EELb0EEEZNS1_14transform_implILb0ES3_SA_PS9_NS6_6detail15normal_iteratorINS6_10device_ptrIS9_EEEENS0_8identityIS9_EEEE10hipError_tT2_T3_mT4_P12ihipStream_tbEUlT_E_NS1_11comp_targetILNS1_3genE2ELNS1_11target_archE906ELNS1_3gpuE6ELNS1_3repE0EEENS1_30default_config_static_selectorELNS0_4arch9wavefront6targetE0EEEvT1_.has_indirect_call, 0
	.section	.AMDGPU.csdata,"",@progbits
; Kernel info:
; codeLenInByte = 0
; TotalNumSgprs: 0
; NumVgprs: 0
; ScratchSize: 0
; MemoryBound: 0
; FloatMode: 240
; IeeeMode: 1
; LDSByteSize: 0 bytes/workgroup (compile time only)
; SGPRBlocks: 0
; VGPRBlocks: 0
; NumSGPRsForWavesPerEU: 1
; NumVGPRsForWavesPerEU: 1
; Occupancy: 16
; WaveLimiterHint : 0
; COMPUTE_PGM_RSRC2:SCRATCH_EN: 0
; COMPUTE_PGM_RSRC2:USER_SGPR: 6
; COMPUTE_PGM_RSRC2:TRAP_HANDLER: 0
; COMPUTE_PGM_RSRC2:TGID_X_EN: 1
; COMPUTE_PGM_RSRC2:TGID_Y_EN: 0
; COMPUTE_PGM_RSRC2:TGID_Z_EN: 0
; COMPUTE_PGM_RSRC2:TIDIG_COMP_CNT: 0
	.section	.text._ZN7rocprim17ROCPRIM_400000_NS6detail17trampoline_kernelINS0_14default_configENS1_25transform_config_selectorIN6thrust23THRUST_200600_302600_NS5tupleIffNS6_9null_typeES8_S8_S8_S8_S8_S8_S8_EELb0EEEZNS1_14transform_implILb0ES3_SA_PS9_NS6_6detail15normal_iteratorINS6_10device_ptrIS9_EEEENS0_8identityIS9_EEEE10hipError_tT2_T3_mT4_P12ihipStream_tbEUlT_E_NS1_11comp_targetILNS1_3genE10ELNS1_11target_archE1201ELNS1_3gpuE5ELNS1_3repE0EEENS1_30default_config_static_selectorELNS0_4arch9wavefront6targetE0EEEvT1_,"axG",@progbits,_ZN7rocprim17ROCPRIM_400000_NS6detail17trampoline_kernelINS0_14default_configENS1_25transform_config_selectorIN6thrust23THRUST_200600_302600_NS5tupleIffNS6_9null_typeES8_S8_S8_S8_S8_S8_S8_EELb0EEEZNS1_14transform_implILb0ES3_SA_PS9_NS6_6detail15normal_iteratorINS6_10device_ptrIS9_EEEENS0_8identityIS9_EEEE10hipError_tT2_T3_mT4_P12ihipStream_tbEUlT_E_NS1_11comp_targetILNS1_3genE10ELNS1_11target_archE1201ELNS1_3gpuE5ELNS1_3repE0EEENS1_30default_config_static_selectorELNS0_4arch9wavefront6targetE0EEEvT1_,comdat
	.protected	_ZN7rocprim17ROCPRIM_400000_NS6detail17trampoline_kernelINS0_14default_configENS1_25transform_config_selectorIN6thrust23THRUST_200600_302600_NS5tupleIffNS6_9null_typeES8_S8_S8_S8_S8_S8_S8_EELb0EEEZNS1_14transform_implILb0ES3_SA_PS9_NS6_6detail15normal_iteratorINS6_10device_ptrIS9_EEEENS0_8identityIS9_EEEE10hipError_tT2_T3_mT4_P12ihipStream_tbEUlT_E_NS1_11comp_targetILNS1_3genE10ELNS1_11target_archE1201ELNS1_3gpuE5ELNS1_3repE0EEENS1_30default_config_static_selectorELNS0_4arch9wavefront6targetE0EEEvT1_ ; -- Begin function _ZN7rocprim17ROCPRIM_400000_NS6detail17trampoline_kernelINS0_14default_configENS1_25transform_config_selectorIN6thrust23THRUST_200600_302600_NS5tupleIffNS6_9null_typeES8_S8_S8_S8_S8_S8_S8_EELb0EEEZNS1_14transform_implILb0ES3_SA_PS9_NS6_6detail15normal_iteratorINS6_10device_ptrIS9_EEEENS0_8identityIS9_EEEE10hipError_tT2_T3_mT4_P12ihipStream_tbEUlT_E_NS1_11comp_targetILNS1_3genE10ELNS1_11target_archE1201ELNS1_3gpuE5ELNS1_3repE0EEENS1_30default_config_static_selectorELNS0_4arch9wavefront6targetE0EEEvT1_
	.globl	_ZN7rocprim17ROCPRIM_400000_NS6detail17trampoline_kernelINS0_14default_configENS1_25transform_config_selectorIN6thrust23THRUST_200600_302600_NS5tupleIffNS6_9null_typeES8_S8_S8_S8_S8_S8_S8_EELb0EEEZNS1_14transform_implILb0ES3_SA_PS9_NS6_6detail15normal_iteratorINS6_10device_ptrIS9_EEEENS0_8identityIS9_EEEE10hipError_tT2_T3_mT4_P12ihipStream_tbEUlT_E_NS1_11comp_targetILNS1_3genE10ELNS1_11target_archE1201ELNS1_3gpuE5ELNS1_3repE0EEENS1_30default_config_static_selectorELNS0_4arch9wavefront6targetE0EEEvT1_
	.p2align	8
	.type	_ZN7rocprim17ROCPRIM_400000_NS6detail17trampoline_kernelINS0_14default_configENS1_25transform_config_selectorIN6thrust23THRUST_200600_302600_NS5tupleIffNS6_9null_typeES8_S8_S8_S8_S8_S8_S8_EELb0EEEZNS1_14transform_implILb0ES3_SA_PS9_NS6_6detail15normal_iteratorINS6_10device_ptrIS9_EEEENS0_8identityIS9_EEEE10hipError_tT2_T3_mT4_P12ihipStream_tbEUlT_E_NS1_11comp_targetILNS1_3genE10ELNS1_11target_archE1201ELNS1_3gpuE5ELNS1_3repE0EEENS1_30default_config_static_selectorELNS0_4arch9wavefront6targetE0EEEvT1_,@function
_ZN7rocprim17ROCPRIM_400000_NS6detail17trampoline_kernelINS0_14default_configENS1_25transform_config_selectorIN6thrust23THRUST_200600_302600_NS5tupleIffNS6_9null_typeES8_S8_S8_S8_S8_S8_S8_EELb0EEEZNS1_14transform_implILb0ES3_SA_PS9_NS6_6detail15normal_iteratorINS6_10device_ptrIS9_EEEENS0_8identityIS9_EEEE10hipError_tT2_T3_mT4_P12ihipStream_tbEUlT_E_NS1_11comp_targetILNS1_3genE10ELNS1_11target_archE1201ELNS1_3gpuE5ELNS1_3repE0EEENS1_30default_config_static_selectorELNS0_4arch9wavefront6targetE0EEEvT1_: ; @_ZN7rocprim17ROCPRIM_400000_NS6detail17trampoline_kernelINS0_14default_configENS1_25transform_config_selectorIN6thrust23THRUST_200600_302600_NS5tupleIffNS6_9null_typeES8_S8_S8_S8_S8_S8_S8_EELb0EEEZNS1_14transform_implILb0ES3_SA_PS9_NS6_6detail15normal_iteratorINS6_10device_ptrIS9_EEEENS0_8identityIS9_EEEE10hipError_tT2_T3_mT4_P12ihipStream_tbEUlT_E_NS1_11comp_targetILNS1_3genE10ELNS1_11target_archE1201ELNS1_3gpuE5ELNS1_3repE0EEENS1_30default_config_static_selectorELNS0_4arch9wavefront6targetE0EEEvT1_
; %bb.0:
	.section	.rodata,"a",@progbits
	.p2align	6, 0x0
	.amdhsa_kernel _ZN7rocprim17ROCPRIM_400000_NS6detail17trampoline_kernelINS0_14default_configENS1_25transform_config_selectorIN6thrust23THRUST_200600_302600_NS5tupleIffNS6_9null_typeES8_S8_S8_S8_S8_S8_S8_EELb0EEEZNS1_14transform_implILb0ES3_SA_PS9_NS6_6detail15normal_iteratorINS6_10device_ptrIS9_EEEENS0_8identityIS9_EEEE10hipError_tT2_T3_mT4_P12ihipStream_tbEUlT_E_NS1_11comp_targetILNS1_3genE10ELNS1_11target_archE1201ELNS1_3gpuE5ELNS1_3repE0EEENS1_30default_config_static_selectorELNS0_4arch9wavefront6targetE0EEEvT1_
		.amdhsa_group_segment_fixed_size 0
		.amdhsa_private_segment_fixed_size 0
		.amdhsa_kernarg_size 40
		.amdhsa_user_sgpr_count 6
		.amdhsa_user_sgpr_private_segment_buffer 1
		.amdhsa_user_sgpr_dispatch_ptr 0
		.amdhsa_user_sgpr_queue_ptr 0
		.amdhsa_user_sgpr_kernarg_segment_ptr 1
		.amdhsa_user_sgpr_dispatch_id 0
		.amdhsa_user_sgpr_flat_scratch_init 0
		.amdhsa_user_sgpr_private_segment_size 0
		.amdhsa_wavefront_size32 1
		.amdhsa_uses_dynamic_stack 0
		.amdhsa_system_sgpr_private_segment_wavefront_offset 0
		.amdhsa_system_sgpr_workgroup_id_x 1
		.amdhsa_system_sgpr_workgroup_id_y 0
		.amdhsa_system_sgpr_workgroup_id_z 0
		.amdhsa_system_sgpr_workgroup_info 0
		.amdhsa_system_vgpr_workitem_id 0
		.amdhsa_next_free_vgpr 1
		.amdhsa_next_free_sgpr 1
		.amdhsa_reserve_vcc 0
		.amdhsa_reserve_flat_scratch 0
		.amdhsa_float_round_mode_32 0
		.amdhsa_float_round_mode_16_64 0
		.amdhsa_float_denorm_mode_32 3
		.amdhsa_float_denorm_mode_16_64 3
		.amdhsa_dx10_clamp 1
		.amdhsa_ieee_mode 1
		.amdhsa_fp16_overflow 0
		.amdhsa_workgroup_processor_mode 1
		.amdhsa_memory_ordered 1
		.amdhsa_forward_progress 1
		.amdhsa_shared_vgpr_count 0
		.amdhsa_exception_fp_ieee_invalid_op 0
		.amdhsa_exception_fp_denorm_src 0
		.amdhsa_exception_fp_ieee_div_zero 0
		.amdhsa_exception_fp_ieee_overflow 0
		.amdhsa_exception_fp_ieee_underflow 0
		.amdhsa_exception_fp_ieee_inexact 0
		.amdhsa_exception_int_div_zero 0
	.end_amdhsa_kernel
	.section	.text._ZN7rocprim17ROCPRIM_400000_NS6detail17trampoline_kernelINS0_14default_configENS1_25transform_config_selectorIN6thrust23THRUST_200600_302600_NS5tupleIffNS6_9null_typeES8_S8_S8_S8_S8_S8_S8_EELb0EEEZNS1_14transform_implILb0ES3_SA_PS9_NS6_6detail15normal_iteratorINS6_10device_ptrIS9_EEEENS0_8identityIS9_EEEE10hipError_tT2_T3_mT4_P12ihipStream_tbEUlT_E_NS1_11comp_targetILNS1_3genE10ELNS1_11target_archE1201ELNS1_3gpuE5ELNS1_3repE0EEENS1_30default_config_static_selectorELNS0_4arch9wavefront6targetE0EEEvT1_,"axG",@progbits,_ZN7rocprim17ROCPRIM_400000_NS6detail17trampoline_kernelINS0_14default_configENS1_25transform_config_selectorIN6thrust23THRUST_200600_302600_NS5tupleIffNS6_9null_typeES8_S8_S8_S8_S8_S8_S8_EELb0EEEZNS1_14transform_implILb0ES3_SA_PS9_NS6_6detail15normal_iteratorINS6_10device_ptrIS9_EEEENS0_8identityIS9_EEEE10hipError_tT2_T3_mT4_P12ihipStream_tbEUlT_E_NS1_11comp_targetILNS1_3genE10ELNS1_11target_archE1201ELNS1_3gpuE5ELNS1_3repE0EEENS1_30default_config_static_selectorELNS0_4arch9wavefront6targetE0EEEvT1_,comdat
.Lfunc_end87:
	.size	_ZN7rocprim17ROCPRIM_400000_NS6detail17trampoline_kernelINS0_14default_configENS1_25transform_config_selectorIN6thrust23THRUST_200600_302600_NS5tupleIffNS6_9null_typeES8_S8_S8_S8_S8_S8_S8_EELb0EEEZNS1_14transform_implILb0ES3_SA_PS9_NS6_6detail15normal_iteratorINS6_10device_ptrIS9_EEEENS0_8identityIS9_EEEE10hipError_tT2_T3_mT4_P12ihipStream_tbEUlT_E_NS1_11comp_targetILNS1_3genE10ELNS1_11target_archE1201ELNS1_3gpuE5ELNS1_3repE0EEENS1_30default_config_static_selectorELNS0_4arch9wavefront6targetE0EEEvT1_, .Lfunc_end87-_ZN7rocprim17ROCPRIM_400000_NS6detail17trampoline_kernelINS0_14default_configENS1_25transform_config_selectorIN6thrust23THRUST_200600_302600_NS5tupleIffNS6_9null_typeES8_S8_S8_S8_S8_S8_S8_EELb0EEEZNS1_14transform_implILb0ES3_SA_PS9_NS6_6detail15normal_iteratorINS6_10device_ptrIS9_EEEENS0_8identityIS9_EEEE10hipError_tT2_T3_mT4_P12ihipStream_tbEUlT_E_NS1_11comp_targetILNS1_3genE10ELNS1_11target_archE1201ELNS1_3gpuE5ELNS1_3repE0EEENS1_30default_config_static_selectorELNS0_4arch9wavefront6targetE0EEEvT1_
                                        ; -- End function
	.set _ZN7rocprim17ROCPRIM_400000_NS6detail17trampoline_kernelINS0_14default_configENS1_25transform_config_selectorIN6thrust23THRUST_200600_302600_NS5tupleIffNS6_9null_typeES8_S8_S8_S8_S8_S8_S8_EELb0EEEZNS1_14transform_implILb0ES3_SA_PS9_NS6_6detail15normal_iteratorINS6_10device_ptrIS9_EEEENS0_8identityIS9_EEEE10hipError_tT2_T3_mT4_P12ihipStream_tbEUlT_E_NS1_11comp_targetILNS1_3genE10ELNS1_11target_archE1201ELNS1_3gpuE5ELNS1_3repE0EEENS1_30default_config_static_selectorELNS0_4arch9wavefront6targetE0EEEvT1_.num_vgpr, 0
	.set _ZN7rocprim17ROCPRIM_400000_NS6detail17trampoline_kernelINS0_14default_configENS1_25transform_config_selectorIN6thrust23THRUST_200600_302600_NS5tupleIffNS6_9null_typeES8_S8_S8_S8_S8_S8_S8_EELb0EEEZNS1_14transform_implILb0ES3_SA_PS9_NS6_6detail15normal_iteratorINS6_10device_ptrIS9_EEEENS0_8identityIS9_EEEE10hipError_tT2_T3_mT4_P12ihipStream_tbEUlT_E_NS1_11comp_targetILNS1_3genE10ELNS1_11target_archE1201ELNS1_3gpuE5ELNS1_3repE0EEENS1_30default_config_static_selectorELNS0_4arch9wavefront6targetE0EEEvT1_.num_agpr, 0
	.set _ZN7rocprim17ROCPRIM_400000_NS6detail17trampoline_kernelINS0_14default_configENS1_25transform_config_selectorIN6thrust23THRUST_200600_302600_NS5tupleIffNS6_9null_typeES8_S8_S8_S8_S8_S8_S8_EELb0EEEZNS1_14transform_implILb0ES3_SA_PS9_NS6_6detail15normal_iteratorINS6_10device_ptrIS9_EEEENS0_8identityIS9_EEEE10hipError_tT2_T3_mT4_P12ihipStream_tbEUlT_E_NS1_11comp_targetILNS1_3genE10ELNS1_11target_archE1201ELNS1_3gpuE5ELNS1_3repE0EEENS1_30default_config_static_selectorELNS0_4arch9wavefront6targetE0EEEvT1_.numbered_sgpr, 0
	.set _ZN7rocprim17ROCPRIM_400000_NS6detail17trampoline_kernelINS0_14default_configENS1_25transform_config_selectorIN6thrust23THRUST_200600_302600_NS5tupleIffNS6_9null_typeES8_S8_S8_S8_S8_S8_S8_EELb0EEEZNS1_14transform_implILb0ES3_SA_PS9_NS6_6detail15normal_iteratorINS6_10device_ptrIS9_EEEENS0_8identityIS9_EEEE10hipError_tT2_T3_mT4_P12ihipStream_tbEUlT_E_NS1_11comp_targetILNS1_3genE10ELNS1_11target_archE1201ELNS1_3gpuE5ELNS1_3repE0EEENS1_30default_config_static_selectorELNS0_4arch9wavefront6targetE0EEEvT1_.num_named_barrier, 0
	.set _ZN7rocprim17ROCPRIM_400000_NS6detail17trampoline_kernelINS0_14default_configENS1_25transform_config_selectorIN6thrust23THRUST_200600_302600_NS5tupleIffNS6_9null_typeES8_S8_S8_S8_S8_S8_S8_EELb0EEEZNS1_14transform_implILb0ES3_SA_PS9_NS6_6detail15normal_iteratorINS6_10device_ptrIS9_EEEENS0_8identityIS9_EEEE10hipError_tT2_T3_mT4_P12ihipStream_tbEUlT_E_NS1_11comp_targetILNS1_3genE10ELNS1_11target_archE1201ELNS1_3gpuE5ELNS1_3repE0EEENS1_30default_config_static_selectorELNS0_4arch9wavefront6targetE0EEEvT1_.private_seg_size, 0
	.set _ZN7rocprim17ROCPRIM_400000_NS6detail17trampoline_kernelINS0_14default_configENS1_25transform_config_selectorIN6thrust23THRUST_200600_302600_NS5tupleIffNS6_9null_typeES8_S8_S8_S8_S8_S8_S8_EELb0EEEZNS1_14transform_implILb0ES3_SA_PS9_NS6_6detail15normal_iteratorINS6_10device_ptrIS9_EEEENS0_8identityIS9_EEEE10hipError_tT2_T3_mT4_P12ihipStream_tbEUlT_E_NS1_11comp_targetILNS1_3genE10ELNS1_11target_archE1201ELNS1_3gpuE5ELNS1_3repE0EEENS1_30default_config_static_selectorELNS0_4arch9wavefront6targetE0EEEvT1_.uses_vcc, 0
	.set _ZN7rocprim17ROCPRIM_400000_NS6detail17trampoline_kernelINS0_14default_configENS1_25transform_config_selectorIN6thrust23THRUST_200600_302600_NS5tupleIffNS6_9null_typeES8_S8_S8_S8_S8_S8_S8_EELb0EEEZNS1_14transform_implILb0ES3_SA_PS9_NS6_6detail15normal_iteratorINS6_10device_ptrIS9_EEEENS0_8identityIS9_EEEE10hipError_tT2_T3_mT4_P12ihipStream_tbEUlT_E_NS1_11comp_targetILNS1_3genE10ELNS1_11target_archE1201ELNS1_3gpuE5ELNS1_3repE0EEENS1_30default_config_static_selectorELNS0_4arch9wavefront6targetE0EEEvT1_.uses_flat_scratch, 0
	.set _ZN7rocprim17ROCPRIM_400000_NS6detail17trampoline_kernelINS0_14default_configENS1_25transform_config_selectorIN6thrust23THRUST_200600_302600_NS5tupleIffNS6_9null_typeES8_S8_S8_S8_S8_S8_S8_EELb0EEEZNS1_14transform_implILb0ES3_SA_PS9_NS6_6detail15normal_iteratorINS6_10device_ptrIS9_EEEENS0_8identityIS9_EEEE10hipError_tT2_T3_mT4_P12ihipStream_tbEUlT_E_NS1_11comp_targetILNS1_3genE10ELNS1_11target_archE1201ELNS1_3gpuE5ELNS1_3repE0EEENS1_30default_config_static_selectorELNS0_4arch9wavefront6targetE0EEEvT1_.has_dyn_sized_stack, 0
	.set _ZN7rocprim17ROCPRIM_400000_NS6detail17trampoline_kernelINS0_14default_configENS1_25transform_config_selectorIN6thrust23THRUST_200600_302600_NS5tupleIffNS6_9null_typeES8_S8_S8_S8_S8_S8_S8_EELb0EEEZNS1_14transform_implILb0ES3_SA_PS9_NS6_6detail15normal_iteratorINS6_10device_ptrIS9_EEEENS0_8identityIS9_EEEE10hipError_tT2_T3_mT4_P12ihipStream_tbEUlT_E_NS1_11comp_targetILNS1_3genE10ELNS1_11target_archE1201ELNS1_3gpuE5ELNS1_3repE0EEENS1_30default_config_static_selectorELNS0_4arch9wavefront6targetE0EEEvT1_.has_recursion, 0
	.set _ZN7rocprim17ROCPRIM_400000_NS6detail17trampoline_kernelINS0_14default_configENS1_25transform_config_selectorIN6thrust23THRUST_200600_302600_NS5tupleIffNS6_9null_typeES8_S8_S8_S8_S8_S8_S8_EELb0EEEZNS1_14transform_implILb0ES3_SA_PS9_NS6_6detail15normal_iteratorINS6_10device_ptrIS9_EEEENS0_8identityIS9_EEEE10hipError_tT2_T3_mT4_P12ihipStream_tbEUlT_E_NS1_11comp_targetILNS1_3genE10ELNS1_11target_archE1201ELNS1_3gpuE5ELNS1_3repE0EEENS1_30default_config_static_selectorELNS0_4arch9wavefront6targetE0EEEvT1_.has_indirect_call, 0
	.section	.AMDGPU.csdata,"",@progbits
; Kernel info:
; codeLenInByte = 0
; TotalNumSgprs: 0
; NumVgprs: 0
; ScratchSize: 0
; MemoryBound: 0
; FloatMode: 240
; IeeeMode: 1
; LDSByteSize: 0 bytes/workgroup (compile time only)
; SGPRBlocks: 0
; VGPRBlocks: 0
; NumSGPRsForWavesPerEU: 1
; NumVGPRsForWavesPerEU: 1
; Occupancy: 16
; WaveLimiterHint : 0
; COMPUTE_PGM_RSRC2:SCRATCH_EN: 0
; COMPUTE_PGM_RSRC2:USER_SGPR: 6
; COMPUTE_PGM_RSRC2:TRAP_HANDLER: 0
; COMPUTE_PGM_RSRC2:TGID_X_EN: 1
; COMPUTE_PGM_RSRC2:TGID_Y_EN: 0
; COMPUTE_PGM_RSRC2:TGID_Z_EN: 0
; COMPUTE_PGM_RSRC2:TIDIG_COMP_CNT: 0
	.section	.text._ZN7rocprim17ROCPRIM_400000_NS6detail17trampoline_kernelINS0_14default_configENS1_25transform_config_selectorIN6thrust23THRUST_200600_302600_NS5tupleIffNS6_9null_typeES8_S8_S8_S8_S8_S8_S8_EELb0EEEZNS1_14transform_implILb0ES3_SA_PS9_NS6_6detail15normal_iteratorINS6_10device_ptrIS9_EEEENS0_8identityIS9_EEEE10hipError_tT2_T3_mT4_P12ihipStream_tbEUlT_E_NS1_11comp_targetILNS1_3genE10ELNS1_11target_archE1200ELNS1_3gpuE4ELNS1_3repE0EEENS1_30default_config_static_selectorELNS0_4arch9wavefront6targetE0EEEvT1_,"axG",@progbits,_ZN7rocprim17ROCPRIM_400000_NS6detail17trampoline_kernelINS0_14default_configENS1_25transform_config_selectorIN6thrust23THRUST_200600_302600_NS5tupleIffNS6_9null_typeES8_S8_S8_S8_S8_S8_S8_EELb0EEEZNS1_14transform_implILb0ES3_SA_PS9_NS6_6detail15normal_iteratorINS6_10device_ptrIS9_EEEENS0_8identityIS9_EEEE10hipError_tT2_T3_mT4_P12ihipStream_tbEUlT_E_NS1_11comp_targetILNS1_3genE10ELNS1_11target_archE1200ELNS1_3gpuE4ELNS1_3repE0EEENS1_30default_config_static_selectorELNS0_4arch9wavefront6targetE0EEEvT1_,comdat
	.protected	_ZN7rocprim17ROCPRIM_400000_NS6detail17trampoline_kernelINS0_14default_configENS1_25transform_config_selectorIN6thrust23THRUST_200600_302600_NS5tupleIffNS6_9null_typeES8_S8_S8_S8_S8_S8_S8_EELb0EEEZNS1_14transform_implILb0ES3_SA_PS9_NS6_6detail15normal_iteratorINS6_10device_ptrIS9_EEEENS0_8identityIS9_EEEE10hipError_tT2_T3_mT4_P12ihipStream_tbEUlT_E_NS1_11comp_targetILNS1_3genE10ELNS1_11target_archE1200ELNS1_3gpuE4ELNS1_3repE0EEENS1_30default_config_static_selectorELNS0_4arch9wavefront6targetE0EEEvT1_ ; -- Begin function _ZN7rocprim17ROCPRIM_400000_NS6detail17trampoline_kernelINS0_14default_configENS1_25transform_config_selectorIN6thrust23THRUST_200600_302600_NS5tupleIffNS6_9null_typeES8_S8_S8_S8_S8_S8_S8_EELb0EEEZNS1_14transform_implILb0ES3_SA_PS9_NS6_6detail15normal_iteratorINS6_10device_ptrIS9_EEEENS0_8identityIS9_EEEE10hipError_tT2_T3_mT4_P12ihipStream_tbEUlT_E_NS1_11comp_targetILNS1_3genE10ELNS1_11target_archE1200ELNS1_3gpuE4ELNS1_3repE0EEENS1_30default_config_static_selectorELNS0_4arch9wavefront6targetE0EEEvT1_
	.globl	_ZN7rocprim17ROCPRIM_400000_NS6detail17trampoline_kernelINS0_14default_configENS1_25transform_config_selectorIN6thrust23THRUST_200600_302600_NS5tupleIffNS6_9null_typeES8_S8_S8_S8_S8_S8_S8_EELb0EEEZNS1_14transform_implILb0ES3_SA_PS9_NS6_6detail15normal_iteratorINS6_10device_ptrIS9_EEEENS0_8identityIS9_EEEE10hipError_tT2_T3_mT4_P12ihipStream_tbEUlT_E_NS1_11comp_targetILNS1_3genE10ELNS1_11target_archE1200ELNS1_3gpuE4ELNS1_3repE0EEENS1_30default_config_static_selectorELNS0_4arch9wavefront6targetE0EEEvT1_
	.p2align	8
	.type	_ZN7rocprim17ROCPRIM_400000_NS6detail17trampoline_kernelINS0_14default_configENS1_25transform_config_selectorIN6thrust23THRUST_200600_302600_NS5tupleIffNS6_9null_typeES8_S8_S8_S8_S8_S8_S8_EELb0EEEZNS1_14transform_implILb0ES3_SA_PS9_NS6_6detail15normal_iteratorINS6_10device_ptrIS9_EEEENS0_8identityIS9_EEEE10hipError_tT2_T3_mT4_P12ihipStream_tbEUlT_E_NS1_11comp_targetILNS1_3genE10ELNS1_11target_archE1200ELNS1_3gpuE4ELNS1_3repE0EEENS1_30default_config_static_selectorELNS0_4arch9wavefront6targetE0EEEvT1_,@function
_ZN7rocprim17ROCPRIM_400000_NS6detail17trampoline_kernelINS0_14default_configENS1_25transform_config_selectorIN6thrust23THRUST_200600_302600_NS5tupleIffNS6_9null_typeES8_S8_S8_S8_S8_S8_S8_EELb0EEEZNS1_14transform_implILb0ES3_SA_PS9_NS6_6detail15normal_iteratorINS6_10device_ptrIS9_EEEENS0_8identityIS9_EEEE10hipError_tT2_T3_mT4_P12ihipStream_tbEUlT_E_NS1_11comp_targetILNS1_3genE10ELNS1_11target_archE1200ELNS1_3gpuE4ELNS1_3repE0EEENS1_30default_config_static_selectorELNS0_4arch9wavefront6targetE0EEEvT1_: ; @_ZN7rocprim17ROCPRIM_400000_NS6detail17trampoline_kernelINS0_14default_configENS1_25transform_config_selectorIN6thrust23THRUST_200600_302600_NS5tupleIffNS6_9null_typeES8_S8_S8_S8_S8_S8_S8_EELb0EEEZNS1_14transform_implILb0ES3_SA_PS9_NS6_6detail15normal_iteratorINS6_10device_ptrIS9_EEEENS0_8identityIS9_EEEE10hipError_tT2_T3_mT4_P12ihipStream_tbEUlT_E_NS1_11comp_targetILNS1_3genE10ELNS1_11target_archE1200ELNS1_3gpuE4ELNS1_3repE0EEENS1_30default_config_static_selectorELNS0_4arch9wavefront6targetE0EEEvT1_
; %bb.0:
	.section	.rodata,"a",@progbits
	.p2align	6, 0x0
	.amdhsa_kernel _ZN7rocprim17ROCPRIM_400000_NS6detail17trampoline_kernelINS0_14default_configENS1_25transform_config_selectorIN6thrust23THRUST_200600_302600_NS5tupleIffNS6_9null_typeES8_S8_S8_S8_S8_S8_S8_EELb0EEEZNS1_14transform_implILb0ES3_SA_PS9_NS6_6detail15normal_iteratorINS6_10device_ptrIS9_EEEENS0_8identityIS9_EEEE10hipError_tT2_T3_mT4_P12ihipStream_tbEUlT_E_NS1_11comp_targetILNS1_3genE10ELNS1_11target_archE1200ELNS1_3gpuE4ELNS1_3repE0EEENS1_30default_config_static_selectorELNS0_4arch9wavefront6targetE0EEEvT1_
		.amdhsa_group_segment_fixed_size 0
		.amdhsa_private_segment_fixed_size 0
		.amdhsa_kernarg_size 40
		.amdhsa_user_sgpr_count 6
		.amdhsa_user_sgpr_private_segment_buffer 1
		.amdhsa_user_sgpr_dispatch_ptr 0
		.amdhsa_user_sgpr_queue_ptr 0
		.amdhsa_user_sgpr_kernarg_segment_ptr 1
		.amdhsa_user_sgpr_dispatch_id 0
		.amdhsa_user_sgpr_flat_scratch_init 0
		.amdhsa_user_sgpr_private_segment_size 0
		.amdhsa_wavefront_size32 1
		.amdhsa_uses_dynamic_stack 0
		.amdhsa_system_sgpr_private_segment_wavefront_offset 0
		.amdhsa_system_sgpr_workgroup_id_x 1
		.amdhsa_system_sgpr_workgroup_id_y 0
		.amdhsa_system_sgpr_workgroup_id_z 0
		.amdhsa_system_sgpr_workgroup_info 0
		.amdhsa_system_vgpr_workitem_id 0
		.amdhsa_next_free_vgpr 1
		.amdhsa_next_free_sgpr 1
		.amdhsa_reserve_vcc 0
		.amdhsa_reserve_flat_scratch 0
		.amdhsa_float_round_mode_32 0
		.amdhsa_float_round_mode_16_64 0
		.amdhsa_float_denorm_mode_32 3
		.amdhsa_float_denorm_mode_16_64 3
		.amdhsa_dx10_clamp 1
		.amdhsa_ieee_mode 1
		.amdhsa_fp16_overflow 0
		.amdhsa_workgroup_processor_mode 1
		.amdhsa_memory_ordered 1
		.amdhsa_forward_progress 1
		.amdhsa_shared_vgpr_count 0
		.amdhsa_exception_fp_ieee_invalid_op 0
		.amdhsa_exception_fp_denorm_src 0
		.amdhsa_exception_fp_ieee_div_zero 0
		.amdhsa_exception_fp_ieee_overflow 0
		.amdhsa_exception_fp_ieee_underflow 0
		.amdhsa_exception_fp_ieee_inexact 0
		.amdhsa_exception_int_div_zero 0
	.end_amdhsa_kernel
	.section	.text._ZN7rocprim17ROCPRIM_400000_NS6detail17trampoline_kernelINS0_14default_configENS1_25transform_config_selectorIN6thrust23THRUST_200600_302600_NS5tupleIffNS6_9null_typeES8_S8_S8_S8_S8_S8_S8_EELb0EEEZNS1_14transform_implILb0ES3_SA_PS9_NS6_6detail15normal_iteratorINS6_10device_ptrIS9_EEEENS0_8identityIS9_EEEE10hipError_tT2_T3_mT4_P12ihipStream_tbEUlT_E_NS1_11comp_targetILNS1_3genE10ELNS1_11target_archE1200ELNS1_3gpuE4ELNS1_3repE0EEENS1_30default_config_static_selectorELNS0_4arch9wavefront6targetE0EEEvT1_,"axG",@progbits,_ZN7rocprim17ROCPRIM_400000_NS6detail17trampoline_kernelINS0_14default_configENS1_25transform_config_selectorIN6thrust23THRUST_200600_302600_NS5tupleIffNS6_9null_typeES8_S8_S8_S8_S8_S8_S8_EELb0EEEZNS1_14transform_implILb0ES3_SA_PS9_NS6_6detail15normal_iteratorINS6_10device_ptrIS9_EEEENS0_8identityIS9_EEEE10hipError_tT2_T3_mT4_P12ihipStream_tbEUlT_E_NS1_11comp_targetILNS1_3genE10ELNS1_11target_archE1200ELNS1_3gpuE4ELNS1_3repE0EEENS1_30default_config_static_selectorELNS0_4arch9wavefront6targetE0EEEvT1_,comdat
.Lfunc_end88:
	.size	_ZN7rocprim17ROCPRIM_400000_NS6detail17trampoline_kernelINS0_14default_configENS1_25transform_config_selectorIN6thrust23THRUST_200600_302600_NS5tupleIffNS6_9null_typeES8_S8_S8_S8_S8_S8_S8_EELb0EEEZNS1_14transform_implILb0ES3_SA_PS9_NS6_6detail15normal_iteratorINS6_10device_ptrIS9_EEEENS0_8identityIS9_EEEE10hipError_tT2_T3_mT4_P12ihipStream_tbEUlT_E_NS1_11comp_targetILNS1_3genE10ELNS1_11target_archE1200ELNS1_3gpuE4ELNS1_3repE0EEENS1_30default_config_static_selectorELNS0_4arch9wavefront6targetE0EEEvT1_, .Lfunc_end88-_ZN7rocprim17ROCPRIM_400000_NS6detail17trampoline_kernelINS0_14default_configENS1_25transform_config_selectorIN6thrust23THRUST_200600_302600_NS5tupleIffNS6_9null_typeES8_S8_S8_S8_S8_S8_S8_EELb0EEEZNS1_14transform_implILb0ES3_SA_PS9_NS6_6detail15normal_iteratorINS6_10device_ptrIS9_EEEENS0_8identityIS9_EEEE10hipError_tT2_T3_mT4_P12ihipStream_tbEUlT_E_NS1_11comp_targetILNS1_3genE10ELNS1_11target_archE1200ELNS1_3gpuE4ELNS1_3repE0EEENS1_30default_config_static_selectorELNS0_4arch9wavefront6targetE0EEEvT1_
                                        ; -- End function
	.set _ZN7rocprim17ROCPRIM_400000_NS6detail17trampoline_kernelINS0_14default_configENS1_25transform_config_selectorIN6thrust23THRUST_200600_302600_NS5tupleIffNS6_9null_typeES8_S8_S8_S8_S8_S8_S8_EELb0EEEZNS1_14transform_implILb0ES3_SA_PS9_NS6_6detail15normal_iteratorINS6_10device_ptrIS9_EEEENS0_8identityIS9_EEEE10hipError_tT2_T3_mT4_P12ihipStream_tbEUlT_E_NS1_11comp_targetILNS1_3genE10ELNS1_11target_archE1200ELNS1_3gpuE4ELNS1_3repE0EEENS1_30default_config_static_selectorELNS0_4arch9wavefront6targetE0EEEvT1_.num_vgpr, 0
	.set _ZN7rocprim17ROCPRIM_400000_NS6detail17trampoline_kernelINS0_14default_configENS1_25transform_config_selectorIN6thrust23THRUST_200600_302600_NS5tupleIffNS6_9null_typeES8_S8_S8_S8_S8_S8_S8_EELb0EEEZNS1_14transform_implILb0ES3_SA_PS9_NS6_6detail15normal_iteratorINS6_10device_ptrIS9_EEEENS0_8identityIS9_EEEE10hipError_tT2_T3_mT4_P12ihipStream_tbEUlT_E_NS1_11comp_targetILNS1_3genE10ELNS1_11target_archE1200ELNS1_3gpuE4ELNS1_3repE0EEENS1_30default_config_static_selectorELNS0_4arch9wavefront6targetE0EEEvT1_.num_agpr, 0
	.set _ZN7rocprim17ROCPRIM_400000_NS6detail17trampoline_kernelINS0_14default_configENS1_25transform_config_selectorIN6thrust23THRUST_200600_302600_NS5tupleIffNS6_9null_typeES8_S8_S8_S8_S8_S8_S8_EELb0EEEZNS1_14transform_implILb0ES3_SA_PS9_NS6_6detail15normal_iteratorINS6_10device_ptrIS9_EEEENS0_8identityIS9_EEEE10hipError_tT2_T3_mT4_P12ihipStream_tbEUlT_E_NS1_11comp_targetILNS1_3genE10ELNS1_11target_archE1200ELNS1_3gpuE4ELNS1_3repE0EEENS1_30default_config_static_selectorELNS0_4arch9wavefront6targetE0EEEvT1_.numbered_sgpr, 0
	.set _ZN7rocprim17ROCPRIM_400000_NS6detail17trampoline_kernelINS0_14default_configENS1_25transform_config_selectorIN6thrust23THRUST_200600_302600_NS5tupleIffNS6_9null_typeES8_S8_S8_S8_S8_S8_S8_EELb0EEEZNS1_14transform_implILb0ES3_SA_PS9_NS6_6detail15normal_iteratorINS6_10device_ptrIS9_EEEENS0_8identityIS9_EEEE10hipError_tT2_T3_mT4_P12ihipStream_tbEUlT_E_NS1_11comp_targetILNS1_3genE10ELNS1_11target_archE1200ELNS1_3gpuE4ELNS1_3repE0EEENS1_30default_config_static_selectorELNS0_4arch9wavefront6targetE0EEEvT1_.num_named_barrier, 0
	.set _ZN7rocprim17ROCPRIM_400000_NS6detail17trampoline_kernelINS0_14default_configENS1_25transform_config_selectorIN6thrust23THRUST_200600_302600_NS5tupleIffNS6_9null_typeES8_S8_S8_S8_S8_S8_S8_EELb0EEEZNS1_14transform_implILb0ES3_SA_PS9_NS6_6detail15normal_iteratorINS6_10device_ptrIS9_EEEENS0_8identityIS9_EEEE10hipError_tT2_T3_mT4_P12ihipStream_tbEUlT_E_NS1_11comp_targetILNS1_3genE10ELNS1_11target_archE1200ELNS1_3gpuE4ELNS1_3repE0EEENS1_30default_config_static_selectorELNS0_4arch9wavefront6targetE0EEEvT1_.private_seg_size, 0
	.set _ZN7rocprim17ROCPRIM_400000_NS6detail17trampoline_kernelINS0_14default_configENS1_25transform_config_selectorIN6thrust23THRUST_200600_302600_NS5tupleIffNS6_9null_typeES8_S8_S8_S8_S8_S8_S8_EELb0EEEZNS1_14transform_implILb0ES3_SA_PS9_NS6_6detail15normal_iteratorINS6_10device_ptrIS9_EEEENS0_8identityIS9_EEEE10hipError_tT2_T3_mT4_P12ihipStream_tbEUlT_E_NS1_11comp_targetILNS1_3genE10ELNS1_11target_archE1200ELNS1_3gpuE4ELNS1_3repE0EEENS1_30default_config_static_selectorELNS0_4arch9wavefront6targetE0EEEvT1_.uses_vcc, 0
	.set _ZN7rocprim17ROCPRIM_400000_NS6detail17trampoline_kernelINS0_14default_configENS1_25transform_config_selectorIN6thrust23THRUST_200600_302600_NS5tupleIffNS6_9null_typeES8_S8_S8_S8_S8_S8_S8_EELb0EEEZNS1_14transform_implILb0ES3_SA_PS9_NS6_6detail15normal_iteratorINS6_10device_ptrIS9_EEEENS0_8identityIS9_EEEE10hipError_tT2_T3_mT4_P12ihipStream_tbEUlT_E_NS1_11comp_targetILNS1_3genE10ELNS1_11target_archE1200ELNS1_3gpuE4ELNS1_3repE0EEENS1_30default_config_static_selectorELNS0_4arch9wavefront6targetE0EEEvT1_.uses_flat_scratch, 0
	.set _ZN7rocprim17ROCPRIM_400000_NS6detail17trampoline_kernelINS0_14default_configENS1_25transform_config_selectorIN6thrust23THRUST_200600_302600_NS5tupleIffNS6_9null_typeES8_S8_S8_S8_S8_S8_S8_EELb0EEEZNS1_14transform_implILb0ES3_SA_PS9_NS6_6detail15normal_iteratorINS6_10device_ptrIS9_EEEENS0_8identityIS9_EEEE10hipError_tT2_T3_mT4_P12ihipStream_tbEUlT_E_NS1_11comp_targetILNS1_3genE10ELNS1_11target_archE1200ELNS1_3gpuE4ELNS1_3repE0EEENS1_30default_config_static_selectorELNS0_4arch9wavefront6targetE0EEEvT1_.has_dyn_sized_stack, 0
	.set _ZN7rocprim17ROCPRIM_400000_NS6detail17trampoline_kernelINS0_14default_configENS1_25transform_config_selectorIN6thrust23THRUST_200600_302600_NS5tupleIffNS6_9null_typeES8_S8_S8_S8_S8_S8_S8_EELb0EEEZNS1_14transform_implILb0ES3_SA_PS9_NS6_6detail15normal_iteratorINS6_10device_ptrIS9_EEEENS0_8identityIS9_EEEE10hipError_tT2_T3_mT4_P12ihipStream_tbEUlT_E_NS1_11comp_targetILNS1_3genE10ELNS1_11target_archE1200ELNS1_3gpuE4ELNS1_3repE0EEENS1_30default_config_static_selectorELNS0_4arch9wavefront6targetE0EEEvT1_.has_recursion, 0
	.set _ZN7rocprim17ROCPRIM_400000_NS6detail17trampoline_kernelINS0_14default_configENS1_25transform_config_selectorIN6thrust23THRUST_200600_302600_NS5tupleIffNS6_9null_typeES8_S8_S8_S8_S8_S8_S8_EELb0EEEZNS1_14transform_implILb0ES3_SA_PS9_NS6_6detail15normal_iteratorINS6_10device_ptrIS9_EEEENS0_8identityIS9_EEEE10hipError_tT2_T3_mT4_P12ihipStream_tbEUlT_E_NS1_11comp_targetILNS1_3genE10ELNS1_11target_archE1200ELNS1_3gpuE4ELNS1_3repE0EEENS1_30default_config_static_selectorELNS0_4arch9wavefront6targetE0EEEvT1_.has_indirect_call, 0
	.section	.AMDGPU.csdata,"",@progbits
; Kernel info:
; codeLenInByte = 0
; TotalNumSgprs: 0
; NumVgprs: 0
; ScratchSize: 0
; MemoryBound: 0
; FloatMode: 240
; IeeeMode: 1
; LDSByteSize: 0 bytes/workgroup (compile time only)
; SGPRBlocks: 0
; VGPRBlocks: 0
; NumSGPRsForWavesPerEU: 1
; NumVGPRsForWavesPerEU: 1
; Occupancy: 16
; WaveLimiterHint : 0
; COMPUTE_PGM_RSRC2:SCRATCH_EN: 0
; COMPUTE_PGM_RSRC2:USER_SGPR: 6
; COMPUTE_PGM_RSRC2:TRAP_HANDLER: 0
; COMPUTE_PGM_RSRC2:TGID_X_EN: 1
; COMPUTE_PGM_RSRC2:TGID_Y_EN: 0
; COMPUTE_PGM_RSRC2:TGID_Z_EN: 0
; COMPUTE_PGM_RSRC2:TIDIG_COMP_CNT: 0
	.section	.text._ZN7rocprim17ROCPRIM_400000_NS6detail17trampoline_kernelINS0_14default_configENS1_25transform_config_selectorIN6thrust23THRUST_200600_302600_NS5tupleIffNS6_9null_typeES8_S8_S8_S8_S8_S8_S8_EELb0EEEZNS1_14transform_implILb0ES3_SA_PS9_NS6_6detail15normal_iteratorINS6_10device_ptrIS9_EEEENS0_8identityIS9_EEEE10hipError_tT2_T3_mT4_P12ihipStream_tbEUlT_E_NS1_11comp_targetILNS1_3genE9ELNS1_11target_archE1100ELNS1_3gpuE3ELNS1_3repE0EEENS1_30default_config_static_selectorELNS0_4arch9wavefront6targetE0EEEvT1_,"axG",@progbits,_ZN7rocprim17ROCPRIM_400000_NS6detail17trampoline_kernelINS0_14default_configENS1_25transform_config_selectorIN6thrust23THRUST_200600_302600_NS5tupleIffNS6_9null_typeES8_S8_S8_S8_S8_S8_S8_EELb0EEEZNS1_14transform_implILb0ES3_SA_PS9_NS6_6detail15normal_iteratorINS6_10device_ptrIS9_EEEENS0_8identityIS9_EEEE10hipError_tT2_T3_mT4_P12ihipStream_tbEUlT_E_NS1_11comp_targetILNS1_3genE9ELNS1_11target_archE1100ELNS1_3gpuE3ELNS1_3repE0EEENS1_30default_config_static_selectorELNS0_4arch9wavefront6targetE0EEEvT1_,comdat
	.protected	_ZN7rocprim17ROCPRIM_400000_NS6detail17trampoline_kernelINS0_14default_configENS1_25transform_config_selectorIN6thrust23THRUST_200600_302600_NS5tupleIffNS6_9null_typeES8_S8_S8_S8_S8_S8_S8_EELb0EEEZNS1_14transform_implILb0ES3_SA_PS9_NS6_6detail15normal_iteratorINS6_10device_ptrIS9_EEEENS0_8identityIS9_EEEE10hipError_tT2_T3_mT4_P12ihipStream_tbEUlT_E_NS1_11comp_targetILNS1_3genE9ELNS1_11target_archE1100ELNS1_3gpuE3ELNS1_3repE0EEENS1_30default_config_static_selectorELNS0_4arch9wavefront6targetE0EEEvT1_ ; -- Begin function _ZN7rocprim17ROCPRIM_400000_NS6detail17trampoline_kernelINS0_14default_configENS1_25transform_config_selectorIN6thrust23THRUST_200600_302600_NS5tupleIffNS6_9null_typeES8_S8_S8_S8_S8_S8_S8_EELb0EEEZNS1_14transform_implILb0ES3_SA_PS9_NS6_6detail15normal_iteratorINS6_10device_ptrIS9_EEEENS0_8identityIS9_EEEE10hipError_tT2_T3_mT4_P12ihipStream_tbEUlT_E_NS1_11comp_targetILNS1_3genE9ELNS1_11target_archE1100ELNS1_3gpuE3ELNS1_3repE0EEENS1_30default_config_static_selectorELNS0_4arch9wavefront6targetE0EEEvT1_
	.globl	_ZN7rocprim17ROCPRIM_400000_NS6detail17trampoline_kernelINS0_14default_configENS1_25transform_config_selectorIN6thrust23THRUST_200600_302600_NS5tupleIffNS6_9null_typeES8_S8_S8_S8_S8_S8_S8_EELb0EEEZNS1_14transform_implILb0ES3_SA_PS9_NS6_6detail15normal_iteratorINS6_10device_ptrIS9_EEEENS0_8identityIS9_EEEE10hipError_tT2_T3_mT4_P12ihipStream_tbEUlT_E_NS1_11comp_targetILNS1_3genE9ELNS1_11target_archE1100ELNS1_3gpuE3ELNS1_3repE0EEENS1_30default_config_static_selectorELNS0_4arch9wavefront6targetE0EEEvT1_
	.p2align	8
	.type	_ZN7rocprim17ROCPRIM_400000_NS6detail17trampoline_kernelINS0_14default_configENS1_25transform_config_selectorIN6thrust23THRUST_200600_302600_NS5tupleIffNS6_9null_typeES8_S8_S8_S8_S8_S8_S8_EELb0EEEZNS1_14transform_implILb0ES3_SA_PS9_NS6_6detail15normal_iteratorINS6_10device_ptrIS9_EEEENS0_8identityIS9_EEEE10hipError_tT2_T3_mT4_P12ihipStream_tbEUlT_E_NS1_11comp_targetILNS1_3genE9ELNS1_11target_archE1100ELNS1_3gpuE3ELNS1_3repE0EEENS1_30default_config_static_selectorELNS0_4arch9wavefront6targetE0EEEvT1_,@function
_ZN7rocprim17ROCPRIM_400000_NS6detail17trampoline_kernelINS0_14default_configENS1_25transform_config_selectorIN6thrust23THRUST_200600_302600_NS5tupleIffNS6_9null_typeES8_S8_S8_S8_S8_S8_S8_EELb0EEEZNS1_14transform_implILb0ES3_SA_PS9_NS6_6detail15normal_iteratorINS6_10device_ptrIS9_EEEENS0_8identityIS9_EEEE10hipError_tT2_T3_mT4_P12ihipStream_tbEUlT_E_NS1_11comp_targetILNS1_3genE9ELNS1_11target_archE1100ELNS1_3gpuE3ELNS1_3repE0EEENS1_30default_config_static_selectorELNS0_4arch9wavefront6targetE0EEEvT1_: ; @_ZN7rocprim17ROCPRIM_400000_NS6detail17trampoline_kernelINS0_14default_configENS1_25transform_config_selectorIN6thrust23THRUST_200600_302600_NS5tupleIffNS6_9null_typeES8_S8_S8_S8_S8_S8_S8_EELb0EEEZNS1_14transform_implILb0ES3_SA_PS9_NS6_6detail15normal_iteratorINS6_10device_ptrIS9_EEEENS0_8identityIS9_EEEE10hipError_tT2_T3_mT4_P12ihipStream_tbEUlT_E_NS1_11comp_targetILNS1_3genE9ELNS1_11target_archE1100ELNS1_3gpuE3ELNS1_3repE0EEENS1_30default_config_static_selectorELNS0_4arch9wavefront6targetE0EEEvT1_
; %bb.0:
	.section	.rodata,"a",@progbits
	.p2align	6, 0x0
	.amdhsa_kernel _ZN7rocprim17ROCPRIM_400000_NS6detail17trampoline_kernelINS0_14default_configENS1_25transform_config_selectorIN6thrust23THRUST_200600_302600_NS5tupleIffNS6_9null_typeES8_S8_S8_S8_S8_S8_S8_EELb0EEEZNS1_14transform_implILb0ES3_SA_PS9_NS6_6detail15normal_iteratorINS6_10device_ptrIS9_EEEENS0_8identityIS9_EEEE10hipError_tT2_T3_mT4_P12ihipStream_tbEUlT_E_NS1_11comp_targetILNS1_3genE9ELNS1_11target_archE1100ELNS1_3gpuE3ELNS1_3repE0EEENS1_30default_config_static_selectorELNS0_4arch9wavefront6targetE0EEEvT1_
		.amdhsa_group_segment_fixed_size 0
		.amdhsa_private_segment_fixed_size 0
		.amdhsa_kernarg_size 40
		.amdhsa_user_sgpr_count 6
		.amdhsa_user_sgpr_private_segment_buffer 1
		.amdhsa_user_sgpr_dispatch_ptr 0
		.amdhsa_user_sgpr_queue_ptr 0
		.amdhsa_user_sgpr_kernarg_segment_ptr 1
		.amdhsa_user_sgpr_dispatch_id 0
		.amdhsa_user_sgpr_flat_scratch_init 0
		.amdhsa_user_sgpr_private_segment_size 0
		.amdhsa_wavefront_size32 1
		.amdhsa_uses_dynamic_stack 0
		.amdhsa_system_sgpr_private_segment_wavefront_offset 0
		.amdhsa_system_sgpr_workgroup_id_x 1
		.amdhsa_system_sgpr_workgroup_id_y 0
		.amdhsa_system_sgpr_workgroup_id_z 0
		.amdhsa_system_sgpr_workgroup_info 0
		.amdhsa_system_vgpr_workitem_id 0
		.amdhsa_next_free_vgpr 1
		.amdhsa_next_free_sgpr 1
		.amdhsa_reserve_vcc 0
		.amdhsa_reserve_flat_scratch 0
		.amdhsa_float_round_mode_32 0
		.amdhsa_float_round_mode_16_64 0
		.amdhsa_float_denorm_mode_32 3
		.amdhsa_float_denorm_mode_16_64 3
		.amdhsa_dx10_clamp 1
		.amdhsa_ieee_mode 1
		.amdhsa_fp16_overflow 0
		.amdhsa_workgroup_processor_mode 1
		.amdhsa_memory_ordered 1
		.amdhsa_forward_progress 1
		.amdhsa_shared_vgpr_count 0
		.amdhsa_exception_fp_ieee_invalid_op 0
		.amdhsa_exception_fp_denorm_src 0
		.amdhsa_exception_fp_ieee_div_zero 0
		.amdhsa_exception_fp_ieee_overflow 0
		.amdhsa_exception_fp_ieee_underflow 0
		.amdhsa_exception_fp_ieee_inexact 0
		.amdhsa_exception_int_div_zero 0
	.end_amdhsa_kernel
	.section	.text._ZN7rocprim17ROCPRIM_400000_NS6detail17trampoline_kernelINS0_14default_configENS1_25transform_config_selectorIN6thrust23THRUST_200600_302600_NS5tupleIffNS6_9null_typeES8_S8_S8_S8_S8_S8_S8_EELb0EEEZNS1_14transform_implILb0ES3_SA_PS9_NS6_6detail15normal_iteratorINS6_10device_ptrIS9_EEEENS0_8identityIS9_EEEE10hipError_tT2_T3_mT4_P12ihipStream_tbEUlT_E_NS1_11comp_targetILNS1_3genE9ELNS1_11target_archE1100ELNS1_3gpuE3ELNS1_3repE0EEENS1_30default_config_static_selectorELNS0_4arch9wavefront6targetE0EEEvT1_,"axG",@progbits,_ZN7rocprim17ROCPRIM_400000_NS6detail17trampoline_kernelINS0_14default_configENS1_25transform_config_selectorIN6thrust23THRUST_200600_302600_NS5tupleIffNS6_9null_typeES8_S8_S8_S8_S8_S8_S8_EELb0EEEZNS1_14transform_implILb0ES3_SA_PS9_NS6_6detail15normal_iteratorINS6_10device_ptrIS9_EEEENS0_8identityIS9_EEEE10hipError_tT2_T3_mT4_P12ihipStream_tbEUlT_E_NS1_11comp_targetILNS1_3genE9ELNS1_11target_archE1100ELNS1_3gpuE3ELNS1_3repE0EEENS1_30default_config_static_selectorELNS0_4arch9wavefront6targetE0EEEvT1_,comdat
.Lfunc_end89:
	.size	_ZN7rocprim17ROCPRIM_400000_NS6detail17trampoline_kernelINS0_14default_configENS1_25transform_config_selectorIN6thrust23THRUST_200600_302600_NS5tupleIffNS6_9null_typeES8_S8_S8_S8_S8_S8_S8_EELb0EEEZNS1_14transform_implILb0ES3_SA_PS9_NS6_6detail15normal_iteratorINS6_10device_ptrIS9_EEEENS0_8identityIS9_EEEE10hipError_tT2_T3_mT4_P12ihipStream_tbEUlT_E_NS1_11comp_targetILNS1_3genE9ELNS1_11target_archE1100ELNS1_3gpuE3ELNS1_3repE0EEENS1_30default_config_static_selectorELNS0_4arch9wavefront6targetE0EEEvT1_, .Lfunc_end89-_ZN7rocprim17ROCPRIM_400000_NS6detail17trampoline_kernelINS0_14default_configENS1_25transform_config_selectorIN6thrust23THRUST_200600_302600_NS5tupleIffNS6_9null_typeES8_S8_S8_S8_S8_S8_S8_EELb0EEEZNS1_14transform_implILb0ES3_SA_PS9_NS6_6detail15normal_iteratorINS6_10device_ptrIS9_EEEENS0_8identityIS9_EEEE10hipError_tT2_T3_mT4_P12ihipStream_tbEUlT_E_NS1_11comp_targetILNS1_3genE9ELNS1_11target_archE1100ELNS1_3gpuE3ELNS1_3repE0EEENS1_30default_config_static_selectorELNS0_4arch9wavefront6targetE0EEEvT1_
                                        ; -- End function
	.set _ZN7rocprim17ROCPRIM_400000_NS6detail17trampoline_kernelINS0_14default_configENS1_25transform_config_selectorIN6thrust23THRUST_200600_302600_NS5tupleIffNS6_9null_typeES8_S8_S8_S8_S8_S8_S8_EELb0EEEZNS1_14transform_implILb0ES3_SA_PS9_NS6_6detail15normal_iteratorINS6_10device_ptrIS9_EEEENS0_8identityIS9_EEEE10hipError_tT2_T3_mT4_P12ihipStream_tbEUlT_E_NS1_11comp_targetILNS1_3genE9ELNS1_11target_archE1100ELNS1_3gpuE3ELNS1_3repE0EEENS1_30default_config_static_selectorELNS0_4arch9wavefront6targetE0EEEvT1_.num_vgpr, 0
	.set _ZN7rocprim17ROCPRIM_400000_NS6detail17trampoline_kernelINS0_14default_configENS1_25transform_config_selectorIN6thrust23THRUST_200600_302600_NS5tupleIffNS6_9null_typeES8_S8_S8_S8_S8_S8_S8_EELb0EEEZNS1_14transform_implILb0ES3_SA_PS9_NS6_6detail15normal_iteratorINS6_10device_ptrIS9_EEEENS0_8identityIS9_EEEE10hipError_tT2_T3_mT4_P12ihipStream_tbEUlT_E_NS1_11comp_targetILNS1_3genE9ELNS1_11target_archE1100ELNS1_3gpuE3ELNS1_3repE0EEENS1_30default_config_static_selectorELNS0_4arch9wavefront6targetE0EEEvT1_.num_agpr, 0
	.set _ZN7rocprim17ROCPRIM_400000_NS6detail17trampoline_kernelINS0_14default_configENS1_25transform_config_selectorIN6thrust23THRUST_200600_302600_NS5tupleIffNS6_9null_typeES8_S8_S8_S8_S8_S8_S8_EELb0EEEZNS1_14transform_implILb0ES3_SA_PS9_NS6_6detail15normal_iteratorINS6_10device_ptrIS9_EEEENS0_8identityIS9_EEEE10hipError_tT2_T3_mT4_P12ihipStream_tbEUlT_E_NS1_11comp_targetILNS1_3genE9ELNS1_11target_archE1100ELNS1_3gpuE3ELNS1_3repE0EEENS1_30default_config_static_selectorELNS0_4arch9wavefront6targetE0EEEvT1_.numbered_sgpr, 0
	.set _ZN7rocprim17ROCPRIM_400000_NS6detail17trampoline_kernelINS0_14default_configENS1_25transform_config_selectorIN6thrust23THRUST_200600_302600_NS5tupleIffNS6_9null_typeES8_S8_S8_S8_S8_S8_S8_EELb0EEEZNS1_14transform_implILb0ES3_SA_PS9_NS6_6detail15normal_iteratorINS6_10device_ptrIS9_EEEENS0_8identityIS9_EEEE10hipError_tT2_T3_mT4_P12ihipStream_tbEUlT_E_NS1_11comp_targetILNS1_3genE9ELNS1_11target_archE1100ELNS1_3gpuE3ELNS1_3repE0EEENS1_30default_config_static_selectorELNS0_4arch9wavefront6targetE0EEEvT1_.num_named_barrier, 0
	.set _ZN7rocprim17ROCPRIM_400000_NS6detail17trampoline_kernelINS0_14default_configENS1_25transform_config_selectorIN6thrust23THRUST_200600_302600_NS5tupleIffNS6_9null_typeES8_S8_S8_S8_S8_S8_S8_EELb0EEEZNS1_14transform_implILb0ES3_SA_PS9_NS6_6detail15normal_iteratorINS6_10device_ptrIS9_EEEENS0_8identityIS9_EEEE10hipError_tT2_T3_mT4_P12ihipStream_tbEUlT_E_NS1_11comp_targetILNS1_3genE9ELNS1_11target_archE1100ELNS1_3gpuE3ELNS1_3repE0EEENS1_30default_config_static_selectorELNS0_4arch9wavefront6targetE0EEEvT1_.private_seg_size, 0
	.set _ZN7rocprim17ROCPRIM_400000_NS6detail17trampoline_kernelINS0_14default_configENS1_25transform_config_selectorIN6thrust23THRUST_200600_302600_NS5tupleIffNS6_9null_typeES8_S8_S8_S8_S8_S8_S8_EELb0EEEZNS1_14transform_implILb0ES3_SA_PS9_NS6_6detail15normal_iteratorINS6_10device_ptrIS9_EEEENS0_8identityIS9_EEEE10hipError_tT2_T3_mT4_P12ihipStream_tbEUlT_E_NS1_11comp_targetILNS1_3genE9ELNS1_11target_archE1100ELNS1_3gpuE3ELNS1_3repE0EEENS1_30default_config_static_selectorELNS0_4arch9wavefront6targetE0EEEvT1_.uses_vcc, 0
	.set _ZN7rocprim17ROCPRIM_400000_NS6detail17trampoline_kernelINS0_14default_configENS1_25transform_config_selectorIN6thrust23THRUST_200600_302600_NS5tupleIffNS6_9null_typeES8_S8_S8_S8_S8_S8_S8_EELb0EEEZNS1_14transform_implILb0ES3_SA_PS9_NS6_6detail15normal_iteratorINS6_10device_ptrIS9_EEEENS0_8identityIS9_EEEE10hipError_tT2_T3_mT4_P12ihipStream_tbEUlT_E_NS1_11comp_targetILNS1_3genE9ELNS1_11target_archE1100ELNS1_3gpuE3ELNS1_3repE0EEENS1_30default_config_static_selectorELNS0_4arch9wavefront6targetE0EEEvT1_.uses_flat_scratch, 0
	.set _ZN7rocprim17ROCPRIM_400000_NS6detail17trampoline_kernelINS0_14default_configENS1_25transform_config_selectorIN6thrust23THRUST_200600_302600_NS5tupleIffNS6_9null_typeES8_S8_S8_S8_S8_S8_S8_EELb0EEEZNS1_14transform_implILb0ES3_SA_PS9_NS6_6detail15normal_iteratorINS6_10device_ptrIS9_EEEENS0_8identityIS9_EEEE10hipError_tT2_T3_mT4_P12ihipStream_tbEUlT_E_NS1_11comp_targetILNS1_3genE9ELNS1_11target_archE1100ELNS1_3gpuE3ELNS1_3repE0EEENS1_30default_config_static_selectorELNS0_4arch9wavefront6targetE0EEEvT1_.has_dyn_sized_stack, 0
	.set _ZN7rocprim17ROCPRIM_400000_NS6detail17trampoline_kernelINS0_14default_configENS1_25transform_config_selectorIN6thrust23THRUST_200600_302600_NS5tupleIffNS6_9null_typeES8_S8_S8_S8_S8_S8_S8_EELb0EEEZNS1_14transform_implILb0ES3_SA_PS9_NS6_6detail15normal_iteratorINS6_10device_ptrIS9_EEEENS0_8identityIS9_EEEE10hipError_tT2_T3_mT4_P12ihipStream_tbEUlT_E_NS1_11comp_targetILNS1_3genE9ELNS1_11target_archE1100ELNS1_3gpuE3ELNS1_3repE0EEENS1_30default_config_static_selectorELNS0_4arch9wavefront6targetE0EEEvT1_.has_recursion, 0
	.set _ZN7rocprim17ROCPRIM_400000_NS6detail17trampoline_kernelINS0_14default_configENS1_25transform_config_selectorIN6thrust23THRUST_200600_302600_NS5tupleIffNS6_9null_typeES8_S8_S8_S8_S8_S8_S8_EELb0EEEZNS1_14transform_implILb0ES3_SA_PS9_NS6_6detail15normal_iteratorINS6_10device_ptrIS9_EEEENS0_8identityIS9_EEEE10hipError_tT2_T3_mT4_P12ihipStream_tbEUlT_E_NS1_11comp_targetILNS1_3genE9ELNS1_11target_archE1100ELNS1_3gpuE3ELNS1_3repE0EEENS1_30default_config_static_selectorELNS0_4arch9wavefront6targetE0EEEvT1_.has_indirect_call, 0
	.section	.AMDGPU.csdata,"",@progbits
; Kernel info:
; codeLenInByte = 0
; TotalNumSgprs: 0
; NumVgprs: 0
; ScratchSize: 0
; MemoryBound: 0
; FloatMode: 240
; IeeeMode: 1
; LDSByteSize: 0 bytes/workgroup (compile time only)
; SGPRBlocks: 0
; VGPRBlocks: 0
; NumSGPRsForWavesPerEU: 1
; NumVGPRsForWavesPerEU: 1
; Occupancy: 16
; WaveLimiterHint : 0
; COMPUTE_PGM_RSRC2:SCRATCH_EN: 0
; COMPUTE_PGM_RSRC2:USER_SGPR: 6
; COMPUTE_PGM_RSRC2:TRAP_HANDLER: 0
; COMPUTE_PGM_RSRC2:TGID_X_EN: 1
; COMPUTE_PGM_RSRC2:TGID_Y_EN: 0
; COMPUTE_PGM_RSRC2:TGID_Z_EN: 0
; COMPUTE_PGM_RSRC2:TIDIG_COMP_CNT: 0
	.section	.text._ZN7rocprim17ROCPRIM_400000_NS6detail17trampoline_kernelINS0_14default_configENS1_25transform_config_selectorIN6thrust23THRUST_200600_302600_NS5tupleIffNS6_9null_typeES8_S8_S8_S8_S8_S8_S8_EELb0EEEZNS1_14transform_implILb0ES3_SA_PS9_NS6_6detail15normal_iteratorINS6_10device_ptrIS9_EEEENS0_8identityIS9_EEEE10hipError_tT2_T3_mT4_P12ihipStream_tbEUlT_E_NS1_11comp_targetILNS1_3genE8ELNS1_11target_archE1030ELNS1_3gpuE2ELNS1_3repE0EEENS1_30default_config_static_selectorELNS0_4arch9wavefront6targetE0EEEvT1_,"axG",@progbits,_ZN7rocprim17ROCPRIM_400000_NS6detail17trampoline_kernelINS0_14default_configENS1_25transform_config_selectorIN6thrust23THRUST_200600_302600_NS5tupleIffNS6_9null_typeES8_S8_S8_S8_S8_S8_S8_EELb0EEEZNS1_14transform_implILb0ES3_SA_PS9_NS6_6detail15normal_iteratorINS6_10device_ptrIS9_EEEENS0_8identityIS9_EEEE10hipError_tT2_T3_mT4_P12ihipStream_tbEUlT_E_NS1_11comp_targetILNS1_3genE8ELNS1_11target_archE1030ELNS1_3gpuE2ELNS1_3repE0EEENS1_30default_config_static_selectorELNS0_4arch9wavefront6targetE0EEEvT1_,comdat
	.protected	_ZN7rocprim17ROCPRIM_400000_NS6detail17trampoline_kernelINS0_14default_configENS1_25transform_config_selectorIN6thrust23THRUST_200600_302600_NS5tupleIffNS6_9null_typeES8_S8_S8_S8_S8_S8_S8_EELb0EEEZNS1_14transform_implILb0ES3_SA_PS9_NS6_6detail15normal_iteratorINS6_10device_ptrIS9_EEEENS0_8identityIS9_EEEE10hipError_tT2_T3_mT4_P12ihipStream_tbEUlT_E_NS1_11comp_targetILNS1_3genE8ELNS1_11target_archE1030ELNS1_3gpuE2ELNS1_3repE0EEENS1_30default_config_static_selectorELNS0_4arch9wavefront6targetE0EEEvT1_ ; -- Begin function _ZN7rocprim17ROCPRIM_400000_NS6detail17trampoline_kernelINS0_14default_configENS1_25transform_config_selectorIN6thrust23THRUST_200600_302600_NS5tupleIffNS6_9null_typeES8_S8_S8_S8_S8_S8_S8_EELb0EEEZNS1_14transform_implILb0ES3_SA_PS9_NS6_6detail15normal_iteratorINS6_10device_ptrIS9_EEEENS0_8identityIS9_EEEE10hipError_tT2_T3_mT4_P12ihipStream_tbEUlT_E_NS1_11comp_targetILNS1_3genE8ELNS1_11target_archE1030ELNS1_3gpuE2ELNS1_3repE0EEENS1_30default_config_static_selectorELNS0_4arch9wavefront6targetE0EEEvT1_
	.globl	_ZN7rocprim17ROCPRIM_400000_NS6detail17trampoline_kernelINS0_14default_configENS1_25transform_config_selectorIN6thrust23THRUST_200600_302600_NS5tupleIffNS6_9null_typeES8_S8_S8_S8_S8_S8_S8_EELb0EEEZNS1_14transform_implILb0ES3_SA_PS9_NS6_6detail15normal_iteratorINS6_10device_ptrIS9_EEEENS0_8identityIS9_EEEE10hipError_tT2_T3_mT4_P12ihipStream_tbEUlT_E_NS1_11comp_targetILNS1_3genE8ELNS1_11target_archE1030ELNS1_3gpuE2ELNS1_3repE0EEENS1_30default_config_static_selectorELNS0_4arch9wavefront6targetE0EEEvT1_
	.p2align	8
	.type	_ZN7rocprim17ROCPRIM_400000_NS6detail17trampoline_kernelINS0_14default_configENS1_25transform_config_selectorIN6thrust23THRUST_200600_302600_NS5tupleIffNS6_9null_typeES8_S8_S8_S8_S8_S8_S8_EELb0EEEZNS1_14transform_implILb0ES3_SA_PS9_NS6_6detail15normal_iteratorINS6_10device_ptrIS9_EEEENS0_8identityIS9_EEEE10hipError_tT2_T3_mT4_P12ihipStream_tbEUlT_E_NS1_11comp_targetILNS1_3genE8ELNS1_11target_archE1030ELNS1_3gpuE2ELNS1_3repE0EEENS1_30default_config_static_selectorELNS0_4arch9wavefront6targetE0EEEvT1_,@function
_ZN7rocprim17ROCPRIM_400000_NS6detail17trampoline_kernelINS0_14default_configENS1_25transform_config_selectorIN6thrust23THRUST_200600_302600_NS5tupleIffNS6_9null_typeES8_S8_S8_S8_S8_S8_S8_EELb0EEEZNS1_14transform_implILb0ES3_SA_PS9_NS6_6detail15normal_iteratorINS6_10device_ptrIS9_EEEENS0_8identityIS9_EEEE10hipError_tT2_T3_mT4_P12ihipStream_tbEUlT_E_NS1_11comp_targetILNS1_3genE8ELNS1_11target_archE1030ELNS1_3gpuE2ELNS1_3repE0EEENS1_30default_config_static_selectorELNS0_4arch9wavefront6targetE0EEEvT1_: ; @_ZN7rocprim17ROCPRIM_400000_NS6detail17trampoline_kernelINS0_14default_configENS1_25transform_config_selectorIN6thrust23THRUST_200600_302600_NS5tupleIffNS6_9null_typeES8_S8_S8_S8_S8_S8_S8_EELb0EEEZNS1_14transform_implILb0ES3_SA_PS9_NS6_6detail15normal_iteratorINS6_10device_ptrIS9_EEEENS0_8identityIS9_EEEE10hipError_tT2_T3_mT4_P12ihipStream_tbEUlT_E_NS1_11comp_targetILNS1_3genE8ELNS1_11target_archE1030ELNS1_3gpuE2ELNS1_3repE0EEENS1_30default_config_static_selectorELNS0_4arch9wavefront6targetE0EEEvT1_
; %bb.0:
	s_clause 0x1
	s_load_dwordx8 s[8:15], s[4:5], 0x0
	s_load_dword s4, s[4:5], 0x28
	s_mov_b32 s1, 0
	v_lshlrev_b32_e32 v5, 3, v0
	s_waitcnt lgkmcnt(0)
	s_lshl_b64 s[2:3], s[10:11], 3
	s_add_u32 s5, s8, s2
	s_addc_u32 s9, s9, s3
	s_add_u32 s7, s14, s2
	s_addc_u32 s8, s15, s3
	s_lshl_b32 s0, s6, 10
	s_lshl_b64 s[2:3], s[0:1], 3
	s_add_i32 s1, s4, -1
	s_add_u32 s4, s5, s2
	s_addc_u32 s5, s9, s3
	s_cmp_lg_u32 s6, s1
	s_mov_b32 s1, -1
	s_cbranch_scc0 .LBB90_2
; %bb.1:
	v_add_co_u32 v1, s1, s4, v5
	v_add_co_ci_u32_e64 v2, null, s5, 0, s1
	s_add_u32 s1, s7, s2
	v_add_co_u32 v1, vcc_lo, 0x1000, v1
	v_add_co_ci_u32_e64 v2, null, 0, v2, vcc_lo
	s_addc_u32 s6, s8, s3
	v_add_co_u32 v6, s1, s1, v5
	s_clause 0x1
	global_load_dwordx2 v[3:4], v5, s[4:5]
	global_load_dwordx2 v[1:2], v[1:2], off
	v_add_co_ci_u32_e64 v7, null, s6, 0, s1
	v_add_co_u32 v8, vcc_lo, 0x1000, v6
	s_mov_b32 s1, 0
	v_add_co_ci_u32_e64 v9, null, 0, v7, vcc_lo
	s_waitcnt vmcnt(1)
	flat_store_dwordx2 v[6:7], v[3:4]
	s_waitcnt vmcnt(0)
	flat_store_dwordx2 v[8:9], v[1:2]
.LBB90_2:
	s_andn2_b32 vcc_lo, exec_lo, s1
	s_cbranch_vccnz .LBB90_11
; %bb.3:
	s_sub_i32 s0, s12, s0
	v_mov_b32_e32 v1, 0
	v_cmp_gt_u32_e32 vcc_lo, s0, v0
	v_mov_b32_e32 v4, 0
	v_mov_b32_e32 v3, 0
	s_and_saveexec_b32 s1, vcc_lo
	s_cbranch_execz .LBB90_5
; %bb.4:
	global_load_dwordx2 v[3:4], v5, s[4:5]
.LBB90_5:
	s_or_b32 exec_lo, exec_lo, s1
	v_or_b32_e32 v0, 0x200, v0
	v_mov_b32_e32 v2, 0
	v_cmp_gt_u32_e64 s0, s0, v0
	s_and_saveexec_b32 s1, s0
	s_cbranch_execz .LBB90_7
; %bb.6:
	v_lshlrev_b32_e32 v0, 3, v0
	global_load_dwordx2 v[1:2], v0, s[4:5]
.LBB90_7:
	s_or_b32 exec_lo, exec_lo, s1
	s_add_u32 s1, s7, s2
	s_addc_u32 s2, s8, s3
	v_add_co_u32 v5, s1, s1, v5
	v_add_co_ci_u32_e64 v6, null, s2, 0, s1
	s_and_saveexec_b32 s1, vcc_lo
	s_cbranch_execz .LBB90_9
; %bb.8:
	s_waitcnt vmcnt(0)
	flat_store_dwordx2 v[5:6], v[3:4]
.LBB90_9:
	s_or_b32 exec_lo, exec_lo, s1
	s_and_saveexec_b32 s1, s0
	s_cbranch_execz .LBB90_11
; %bb.10:
	s_waitcnt vmcnt(0)
	v_add_co_u32 v3, vcc_lo, 0x1000, v5
	v_add_co_ci_u32_e64 v4, null, 0, v6, vcc_lo
	flat_store_dwordx2 v[3:4], v[1:2]
.LBB90_11:
	s_endpgm
	.section	.rodata,"a",@progbits
	.p2align	6, 0x0
	.amdhsa_kernel _ZN7rocprim17ROCPRIM_400000_NS6detail17trampoline_kernelINS0_14default_configENS1_25transform_config_selectorIN6thrust23THRUST_200600_302600_NS5tupleIffNS6_9null_typeES8_S8_S8_S8_S8_S8_S8_EELb0EEEZNS1_14transform_implILb0ES3_SA_PS9_NS6_6detail15normal_iteratorINS6_10device_ptrIS9_EEEENS0_8identityIS9_EEEE10hipError_tT2_T3_mT4_P12ihipStream_tbEUlT_E_NS1_11comp_targetILNS1_3genE8ELNS1_11target_archE1030ELNS1_3gpuE2ELNS1_3repE0EEENS1_30default_config_static_selectorELNS0_4arch9wavefront6targetE0EEEvT1_
		.amdhsa_group_segment_fixed_size 0
		.amdhsa_private_segment_fixed_size 0
		.amdhsa_kernarg_size 296
		.amdhsa_user_sgpr_count 6
		.amdhsa_user_sgpr_private_segment_buffer 1
		.amdhsa_user_sgpr_dispatch_ptr 0
		.amdhsa_user_sgpr_queue_ptr 0
		.amdhsa_user_sgpr_kernarg_segment_ptr 1
		.amdhsa_user_sgpr_dispatch_id 0
		.amdhsa_user_sgpr_flat_scratch_init 0
		.amdhsa_user_sgpr_private_segment_size 0
		.amdhsa_wavefront_size32 1
		.amdhsa_uses_dynamic_stack 0
		.amdhsa_system_sgpr_private_segment_wavefront_offset 0
		.amdhsa_system_sgpr_workgroup_id_x 1
		.amdhsa_system_sgpr_workgroup_id_y 0
		.amdhsa_system_sgpr_workgroup_id_z 0
		.amdhsa_system_sgpr_workgroup_info 0
		.amdhsa_system_vgpr_workitem_id 0
		.amdhsa_next_free_vgpr 10
		.amdhsa_next_free_sgpr 16
		.amdhsa_reserve_vcc 1
		.amdhsa_reserve_flat_scratch 0
		.amdhsa_float_round_mode_32 0
		.amdhsa_float_round_mode_16_64 0
		.amdhsa_float_denorm_mode_32 3
		.amdhsa_float_denorm_mode_16_64 3
		.amdhsa_dx10_clamp 1
		.amdhsa_ieee_mode 1
		.amdhsa_fp16_overflow 0
		.amdhsa_workgroup_processor_mode 1
		.amdhsa_memory_ordered 1
		.amdhsa_forward_progress 1
		.amdhsa_shared_vgpr_count 0
		.amdhsa_exception_fp_ieee_invalid_op 0
		.amdhsa_exception_fp_denorm_src 0
		.amdhsa_exception_fp_ieee_div_zero 0
		.amdhsa_exception_fp_ieee_overflow 0
		.amdhsa_exception_fp_ieee_underflow 0
		.amdhsa_exception_fp_ieee_inexact 0
		.amdhsa_exception_int_div_zero 0
	.end_amdhsa_kernel
	.section	.text._ZN7rocprim17ROCPRIM_400000_NS6detail17trampoline_kernelINS0_14default_configENS1_25transform_config_selectorIN6thrust23THRUST_200600_302600_NS5tupleIffNS6_9null_typeES8_S8_S8_S8_S8_S8_S8_EELb0EEEZNS1_14transform_implILb0ES3_SA_PS9_NS6_6detail15normal_iteratorINS6_10device_ptrIS9_EEEENS0_8identityIS9_EEEE10hipError_tT2_T3_mT4_P12ihipStream_tbEUlT_E_NS1_11comp_targetILNS1_3genE8ELNS1_11target_archE1030ELNS1_3gpuE2ELNS1_3repE0EEENS1_30default_config_static_selectorELNS0_4arch9wavefront6targetE0EEEvT1_,"axG",@progbits,_ZN7rocprim17ROCPRIM_400000_NS6detail17trampoline_kernelINS0_14default_configENS1_25transform_config_selectorIN6thrust23THRUST_200600_302600_NS5tupleIffNS6_9null_typeES8_S8_S8_S8_S8_S8_S8_EELb0EEEZNS1_14transform_implILb0ES3_SA_PS9_NS6_6detail15normal_iteratorINS6_10device_ptrIS9_EEEENS0_8identityIS9_EEEE10hipError_tT2_T3_mT4_P12ihipStream_tbEUlT_E_NS1_11comp_targetILNS1_3genE8ELNS1_11target_archE1030ELNS1_3gpuE2ELNS1_3repE0EEENS1_30default_config_static_selectorELNS0_4arch9wavefront6targetE0EEEvT1_,comdat
.Lfunc_end90:
	.size	_ZN7rocprim17ROCPRIM_400000_NS6detail17trampoline_kernelINS0_14default_configENS1_25transform_config_selectorIN6thrust23THRUST_200600_302600_NS5tupleIffNS6_9null_typeES8_S8_S8_S8_S8_S8_S8_EELb0EEEZNS1_14transform_implILb0ES3_SA_PS9_NS6_6detail15normal_iteratorINS6_10device_ptrIS9_EEEENS0_8identityIS9_EEEE10hipError_tT2_T3_mT4_P12ihipStream_tbEUlT_E_NS1_11comp_targetILNS1_3genE8ELNS1_11target_archE1030ELNS1_3gpuE2ELNS1_3repE0EEENS1_30default_config_static_selectorELNS0_4arch9wavefront6targetE0EEEvT1_, .Lfunc_end90-_ZN7rocprim17ROCPRIM_400000_NS6detail17trampoline_kernelINS0_14default_configENS1_25transform_config_selectorIN6thrust23THRUST_200600_302600_NS5tupleIffNS6_9null_typeES8_S8_S8_S8_S8_S8_S8_EELb0EEEZNS1_14transform_implILb0ES3_SA_PS9_NS6_6detail15normal_iteratorINS6_10device_ptrIS9_EEEENS0_8identityIS9_EEEE10hipError_tT2_T3_mT4_P12ihipStream_tbEUlT_E_NS1_11comp_targetILNS1_3genE8ELNS1_11target_archE1030ELNS1_3gpuE2ELNS1_3repE0EEENS1_30default_config_static_selectorELNS0_4arch9wavefront6targetE0EEEvT1_
                                        ; -- End function
	.set _ZN7rocprim17ROCPRIM_400000_NS6detail17trampoline_kernelINS0_14default_configENS1_25transform_config_selectorIN6thrust23THRUST_200600_302600_NS5tupleIffNS6_9null_typeES8_S8_S8_S8_S8_S8_S8_EELb0EEEZNS1_14transform_implILb0ES3_SA_PS9_NS6_6detail15normal_iteratorINS6_10device_ptrIS9_EEEENS0_8identityIS9_EEEE10hipError_tT2_T3_mT4_P12ihipStream_tbEUlT_E_NS1_11comp_targetILNS1_3genE8ELNS1_11target_archE1030ELNS1_3gpuE2ELNS1_3repE0EEENS1_30default_config_static_selectorELNS0_4arch9wavefront6targetE0EEEvT1_.num_vgpr, 10
	.set _ZN7rocprim17ROCPRIM_400000_NS6detail17trampoline_kernelINS0_14default_configENS1_25transform_config_selectorIN6thrust23THRUST_200600_302600_NS5tupleIffNS6_9null_typeES8_S8_S8_S8_S8_S8_S8_EELb0EEEZNS1_14transform_implILb0ES3_SA_PS9_NS6_6detail15normal_iteratorINS6_10device_ptrIS9_EEEENS0_8identityIS9_EEEE10hipError_tT2_T3_mT4_P12ihipStream_tbEUlT_E_NS1_11comp_targetILNS1_3genE8ELNS1_11target_archE1030ELNS1_3gpuE2ELNS1_3repE0EEENS1_30default_config_static_selectorELNS0_4arch9wavefront6targetE0EEEvT1_.num_agpr, 0
	.set _ZN7rocprim17ROCPRIM_400000_NS6detail17trampoline_kernelINS0_14default_configENS1_25transform_config_selectorIN6thrust23THRUST_200600_302600_NS5tupleIffNS6_9null_typeES8_S8_S8_S8_S8_S8_S8_EELb0EEEZNS1_14transform_implILb0ES3_SA_PS9_NS6_6detail15normal_iteratorINS6_10device_ptrIS9_EEEENS0_8identityIS9_EEEE10hipError_tT2_T3_mT4_P12ihipStream_tbEUlT_E_NS1_11comp_targetILNS1_3genE8ELNS1_11target_archE1030ELNS1_3gpuE2ELNS1_3repE0EEENS1_30default_config_static_selectorELNS0_4arch9wavefront6targetE0EEEvT1_.numbered_sgpr, 16
	.set _ZN7rocprim17ROCPRIM_400000_NS6detail17trampoline_kernelINS0_14default_configENS1_25transform_config_selectorIN6thrust23THRUST_200600_302600_NS5tupleIffNS6_9null_typeES8_S8_S8_S8_S8_S8_S8_EELb0EEEZNS1_14transform_implILb0ES3_SA_PS9_NS6_6detail15normal_iteratorINS6_10device_ptrIS9_EEEENS0_8identityIS9_EEEE10hipError_tT2_T3_mT4_P12ihipStream_tbEUlT_E_NS1_11comp_targetILNS1_3genE8ELNS1_11target_archE1030ELNS1_3gpuE2ELNS1_3repE0EEENS1_30default_config_static_selectorELNS0_4arch9wavefront6targetE0EEEvT1_.num_named_barrier, 0
	.set _ZN7rocprim17ROCPRIM_400000_NS6detail17trampoline_kernelINS0_14default_configENS1_25transform_config_selectorIN6thrust23THRUST_200600_302600_NS5tupleIffNS6_9null_typeES8_S8_S8_S8_S8_S8_S8_EELb0EEEZNS1_14transform_implILb0ES3_SA_PS9_NS6_6detail15normal_iteratorINS6_10device_ptrIS9_EEEENS0_8identityIS9_EEEE10hipError_tT2_T3_mT4_P12ihipStream_tbEUlT_E_NS1_11comp_targetILNS1_3genE8ELNS1_11target_archE1030ELNS1_3gpuE2ELNS1_3repE0EEENS1_30default_config_static_selectorELNS0_4arch9wavefront6targetE0EEEvT1_.private_seg_size, 0
	.set _ZN7rocprim17ROCPRIM_400000_NS6detail17trampoline_kernelINS0_14default_configENS1_25transform_config_selectorIN6thrust23THRUST_200600_302600_NS5tupleIffNS6_9null_typeES8_S8_S8_S8_S8_S8_S8_EELb0EEEZNS1_14transform_implILb0ES3_SA_PS9_NS6_6detail15normal_iteratorINS6_10device_ptrIS9_EEEENS0_8identityIS9_EEEE10hipError_tT2_T3_mT4_P12ihipStream_tbEUlT_E_NS1_11comp_targetILNS1_3genE8ELNS1_11target_archE1030ELNS1_3gpuE2ELNS1_3repE0EEENS1_30default_config_static_selectorELNS0_4arch9wavefront6targetE0EEEvT1_.uses_vcc, 1
	.set _ZN7rocprim17ROCPRIM_400000_NS6detail17trampoline_kernelINS0_14default_configENS1_25transform_config_selectorIN6thrust23THRUST_200600_302600_NS5tupleIffNS6_9null_typeES8_S8_S8_S8_S8_S8_S8_EELb0EEEZNS1_14transform_implILb0ES3_SA_PS9_NS6_6detail15normal_iteratorINS6_10device_ptrIS9_EEEENS0_8identityIS9_EEEE10hipError_tT2_T3_mT4_P12ihipStream_tbEUlT_E_NS1_11comp_targetILNS1_3genE8ELNS1_11target_archE1030ELNS1_3gpuE2ELNS1_3repE0EEENS1_30default_config_static_selectorELNS0_4arch9wavefront6targetE0EEEvT1_.uses_flat_scratch, 0
	.set _ZN7rocprim17ROCPRIM_400000_NS6detail17trampoline_kernelINS0_14default_configENS1_25transform_config_selectorIN6thrust23THRUST_200600_302600_NS5tupleIffNS6_9null_typeES8_S8_S8_S8_S8_S8_S8_EELb0EEEZNS1_14transform_implILb0ES3_SA_PS9_NS6_6detail15normal_iteratorINS6_10device_ptrIS9_EEEENS0_8identityIS9_EEEE10hipError_tT2_T3_mT4_P12ihipStream_tbEUlT_E_NS1_11comp_targetILNS1_3genE8ELNS1_11target_archE1030ELNS1_3gpuE2ELNS1_3repE0EEENS1_30default_config_static_selectorELNS0_4arch9wavefront6targetE0EEEvT1_.has_dyn_sized_stack, 0
	.set _ZN7rocprim17ROCPRIM_400000_NS6detail17trampoline_kernelINS0_14default_configENS1_25transform_config_selectorIN6thrust23THRUST_200600_302600_NS5tupleIffNS6_9null_typeES8_S8_S8_S8_S8_S8_S8_EELb0EEEZNS1_14transform_implILb0ES3_SA_PS9_NS6_6detail15normal_iteratorINS6_10device_ptrIS9_EEEENS0_8identityIS9_EEEE10hipError_tT2_T3_mT4_P12ihipStream_tbEUlT_E_NS1_11comp_targetILNS1_3genE8ELNS1_11target_archE1030ELNS1_3gpuE2ELNS1_3repE0EEENS1_30default_config_static_selectorELNS0_4arch9wavefront6targetE0EEEvT1_.has_recursion, 0
	.set _ZN7rocprim17ROCPRIM_400000_NS6detail17trampoline_kernelINS0_14default_configENS1_25transform_config_selectorIN6thrust23THRUST_200600_302600_NS5tupleIffNS6_9null_typeES8_S8_S8_S8_S8_S8_S8_EELb0EEEZNS1_14transform_implILb0ES3_SA_PS9_NS6_6detail15normal_iteratorINS6_10device_ptrIS9_EEEENS0_8identityIS9_EEEE10hipError_tT2_T3_mT4_P12ihipStream_tbEUlT_E_NS1_11comp_targetILNS1_3genE8ELNS1_11target_archE1030ELNS1_3gpuE2ELNS1_3repE0EEENS1_30default_config_static_selectorELNS0_4arch9wavefront6targetE0EEEvT1_.has_indirect_call, 0
	.section	.AMDGPU.csdata,"",@progbits
; Kernel info:
; codeLenInByte = 396
; TotalNumSgprs: 18
; NumVgprs: 10
; ScratchSize: 0
; MemoryBound: 0
; FloatMode: 240
; IeeeMode: 1
; LDSByteSize: 0 bytes/workgroup (compile time only)
; SGPRBlocks: 0
; VGPRBlocks: 1
; NumSGPRsForWavesPerEU: 18
; NumVGPRsForWavesPerEU: 10
; Occupancy: 16
; WaveLimiterHint : 1
; COMPUTE_PGM_RSRC2:SCRATCH_EN: 0
; COMPUTE_PGM_RSRC2:USER_SGPR: 6
; COMPUTE_PGM_RSRC2:TRAP_HANDLER: 0
; COMPUTE_PGM_RSRC2:TGID_X_EN: 1
; COMPUTE_PGM_RSRC2:TGID_Y_EN: 0
; COMPUTE_PGM_RSRC2:TGID_Z_EN: 0
; COMPUTE_PGM_RSRC2:TIDIG_COMP_CNT: 0
	.section	.text._ZN7rocprim17ROCPRIM_400000_NS6detail17trampoline_kernelINS0_14default_configENS1_38merge_sort_block_merge_config_selectorIjN6thrust23THRUST_200600_302600_NS5tupleIffNS6_9null_typeES8_S8_S8_S8_S8_S8_S8_EEEEZZNS1_27merge_sort_block_merge_implIS3_NS6_6detail15normal_iteratorINS6_10device_ptrIjEEEENSD_INSE_IS9_EEEEjNS1_19radix_merge_compareILb0ELb1EjNS0_19identity_decomposerEEEEE10hipError_tT0_T1_T2_jT3_P12ihipStream_tbPNSt15iterator_traitsISN_E10value_typeEPNST_ISO_E10value_typeEPSP_NS1_7vsmem_tEENKUlT_SN_SO_SP_E_clIPjSG_PS9_SI_EESM_S12_SN_SO_SP_EUlS12_E_NS1_11comp_targetILNS1_3genE0ELNS1_11target_archE4294967295ELNS1_3gpuE0ELNS1_3repE0EEENS1_48merge_mergepath_partition_config_static_selectorELNS0_4arch9wavefront6targetE0EEEvSO_,"axG",@progbits,_ZN7rocprim17ROCPRIM_400000_NS6detail17trampoline_kernelINS0_14default_configENS1_38merge_sort_block_merge_config_selectorIjN6thrust23THRUST_200600_302600_NS5tupleIffNS6_9null_typeES8_S8_S8_S8_S8_S8_S8_EEEEZZNS1_27merge_sort_block_merge_implIS3_NS6_6detail15normal_iteratorINS6_10device_ptrIjEEEENSD_INSE_IS9_EEEEjNS1_19radix_merge_compareILb0ELb1EjNS0_19identity_decomposerEEEEE10hipError_tT0_T1_T2_jT3_P12ihipStream_tbPNSt15iterator_traitsISN_E10value_typeEPNST_ISO_E10value_typeEPSP_NS1_7vsmem_tEENKUlT_SN_SO_SP_E_clIPjSG_PS9_SI_EESM_S12_SN_SO_SP_EUlS12_E_NS1_11comp_targetILNS1_3genE0ELNS1_11target_archE4294967295ELNS1_3gpuE0ELNS1_3repE0EEENS1_48merge_mergepath_partition_config_static_selectorELNS0_4arch9wavefront6targetE0EEEvSO_,comdat
	.protected	_ZN7rocprim17ROCPRIM_400000_NS6detail17trampoline_kernelINS0_14default_configENS1_38merge_sort_block_merge_config_selectorIjN6thrust23THRUST_200600_302600_NS5tupleIffNS6_9null_typeES8_S8_S8_S8_S8_S8_S8_EEEEZZNS1_27merge_sort_block_merge_implIS3_NS6_6detail15normal_iteratorINS6_10device_ptrIjEEEENSD_INSE_IS9_EEEEjNS1_19radix_merge_compareILb0ELb1EjNS0_19identity_decomposerEEEEE10hipError_tT0_T1_T2_jT3_P12ihipStream_tbPNSt15iterator_traitsISN_E10value_typeEPNST_ISO_E10value_typeEPSP_NS1_7vsmem_tEENKUlT_SN_SO_SP_E_clIPjSG_PS9_SI_EESM_S12_SN_SO_SP_EUlS12_E_NS1_11comp_targetILNS1_3genE0ELNS1_11target_archE4294967295ELNS1_3gpuE0ELNS1_3repE0EEENS1_48merge_mergepath_partition_config_static_selectorELNS0_4arch9wavefront6targetE0EEEvSO_ ; -- Begin function _ZN7rocprim17ROCPRIM_400000_NS6detail17trampoline_kernelINS0_14default_configENS1_38merge_sort_block_merge_config_selectorIjN6thrust23THRUST_200600_302600_NS5tupleIffNS6_9null_typeES8_S8_S8_S8_S8_S8_S8_EEEEZZNS1_27merge_sort_block_merge_implIS3_NS6_6detail15normal_iteratorINS6_10device_ptrIjEEEENSD_INSE_IS9_EEEEjNS1_19radix_merge_compareILb0ELb1EjNS0_19identity_decomposerEEEEE10hipError_tT0_T1_T2_jT3_P12ihipStream_tbPNSt15iterator_traitsISN_E10value_typeEPNST_ISO_E10value_typeEPSP_NS1_7vsmem_tEENKUlT_SN_SO_SP_E_clIPjSG_PS9_SI_EESM_S12_SN_SO_SP_EUlS12_E_NS1_11comp_targetILNS1_3genE0ELNS1_11target_archE4294967295ELNS1_3gpuE0ELNS1_3repE0EEENS1_48merge_mergepath_partition_config_static_selectorELNS0_4arch9wavefront6targetE0EEEvSO_
	.globl	_ZN7rocprim17ROCPRIM_400000_NS6detail17trampoline_kernelINS0_14default_configENS1_38merge_sort_block_merge_config_selectorIjN6thrust23THRUST_200600_302600_NS5tupleIffNS6_9null_typeES8_S8_S8_S8_S8_S8_S8_EEEEZZNS1_27merge_sort_block_merge_implIS3_NS6_6detail15normal_iteratorINS6_10device_ptrIjEEEENSD_INSE_IS9_EEEEjNS1_19radix_merge_compareILb0ELb1EjNS0_19identity_decomposerEEEEE10hipError_tT0_T1_T2_jT3_P12ihipStream_tbPNSt15iterator_traitsISN_E10value_typeEPNST_ISO_E10value_typeEPSP_NS1_7vsmem_tEENKUlT_SN_SO_SP_E_clIPjSG_PS9_SI_EESM_S12_SN_SO_SP_EUlS12_E_NS1_11comp_targetILNS1_3genE0ELNS1_11target_archE4294967295ELNS1_3gpuE0ELNS1_3repE0EEENS1_48merge_mergepath_partition_config_static_selectorELNS0_4arch9wavefront6targetE0EEEvSO_
	.p2align	8
	.type	_ZN7rocprim17ROCPRIM_400000_NS6detail17trampoline_kernelINS0_14default_configENS1_38merge_sort_block_merge_config_selectorIjN6thrust23THRUST_200600_302600_NS5tupleIffNS6_9null_typeES8_S8_S8_S8_S8_S8_S8_EEEEZZNS1_27merge_sort_block_merge_implIS3_NS6_6detail15normal_iteratorINS6_10device_ptrIjEEEENSD_INSE_IS9_EEEEjNS1_19radix_merge_compareILb0ELb1EjNS0_19identity_decomposerEEEEE10hipError_tT0_T1_T2_jT3_P12ihipStream_tbPNSt15iterator_traitsISN_E10value_typeEPNST_ISO_E10value_typeEPSP_NS1_7vsmem_tEENKUlT_SN_SO_SP_E_clIPjSG_PS9_SI_EESM_S12_SN_SO_SP_EUlS12_E_NS1_11comp_targetILNS1_3genE0ELNS1_11target_archE4294967295ELNS1_3gpuE0ELNS1_3repE0EEENS1_48merge_mergepath_partition_config_static_selectorELNS0_4arch9wavefront6targetE0EEEvSO_,@function
_ZN7rocprim17ROCPRIM_400000_NS6detail17trampoline_kernelINS0_14default_configENS1_38merge_sort_block_merge_config_selectorIjN6thrust23THRUST_200600_302600_NS5tupleIffNS6_9null_typeES8_S8_S8_S8_S8_S8_S8_EEEEZZNS1_27merge_sort_block_merge_implIS3_NS6_6detail15normal_iteratorINS6_10device_ptrIjEEEENSD_INSE_IS9_EEEEjNS1_19radix_merge_compareILb0ELb1EjNS0_19identity_decomposerEEEEE10hipError_tT0_T1_T2_jT3_P12ihipStream_tbPNSt15iterator_traitsISN_E10value_typeEPNST_ISO_E10value_typeEPSP_NS1_7vsmem_tEENKUlT_SN_SO_SP_E_clIPjSG_PS9_SI_EESM_S12_SN_SO_SP_EUlS12_E_NS1_11comp_targetILNS1_3genE0ELNS1_11target_archE4294967295ELNS1_3gpuE0ELNS1_3repE0EEENS1_48merge_mergepath_partition_config_static_selectorELNS0_4arch9wavefront6targetE0EEEvSO_: ; @_ZN7rocprim17ROCPRIM_400000_NS6detail17trampoline_kernelINS0_14default_configENS1_38merge_sort_block_merge_config_selectorIjN6thrust23THRUST_200600_302600_NS5tupleIffNS6_9null_typeES8_S8_S8_S8_S8_S8_S8_EEEEZZNS1_27merge_sort_block_merge_implIS3_NS6_6detail15normal_iteratorINS6_10device_ptrIjEEEENSD_INSE_IS9_EEEEjNS1_19radix_merge_compareILb0ELb1EjNS0_19identity_decomposerEEEEE10hipError_tT0_T1_T2_jT3_P12ihipStream_tbPNSt15iterator_traitsISN_E10value_typeEPNST_ISO_E10value_typeEPSP_NS1_7vsmem_tEENKUlT_SN_SO_SP_E_clIPjSG_PS9_SI_EESM_S12_SN_SO_SP_EUlS12_E_NS1_11comp_targetILNS1_3genE0ELNS1_11target_archE4294967295ELNS1_3gpuE0ELNS1_3repE0EEENS1_48merge_mergepath_partition_config_static_selectorELNS0_4arch9wavefront6targetE0EEEvSO_
; %bb.0:
	.section	.rodata,"a",@progbits
	.p2align	6, 0x0
	.amdhsa_kernel _ZN7rocprim17ROCPRIM_400000_NS6detail17trampoline_kernelINS0_14default_configENS1_38merge_sort_block_merge_config_selectorIjN6thrust23THRUST_200600_302600_NS5tupleIffNS6_9null_typeES8_S8_S8_S8_S8_S8_S8_EEEEZZNS1_27merge_sort_block_merge_implIS3_NS6_6detail15normal_iteratorINS6_10device_ptrIjEEEENSD_INSE_IS9_EEEEjNS1_19radix_merge_compareILb0ELb1EjNS0_19identity_decomposerEEEEE10hipError_tT0_T1_T2_jT3_P12ihipStream_tbPNSt15iterator_traitsISN_E10value_typeEPNST_ISO_E10value_typeEPSP_NS1_7vsmem_tEENKUlT_SN_SO_SP_E_clIPjSG_PS9_SI_EESM_S12_SN_SO_SP_EUlS12_E_NS1_11comp_targetILNS1_3genE0ELNS1_11target_archE4294967295ELNS1_3gpuE0ELNS1_3repE0EEENS1_48merge_mergepath_partition_config_static_selectorELNS0_4arch9wavefront6targetE0EEEvSO_
		.amdhsa_group_segment_fixed_size 0
		.amdhsa_private_segment_fixed_size 0
		.amdhsa_kernarg_size 40
		.amdhsa_user_sgpr_count 6
		.amdhsa_user_sgpr_private_segment_buffer 1
		.amdhsa_user_sgpr_dispatch_ptr 0
		.amdhsa_user_sgpr_queue_ptr 0
		.amdhsa_user_sgpr_kernarg_segment_ptr 1
		.amdhsa_user_sgpr_dispatch_id 0
		.amdhsa_user_sgpr_flat_scratch_init 0
		.amdhsa_user_sgpr_private_segment_size 0
		.amdhsa_wavefront_size32 1
		.amdhsa_uses_dynamic_stack 0
		.amdhsa_system_sgpr_private_segment_wavefront_offset 0
		.amdhsa_system_sgpr_workgroup_id_x 1
		.amdhsa_system_sgpr_workgroup_id_y 0
		.amdhsa_system_sgpr_workgroup_id_z 0
		.amdhsa_system_sgpr_workgroup_info 0
		.amdhsa_system_vgpr_workitem_id 0
		.amdhsa_next_free_vgpr 1
		.amdhsa_next_free_sgpr 1
		.amdhsa_reserve_vcc 0
		.amdhsa_reserve_flat_scratch 0
		.amdhsa_float_round_mode_32 0
		.amdhsa_float_round_mode_16_64 0
		.amdhsa_float_denorm_mode_32 3
		.amdhsa_float_denorm_mode_16_64 3
		.amdhsa_dx10_clamp 1
		.amdhsa_ieee_mode 1
		.amdhsa_fp16_overflow 0
		.amdhsa_workgroup_processor_mode 1
		.amdhsa_memory_ordered 1
		.amdhsa_forward_progress 1
		.amdhsa_shared_vgpr_count 0
		.amdhsa_exception_fp_ieee_invalid_op 0
		.amdhsa_exception_fp_denorm_src 0
		.amdhsa_exception_fp_ieee_div_zero 0
		.amdhsa_exception_fp_ieee_overflow 0
		.amdhsa_exception_fp_ieee_underflow 0
		.amdhsa_exception_fp_ieee_inexact 0
		.amdhsa_exception_int_div_zero 0
	.end_amdhsa_kernel
	.section	.text._ZN7rocprim17ROCPRIM_400000_NS6detail17trampoline_kernelINS0_14default_configENS1_38merge_sort_block_merge_config_selectorIjN6thrust23THRUST_200600_302600_NS5tupleIffNS6_9null_typeES8_S8_S8_S8_S8_S8_S8_EEEEZZNS1_27merge_sort_block_merge_implIS3_NS6_6detail15normal_iteratorINS6_10device_ptrIjEEEENSD_INSE_IS9_EEEEjNS1_19radix_merge_compareILb0ELb1EjNS0_19identity_decomposerEEEEE10hipError_tT0_T1_T2_jT3_P12ihipStream_tbPNSt15iterator_traitsISN_E10value_typeEPNST_ISO_E10value_typeEPSP_NS1_7vsmem_tEENKUlT_SN_SO_SP_E_clIPjSG_PS9_SI_EESM_S12_SN_SO_SP_EUlS12_E_NS1_11comp_targetILNS1_3genE0ELNS1_11target_archE4294967295ELNS1_3gpuE0ELNS1_3repE0EEENS1_48merge_mergepath_partition_config_static_selectorELNS0_4arch9wavefront6targetE0EEEvSO_,"axG",@progbits,_ZN7rocprim17ROCPRIM_400000_NS6detail17trampoline_kernelINS0_14default_configENS1_38merge_sort_block_merge_config_selectorIjN6thrust23THRUST_200600_302600_NS5tupleIffNS6_9null_typeES8_S8_S8_S8_S8_S8_S8_EEEEZZNS1_27merge_sort_block_merge_implIS3_NS6_6detail15normal_iteratorINS6_10device_ptrIjEEEENSD_INSE_IS9_EEEEjNS1_19radix_merge_compareILb0ELb1EjNS0_19identity_decomposerEEEEE10hipError_tT0_T1_T2_jT3_P12ihipStream_tbPNSt15iterator_traitsISN_E10value_typeEPNST_ISO_E10value_typeEPSP_NS1_7vsmem_tEENKUlT_SN_SO_SP_E_clIPjSG_PS9_SI_EESM_S12_SN_SO_SP_EUlS12_E_NS1_11comp_targetILNS1_3genE0ELNS1_11target_archE4294967295ELNS1_3gpuE0ELNS1_3repE0EEENS1_48merge_mergepath_partition_config_static_selectorELNS0_4arch9wavefront6targetE0EEEvSO_,comdat
.Lfunc_end91:
	.size	_ZN7rocprim17ROCPRIM_400000_NS6detail17trampoline_kernelINS0_14default_configENS1_38merge_sort_block_merge_config_selectorIjN6thrust23THRUST_200600_302600_NS5tupleIffNS6_9null_typeES8_S8_S8_S8_S8_S8_S8_EEEEZZNS1_27merge_sort_block_merge_implIS3_NS6_6detail15normal_iteratorINS6_10device_ptrIjEEEENSD_INSE_IS9_EEEEjNS1_19radix_merge_compareILb0ELb1EjNS0_19identity_decomposerEEEEE10hipError_tT0_T1_T2_jT3_P12ihipStream_tbPNSt15iterator_traitsISN_E10value_typeEPNST_ISO_E10value_typeEPSP_NS1_7vsmem_tEENKUlT_SN_SO_SP_E_clIPjSG_PS9_SI_EESM_S12_SN_SO_SP_EUlS12_E_NS1_11comp_targetILNS1_3genE0ELNS1_11target_archE4294967295ELNS1_3gpuE0ELNS1_3repE0EEENS1_48merge_mergepath_partition_config_static_selectorELNS0_4arch9wavefront6targetE0EEEvSO_, .Lfunc_end91-_ZN7rocprim17ROCPRIM_400000_NS6detail17trampoline_kernelINS0_14default_configENS1_38merge_sort_block_merge_config_selectorIjN6thrust23THRUST_200600_302600_NS5tupleIffNS6_9null_typeES8_S8_S8_S8_S8_S8_S8_EEEEZZNS1_27merge_sort_block_merge_implIS3_NS6_6detail15normal_iteratorINS6_10device_ptrIjEEEENSD_INSE_IS9_EEEEjNS1_19radix_merge_compareILb0ELb1EjNS0_19identity_decomposerEEEEE10hipError_tT0_T1_T2_jT3_P12ihipStream_tbPNSt15iterator_traitsISN_E10value_typeEPNST_ISO_E10value_typeEPSP_NS1_7vsmem_tEENKUlT_SN_SO_SP_E_clIPjSG_PS9_SI_EESM_S12_SN_SO_SP_EUlS12_E_NS1_11comp_targetILNS1_3genE0ELNS1_11target_archE4294967295ELNS1_3gpuE0ELNS1_3repE0EEENS1_48merge_mergepath_partition_config_static_selectorELNS0_4arch9wavefront6targetE0EEEvSO_
                                        ; -- End function
	.set _ZN7rocprim17ROCPRIM_400000_NS6detail17trampoline_kernelINS0_14default_configENS1_38merge_sort_block_merge_config_selectorIjN6thrust23THRUST_200600_302600_NS5tupleIffNS6_9null_typeES8_S8_S8_S8_S8_S8_S8_EEEEZZNS1_27merge_sort_block_merge_implIS3_NS6_6detail15normal_iteratorINS6_10device_ptrIjEEEENSD_INSE_IS9_EEEEjNS1_19radix_merge_compareILb0ELb1EjNS0_19identity_decomposerEEEEE10hipError_tT0_T1_T2_jT3_P12ihipStream_tbPNSt15iterator_traitsISN_E10value_typeEPNST_ISO_E10value_typeEPSP_NS1_7vsmem_tEENKUlT_SN_SO_SP_E_clIPjSG_PS9_SI_EESM_S12_SN_SO_SP_EUlS12_E_NS1_11comp_targetILNS1_3genE0ELNS1_11target_archE4294967295ELNS1_3gpuE0ELNS1_3repE0EEENS1_48merge_mergepath_partition_config_static_selectorELNS0_4arch9wavefront6targetE0EEEvSO_.num_vgpr, 0
	.set _ZN7rocprim17ROCPRIM_400000_NS6detail17trampoline_kernelINS0_14default_configENS1_38merge_sort_block_merge_config_selectorIjN6thrust23THRUST_200600_302600_NS5tupleIffNS6_9null_typeES8_S8_S8_S8_S8_S8_S8_EEEEZZNS1_27merge_sort_block_merge_implIS3_NS6_6detail15normal_iteratorINS6_10device_ptrIjEEEENSD_INSE_IS9_EEEEjNS1_19radix_merge_compareILb0ELb1EjNS0_19identity_decomposerEEEEE10hipError_tT0_T1_T2_jT3_P12ihipStream_tbPNSt15iterator_traitsISN_E10value_typeEPNST_ISO_E10value_typeEPSP_NS1_7vsmem_tEENKUlT_SN_SO_SP_E_clIPjSG_PS9_SI_EESM_S12_SN_SO_SP_EUlS12_E_NS1_11comp_targetILNS1_3genE0ELNS1_11target_archE4294967295ELNS1_3gpuE0ELNS1_3repE0EEENS1_48merge_mergepath_partition_config_static_selectorELNS0_4arch9wavefront6targetE0EEEvSO_.num_agpr, 0
	.set _ZN7rocprim17ROCPRIM_400000_NS6detail17trampoline_kernelINS0_14default_configENS1_38merge_sort_block_merge_config_selectorIjN6thrust23THRUST_200600_302600_NS5tupleIffNS6_9null_typeES8_S8_S8_S8_S8_S8_S8_EEEEZZNS1_27merge_sort_block_merge_implIS3_NS6_6detail15normal_iteratorINS6_10device_ptrIjEEEENSD_INSE_IS9_EEEEjNS1_19radix_merge_compareILb0ELb1EjNS0_19identity_decomposerEEEEE10hipError_tT0_T1_T2_jT3_P12ihipStream_tbPNSt15iterator_traitsISN_E10value_typeEPNST_ISO_E10value_typeEPSP_NS1_7vsmem_tEENKUlT_SN_SO_SP_E_clIPjSG_PS9_SI_EESM_S12_SN_SO_SP_EUlS12_E_NS1_11comp_targetILNS1_3genE0ELNS1_11target_archE4294967295ELNS1_3gpuE0ELNS1_3repE0EEENS1_48merge_mergepath_partition_config_static_selectorELNS0_4arch9wavefront6targetE0EEEvSO_.numbered_sgpr, 0
	.set _ZN7rocprim17ROCPRIM_400000_NS6detail17trampoline_kernelINS0_14default_configENS1_38merge_sort_block_merge_config_selectorIjN6thrust23THRUST_200600_302600_NS5tupleIffNS6_9null_typeES8_S8_S8_S8_S8_S8_S8_EEEEZZNS1_27merge_sort_block_merge_implIS3_NS6_6detail15normal_iteratorINS6_10device_ptrIjEEEENSD_INSE_IS9_EEEEjNS1_19radix_merge_compareILb0ELb1EjNS0_19identity_decomposerEEEEE10hipError_tT0_T1_T2_jT3_P12ihipStream_tbPNSt15iterator_traitsISN_E10value_typeEPNST_ISO_E10value_typeEPSP_NS1_7vsmem_tEENKUlT_SN_SO_SP_E_clIPjSG_PS9_SI_EESM_S12_SN_SO_SP_EUlS12_E_NS1_11comp_targetILNS1_3genE0ELNS1_11target_archE4294967295ELNS1_3gpuE0ELNS1_3repE0EEENS1_48merge_mergepath_partition_config_static_selectorELNS0_4arch9wavefront6targetE0EEEvSO_.num_named_barrier, 0
	.set _ZN7rocprim17ROCPRIM_400000_NS6detail17trampoline_kernelINS0_14default_configENS1_38merge_sort_block_merge_config_selectorIjN6thrust23THRUST_200600_302600_NS5tupleIffNS6_9null_typeES8_S8_S8_S8_S8_S8_S8_EEEEZZNS1_27merge_sort_block_merge_implIS3_NS6_6detail15normal_iteratorINS6_10device_ptrIjEEEENSD_INSE_IS9_EEEEjNS1_19radix_merge_compareILb0ELb1EjNS0_19identity_decomposerEEEEE10hipError_tT0_T1_T2_jT3_P12ihipStream_tbPNSt15iterator_traitsISN_E10value_typeEPNST_ISO_E10value_typeEPSP_NS1_7vsmem_tEENKUlT_SN_SO_SP_E_clIPjSG_PS9_SI_EESM_S12_SN_SO_SP_EUlS12_E_NS1_11comp_targetILNS1_3genE0ELNS1_11target_archE4294967295ELNS1_3gpuE0ELNS1_3repE0EEENS1_48merge_mergepath_partition_config_static_selectorELNS0_4arch9wavefront6targetE0EEEvSO_.private_seg_size, 0
	.set _ZN7rocprim17ROCPRIM_400000_NS6detail17trampoline_kernelINS0_14default_configENS1_38merge_sort_block_merge_config_selectorIjN6thrust23THRUST_200600_302600_NS5tupleIffNS6_9null_typeES8_S8_S8_S8_S8_S8_S8_EEEEZZNS1_27merge_sort_block_merge_implIS3_NS6_6detail15normal_iteratorINS6_10device_ptrIjEEEENSD_INSE_IS9_EEEEjNS1_19radix_merge_compareILb0ELb1EjNS0_19identity_decomposerEEEEE10hipError_tT0_T1_T2_jT3_P12ihipStream_tbPNSt15iterator_traitsISN_E10value_typeEPNST_ISO_E10value_typeEPSP_NS1_7vsmem_tEENKUlT_SN_SO_SP_E_clIPjSG_PS9_SI_EESM_S12_SN_SO_SP_EUlS12_E_NS1_11comp_targetILNS1_3genE0ELNS1_11target_archE4294967295ELNS1_3gpuE0ELNS1_3repE0EEENS1_48merge_mergepath_partition_config_static_selectorELNS0_4arch9wavefront6targetE0EEEvSO_.uses_vcc, 0
	.set _ZN7rocprim17ROCPRIM_400000_NS6detail17trampoline_kernelINS0_14default_configENS1_38merge_sort_block_merge_config_selectorIjN6thrust23THRUST_200600_302600_NS5tupleIffNS6_9null_typeES8_S8_S8_S8_S8_S8_S8_EEEEZZNS1_27merge_sort_block_merge_implIS3_NS6_6detail15normal_iteratorINS6_10device_ptrIjEEEENSD_INSE_IS9_EEEEjNS1_19radix_merge_compareILb0ELb1EjNS0_19identity_decomposerEEEEE10hipError_tT0_T1_T2_jT3_P12ihipStream_tbPNSt15iterator_traitsISN_E10value_typeEPNST_ISO_E10value_typeEPSP_NS1_7vsmem_tEENKUlT_SN_SO_SP_E_clIPjSG_PS9_SI_EESM_S12_SN_SO_SP_EUlS12_E_NS1_11comp_targetILNS1_3genE0ELNS1_11target_archE4294967295ELNS1_3gpuE0ELNS1_3repE0EEENS1_48merge_mergepath_partition_config_static_selectorELNS0_4arch9wavefront6targetE0EEEvSO_.uses_flat_scratch, 0
	.set _ZN7rocprim17ROCPRIM_400000_NS6detail17trampoline_kernelINS0_14default_configENS1_38merge_sort_block_merge_config_selectorIjN6thrust23THRUST_200600_302600_NS5tupleIffNS6_9null_typeES8_S8_S8_S8_S8_S8_S8_EEEEZZNS1_27merge_sort_block_merge_implIS3_NS6_6detail15normal_iteratorINS6_10device_ptrIjEEEENSD_INSE_IS9_EEEEjNS1_19radix_merge_compareILb0ELb1EjNS0_19identity_decomposerEEEEE10hipError_tT0_T1_T2_jT3_P12ihipStream_tbPNSt15iterator_traitsISN_E10value_typeEPNST_ISO_E10value_typeEPSP_NS1_7vsmem_tEENKUlT_SN_SO_SP_E_clIPjSG_PS9_SI_EESM_S12_SN_SO_SP_EUlS12_E_NS1_11comp_targetILNS1_3genE0ELNS1_11target_archE4294967295ELNS1_3gpuE0ELNS1_3repE0EEENS1_48merge_mergepath_partition_config_static_selectorELNS0_4arch9wavefront6targetE0EEEvSO_.has_dyn_sized_stack, 0
	.set _ZN7rocprim17ROCPRIM_400000_NS6detail17trampoline_kernelINS0_14default_configENS1_38merge_sort_block_merge_config_selectorIjN6thrust23THRUST_200600_302600_NS5tupleIffNS6_9null_typeES8_S8_S8_S8_S8_S8_S8_EEEEZZNS1_27merge_sort_block_merge_implIS3_NS6_6detail15normal_iteratorINS6_10device_ptrIjEEEENSD_INSE_IS9_EEEEjNS1_19radix_merge_compareILb0ELb1EjNS0_19identity_decomposerEEEEE10hipError_tT0_T1_T2_jT3_P12ihipStream_tbPNSt15iterator_traitsISN_E10value_typeEPNST_ISO_E10value_typeEPSP_NS1_7vsmem_tEENKUlT_SN_SO_SP_E_clIPjSG_PS9_SI_EESM_S12_SN_SO_SP_EUlS12_E_NS1_11comp_targetILNS1_3genE0ELNS1_11target_archE4294967295ELNS1_3gpuE0ELNS1_3repE0EEENS1_48merge_mergepath_partition_config_static_selectorELNS0_4arch9wavefront6targetE0EEEvSO_.has_recursion, 0
	.set _ZN7rocprim17ROCPRIM_400000_NS6detail17trampoline_kernelINS0_14default_configENS1_38merge_sort_block_merge_config_selectorIjN6thrust23THRUST_200600_302600_NS5tupleIffNS6_9null_typeES8_S8_S8_S8_S8_S8_S8_EEEEZZNS1_27merge_sort_block_merge_implIS3_NS6_6detail15normal_iteratorINS6_10device_ptrIjEEEENSD_INSE_IS9_EEEEjNS1_19radix_merge_compareILb0ELb1EjNS0_19identity_decomposerEEEEE10hipError_tT0_T1_T2_jT3_P12ihipStream_tbPNSt15iterator_traitsISN_E10value_typeEPNST_ISO_E10value_typeEPSP_NS1_7vsmem_tEENKUlT_SN_SO_SP_E_clIPjSG_PS9_SI_EESM_S12_SN_SO_SP_EUlS12_E_NS1_11comp_targetILNS1_3genE0ELNS1_11target_archE4294967295ELNS1_3gpuE0ELNS1_3repE0EEENS1_48merge_mergepath_partition_config_static_selectorELNS0_4arch9wavefront6targetE0EEEvSO_.has_indirect_call, 0
	.section	.AMDGPU.csdata,"",@progbits
; Kernel info:
; codeLenInByte = 0
; TotalNumSgprs: 0
; NumVgprs: 0
; ScratchSize: 0
; MemoryBound: 0
; FloatMode: 240
; IeeeMode: 1
; LDSByteSize: 0 bytes/workgroup (compile time only)
; SGPRBlocks: 0
; VGPRBlocks: 0
; NumSGPRsForWavesPerEU: 1
; NumVGPRsForWavesPerEU: 1
; Occupancy: 16
; WaveLimiterHint : 0
; COMPUTE_PGM_RSRC2:SCRATCH_EN: 0
; COMPUTE_PGM_RSRC2:USER_SGPR: 6
; COMPUTE_PGM_RSRC2:TRAP_HANDLER: 0
; COMPUTE_PGM_RSRC2:TGID_X_EN: 1
; COMPUTE_PGM_RSRC2:TGID_Y_EN: 0
; COMPUTE_PGM_RSRC2:TGID_Z_EN: 0
; COMPUTE_PGM_RSRC2:TIDIG_COMP_CNT: 0
	.section	.text._ZN7rocprim17ROCPRIM_400000_NS6detail17trampoline_kernelINS0_14default_configENS1_38merge_sort_block_merge_config_selectorIjN6thrust23THRUST_200600_302600_NS5tupleIffNS6_9null_typeES8_S8_S8_S8_S8_S8_S8_EEEEZZNS1_27merge_sort_block_merge_implIS3_NS6_6detail15normal_iteratorINS6_10device_ptrIjEEEENSD_INSE_IS9_EEEEjNS1_19radix_merge_compareILb0ELb1EjNS0_19identity_decomposerEEEEE10hipError_tT0_T1_T2_jT3_P12ihipStream_tbPNSt15iterator_traitsISN_E10value_typeEPNST_ISO_E10value_typeEPSP_NS1_7vsmem_tEENKUlT_SN_SO_SP_E_clIPjSG_PS9_SI_EESM_S12_SN_SO_SP_EUlS12_E_NS1_11comp_targetILNS1_3genE10ELNS1_11target_archE1201ELNS1_3gpuE5ELNS1_3repE0EEENS1_48merge_mergepath_partition_config_static_selectorELNS0_4arch9wavefront6targetE0EEEvSO_,"axG",@progbits,_ZN7rocprim17ROCPRIM_400000_NS6detail17trampoline_kernelINS0_14default_configENS1_38merge_sort_block_merge_config_selectorIjN6thrust23THRUST_200600_302600_NS5tupleIffNS6_9null_typeES8_S8_S8_S8_S8_S8_S8_EEEEZZNS1_27merge_sort_block_merge_implIS3_NS6_6detail15normal_iteratorINS6_10device_ptrIjEEEENSD_INSE_IS9_EEEEjNS1_19radix_merge_compareILb0ELb1EjNS0_19identity_decomposerEEEEE10hipError_tT0_T1_T2_jT3_P12ihipStream_tbPNSt15iterator_traitsISN_E10value_typeEPNST_ISO_E10value_typeEPSP_NS1_7vsmem_tEENKUlT_SN_SO_SP_E_clIPjSG_PS9_SI_EESM_S12_SN_SO_SP_EUlS12_E_NS1_11comp_targetILNS1_3genE10ELNS1_11target_archE1201ELNS1_3gpuE5ELNS1_3repE0EEENS1_48merge_mergepath_partition_config_static_selectorELNS0_4arch9wavefront6targetE0EEEvSO_,comdat
	.protected	_ZN7rocprim17ROCPRIM_400000_NS6detail17trampoline_kernelINS0_14default_configENS1_38merge_sort_block_merge_config_selectorIjN6thrust23THRUST_200600_302600_NS5tupleIffNS6_9null_typeES8_S8_S8_S8_S8_S8_S8_EEEEZZNS1_27merge_sort_block_merge_implIS3_NS6_6detail15normal_iteratorINS6_10device_ptrIjEEEENSD_INSE_IS9_EEEEjNS1_19radix_merge_compareILb0ELb1EjNS0_19identity_decomposerEEEEE10hipError_tT0_T1_T2_jT3_P12ihipStream_tbPNSt15iterator_traitsISN_E10value_typeEPNST_ISO_E10value_typeEPSP_NS1_7vsmem_tEENKUlT_SN_SO_SP_E_clIPjSG_PS9_SI_EESM_S12_SN_SO_SP_EUlS12_E_NS1_11comp_targetILNS1_3genE10ELNS1_11target_archE1201ELNS1_3gpuE5ELNS1_3repE0EEENS1_48merge_mergepath_partition_config_static_selectorELNS0_4arch9wavefront6targetE0EEEvSO_ ; -- Begin function _ZN7rocprim17ROCPRIM_400000_NS6detail17trampoline_kernelINS0_14default_configENS1_38merge_sort_block_merge_config_selectorIjN6thrust23THRUST_200600_302600_NS5tupleIffNS6_9null_typeES8_S8_S8_S8_S8_S8_S8_EEEEZZNS1_27merge_sort_block_merge_implIS3_NS6_6detail15normal_iteratorINS6_10device_ptrIjEEEENSD_INSE_IS9_EEEEjNS1_19radix_merge_compareILb0ELb1EjNS0_19identity_decomposerEEEEE10hipError_tT0_T1_T2_jT3_P12ihipStream_tbPNSt15iterator_traitsISN_E10value_typeEPNST_ISO_E10value_typeEPSP_NS1_7vsmem_tEENKUlT_SN_SO_SP_E_clIPjSG_PS9_SI_EESM_S12_SN_SO_SP_EUlS12_E_NS1_11comp_targetILNS1_3genE10ELNS1_11target_archE1201ELNS1_3gpuE5ELNS1_3repE0EEENS1_48merge_mergepath_partition_config_static_selectorELNS0_4arch9wavefront6targetE0EEEvSO_
	.globl	_ZN7rocprim17ROCPRIM_400000_NS6detail17trampoline_kernelINS0_14default_configENS1_38merge_sort_block_merge_config_selectorIjN6thrust23THRUST_200600_302600_NS5tupleIffNS6_9null_typeES8_S8_S8_S8_S8_S8_S8_EEEEZZNS1_27merge_sort_block_merge_implIS3_NS6_6detail15normal_iteratorINS6_10device_ptrIjEEEENSD_INSE_IS9_EEEEjNS1_19radix_merge_compareILb0ELb1EjNS0_19identity_decomposerEEEEE10hipError_tT0_T1_T2_jT3_P12ihipStream_tbPNSt15iterator_traitsISN_E10value_typeEPNST_ISO_E10value_typeEPSP_NS1_7vsmem_tEENKUlT_SN_SO_SP_E_clIPjSG_PS9_SI_EESM_S12_SN_SO_SP_EUlS12_E_NS1_11comp_targetILNS1_3genE10ELNS1_11target_archE1201ELNS1_3gpuE5ELNS1_3repE0EEENS1_48merge_mergepath_partition_config_static_selectorELNS0_4arch9wavefront6targetE0EEEvSO_
	.p2align	8
	.type	_ZN7rocprim17ROCPRIM_400000_NS6detail17trampoline_kernelINS0_14default_configENS1_38merge_sort_block_merge_config_selectorIjN6thrust23THRUST_200600_302600_NS5tupleIffNS6_9null_typeES8_S8_S8_S8_S8_S8_S8_EEEEZZNS1_27merge_sort_block_merge_implIS3_NS6_6detail15normal_iteratorINS6_10device_ptrIjEEEENSD_INSE_IS9_EEEEjNS1_19radix_merge_compareILb0ELb1EjNS0_19identity_decomposerEEEEE10hipError_tT0_T1_T2_jT3_P12ihipStream_tbPNSt15iterator_traitsISN_E10value_typeEPNST_ISO_E10value_typeEPSP_NS1_7vsmem_tEENKUlT_SN_SO_SP_E_clIPjSG_PS9_SI_EESM_S12_SN_SO_SP_EUlS12_E_NS1_11comp_targetILNS1_3genE10ELNS1_11target_archE1201ELNS1_3gpuE5ELNS1_3repE0EEENS1_48merge_mergepath_partition_config_static_selectorELNS0_4arch9wavefront6targetE0EEEvSO_,@function
_ZN7rocprim17ROCPRIM_400000_NS6detail17trampoline_kernelINS0_14default_configENS1_38merge_sort_block_merge_config_selectorIjN6thrust23THRUST_200600_302600_NS5tupleIffNS6_9null_typeES8_S8_S8_S8_S8_S8_S8_EEEEZZNS1_27merge_sort_block_merge_implIS3_NS6_6detail15normal_iteratorINS6_10device_ptrIjEEEENSD_INSE_IS9_EEEEjNS1_19radix_merge_compareILb0ELb1EjNS0_19identity_decomposerEEEEE10hipError_tT0_T1_T2_jT3_P12ihipStream_tbPNSt15iterator_traitsISN_E10value_typeEPNST_ISO_E10value_typeEPSP_NS1_7vsmem_tEENKUlT_SN_SO_SP_E_clIPjSG_PS9_SI_EESM_S12_SN_SO_SP_EUlS12_E_NS1_11comp_targetILNS1_3genE10ELNS1_11target_archE1201ELNS1_3gpuE5ELNS1_3repE0EEENS1_48merge_mergepath_partition_config_static_selectorELNS0_4arch9wavefront6targetE0EEEvSO_: ; @_ZN7rocprim17ROCPRIM_400000_NS6detail17trampoline_kernelINS0_14default_configENS1_38merge_sort_block_merge_config_selectorIjN6thrust23THRUST_200600_302600_NS5tupleIffNS6_9null_typeES8_S8_S8_S8_S8_S8_S8_EEEEZZNS1_27merge_sort_block_merge_implIS3_NS6_6detail15normal_iteratorINS6_10device_ptrIjEEEENSD_INSE_IS9_EEEEjNS1_19radix_merge_compareILb0ELb1EjNS0_19identity_decomposerEEEEE10hipError_tT0_T1_T2_jT3_P12ihipStream_tbPNSt15iterator_traitsISN_E10value_typeEPNST_ISO_E10value_typeEPSP_NS1_7vsmem_tEENKUlT_SN_SO_SP_E_clIPjSG_PS9_SI_EESM_S12_SN_SO_SP_EUlS12_E_NS1_11comp_targetILNS1_3genE10ELNS1_11target_archE1201ELNS1_3gpuE5ELNS1_3repE0EEENS1_48merge_mergepath_partition_config_static_selectorELNS0_4arch9wavefront6targetE0EEEvSO_
; %bb.0:
	.section	.rodata,"a",@progbits
	.p2align	6, 0x0
	.amdhsa_kernel _ZN7rocprim17ROCPRIM_400000_NS6detail17trampoline_kernelINS0_14default_configENS1_38merge_sort_block_merge_config_selectorIjN6thrust23THRUST_200600_302600_NS5tupleIffNS6_9null_typeES8_S8_S8_S8_S8_S8_S8_EEEEZZNS1_27merge_sort_block_merge_implIS3_NS6_6detail15normal_iteratorINS6_10device_ptrIjEEEENSD_INSE_IS9_EEEEjNS1_19radix_merge_compareILb0ELb1EjNS0_19identity_decomposerEEEEE10hipError_tT0_T1_T2_jT3_P12ihipStream_tbPNSt15iterator_traitsISN_E10value_typeEPNST_ISO_E10value_typeEPSP_NS1_7vsmem_tEENKUlT_SN_SO_SP_E_clIPjSG_PS9_SI_EESM_S12_SN_SO_SP_EUlS12_E_NS1_11comp_targetILNS1_3genE10ELNS1_11target_archE1201ELNS1_3gpuE5ELNS1_3repE0EEENS1_48merge_mergepath_partition_config_static_selectorELNS0_4arch9wavefront6targetE0EEEvSO_
		.amdhsa_group_segment_fixed_size 0
		.amdhsa_private_segment_fixed_size 0
		.amdhsa_kernarg_size 40
		.amdhsa_user_sgpr_count 6
		.amdhsa_user_sgpr_private_segment_buffer 1
		.amdhsa_user_sgpr_dispatch_ptr 0
		.amdhsa_user_sgpr_queue_ptr 0
		.amdhsa_user_sgpr_kernarg_segment_ptr 1
		.amdhsa_user_sgpr_dispatch_id 0
		.amdhsa_user_sgpr_flat_scratch_init 0
		.amdhsa_user_sgpr_private_segment_size 0
		.amdhsa_wavefront_size32 1
		.amdhsa_uses_dynamic_stack 0
		.amdhsa_system_sgpr_private_segment_wavefront_offset 0
		.amdhsa_system_sgpr_workgroup_id_x 1
		.amdhsa_system_sgpr_workgroup_id_y 0
		.amdhsa_system_sgpr_workgroup_id_z 0
		.amdhsa_system_sgpr_workgroup_info 0
		.amdhsa_system_vgpr_workitem_id 0
		.amdhsa_next_free_vgpr 1
		.amdhsa_next_free_sgpr 1
		.amdhsa_reserve_vcc 0
		.amdhsa_reserve_flat_scratch 0
		.amdhsa_float_round_mode_32 0
		.amdhsa_float_round_mode_16_64 0
		.amdhsa_float_denorm_mode_32 3
		.amdhsa_float_denorm_mode_16_64 3
		.amdhsa_dx10_clamp 1
		.amdhsa_ieee_mode 1
		.amdhsa_fp16_overflow 0
		.amdhsa_workgroup_processor_mode 1
		.amdhsa_memory_ordered 1
		.amdhsa_forward_progress 1
		.amdhsa_shared_vgpr_count 0
		.amdhsa_exception_fp_ieee_invalid_op 0
		.amdhsa_exception_fp_denorm_src 0
		.amdhsa_exception_fp_ieee_div_zero 0
		.amdhsa_exception_fp_ieee_overflow 0
		.amdhsa_exception_fp_ieee_underflow 0
		.amdhsa_exception_fp_ieee_inexact 0
		.amdhsa_exception_int_div_zero 0
	.end_amdhsa_kernel
	.section	.text._ZN7rocprim17ROCPRIM_400000_NS6detail17trampoline_kernelINS0_14default_configENS1_38merge_sort_block_merge_config_selectorIjN6thrust23THRUST_200600_302600_NS5tupleIffNS6_9null_typeES8_S8_S8_S8_S8_S8_S8_EEEEZZNS1_27merge_sort_block_merge_implIS3_NS6_6detail15normal_iteratorINS6_10device_ptrIjEEEENSD_INSE_IS9_EEEEjNS1_19radix_merge_compareILb0ELb1EjNS0_19identity_decomposerEEEEE10hipError_tT0_T1_T2_jT3_P12ihipStream_tbPNSt15iterator_traitsISN_E10value_typeEPNST_ISO_E10value_typeEPSP_NS1_7vsmem_tEENKUlT_SN_SO_SP_E_clIPjSG_PS9_SI_EESM_S12_SN_SO_SP_EUlS12_E_NS1_11comp_targetILNS1_3genE10ELNS1_11target_archE1201ELNS1_3gpuE5ELNS1_3repE0EEENS1_48merge_mergepath_partition_config_static_selectorELNS0_4arch9wavefront6targetE0EEEvSO_,"axG",@progbits,_ZN7rocprim17ROCPRIM_400000_NS6detail17trampoline_kernelINS0_14default_configENS1_38merge_sort_block_merge_config_selectorIjN6thrust23THRUST_200600_302600_NS5tupleIffNS6_9null_typeES8_S8_S8_S8_S8_S8_S8_EEEEZZNS1_27merge_sort_block_merge_implIS3_NS6_6detail15normal_iteratorINS6_10device_ptrIjEEEENSD_INSE_IS9_EEEEjNS1_19radix_merge_compareILb0ELb1EjNS0_19identity_decomposerEEEEE10hipError_tT0_T1_T2_jT3_P12ihipStream_tbPNSt15iterator_traitsISN_E10value_typeEPNST_ISO_E10value_typeEPSP_NS1_7vsmem_tEENKUlT_SN_SO_SP_E_clIPjSG_PS9_SI_EESM_S12_SN_SO_SP_EUlS12_E_NS1_11comp_targetILNS1_3genE10ELNS1_11target_archE1201ELNS1_3gpuE5ELNS1_3repE0EEENS1_48merge_mergepath_partition_config_static_selectorELNS0_4arch9wavefront6targetE0EEEvSO_,comdat
.Lfunc_end92:
	.size	_ZN7rocprim17ROCPRIM_400000_NS6detail17trampoline_kernelINS0_14default_configENS1_38merge_sort_block_merge_config_selectorIjN6thrust23THRUST_200600_302600_NS5tupleIffNS6_9null_typeES8_S8_S8_S8_S8_S8_S8_EEEEZZNS1_27merge_sort_block_merge_implIS3_NS6_6detail15normal_iteratorINS6_10device_ptrIjEEEENSD_INSE_IS9_EEEEjNS1_19radix_merge_compareILb0ELb1EjNS0_19identity_decomposerEEEEE10hipError_tT0_T1_T2_jT3_P12ihipStream_tbPNSt15iterator_traitsISN_E10value_typeEPNST_ISO_E10value_typeEPSP_NS1_7vsmem_tEENKUlT_SN_SO_SP_E_clIPjSG_PS9_SI_EESM_S12_SN_SO_SP_EUlS12_E_NS1_11comp_targetILNS1_3genE10ELNS1_11target_archE1201ELNS1_3gpuE5ELNS1_3repE0EEENS1_48merge_mergepath_partition_config_static_selectorELNS0_4arch9wavefront6targetE0EEEvSO_, .Lfunc_end92-_ZN7rocprim17ROCPRIM_400000_NS6detail17trampoline_kernelINS0_14default_configENS1_38merge_sort_block_merge_config_selectorIjN6thrust23THRUST_200600_302600_NS5tupleIffNS6_9null_typeES8_S8_S8_S8_S8_S8_S8_EEEEZZNS1_27merge_sort_block_merge_implIS3_NS6_6detail15normal_iteratorINS6_10device_ptrIjEEEENSD_INSE_IS9_EEEEjNS1_19radix_merge_compareILb0ELb1EjNS0_19identity_decomposerEEEEE10hipError_tT0_T1_T2_jT3_P12ihipStream_tbPNSt15iterator_traitsISN_E10value_typeEPNST_ISO_E10value_typeEPSP_NS1_7vsmem_tEENKUlT_SN_SO_SP_E_clIPjSG_PS9_SI_EESM_S12_SN_SO_SP_EUlS12_E_NS1_11comp_targetILNS1_3genE10ELNS1_11target_archE1201ELNS1_3gpuE5ELNS1_3repE0EEENS1_48merge_mergepath_partition_config_static_selectorELNS0_4arch9wavefront6targetE0EEEvSO_
                                        ; -- End function
	.set _ZN7rocprim17ROCPRIM_400000_NS6detail17trampoline_kernelINS0_14default_configENS1_38merge_sort_block_merge_config_selectorIjN6thrust23THRUST_200600_302600_NS5tupleIffNS6_9null_typeES8_S8_S8_S8_S8_S8_S8_EEEEZZNS1_27merge_sort_block_merge_implIS3_NS6_6detail15normal_iteratorINS6_10device_ptrIjEEEENSD_INSE_IS9_EEEEjNS1_19radix_merge_compareILb0ELb1EjNS0_19identity_decomposerEEEEE10hipError_tT0_T1_T2_jT3_P12ihipStream_tbPNSt15iterator_traitsISN_E10value_typeEPNST_ISO_E10value_typeEPSP_NS1_7vsmem_tEENKUlT_SN_SO_SP_E_clIPjSG_PS9_SI_EESM_S12_SN_SO_SP_EUlS12_E_NS1_11comp_targetILNS1_3genE10ELNS1_11target_archE1201ELNS1_3gpuE5ELNS1_3repE0EEENS1_48merge_mergepath_partition_config_static_selectorELNS0_4arch9wavefront6targetE0EEEvSO_.num_vgpr, 0
	.set _ZN7rocprim17ROCPRIM_400000_NS6detail17trampoline_kernelINS0_14default_configENS1_38merge_sort_block_merge_config_selectorIjN6thrust23THRUST_200600_302600_NS5tupleIffNS6_9null_typeES8_S8_S8_S8_S8_S8_S8_EEEEZZNS1_27merge_sort_block_merge_implIS3_NS6_6detail15normal_iteratorINS6_10device_ptrIjEEEENSD_INSE_IS9_EEEEjNS1_19radix_merge_compareILb0ELb1EjNS0_19identity_decomposerEEEEE10hipError_tT0_T1_T2_jT3_P12ihipStream_tbPNSt15iterator_traitsISN_E10value_typeEPNST_ISO_E10value_typeEPSP_NS1_7vsmem_tEENKUlT_SN_SO_SP_E_clIPjSG_PS9_SI_EESM_S12_SN_SO_SP_EUlS12_E_NS1_11comp_targetILNS1_3genE10ELNS1_11target_archE1201ELNS1_3gpuE5ELNS1_3repE0EEENS1_48merge_mergepath_partition_config_static_selectorELNS0_4arch9wavefront6targetE0EEEvSO_.num_agpr, 0
	.set _ZN7rocprim17ROCPRIM_400000_NS6detail17trampoline_kernelINS0_14default_configENS1_38merge_sort_block_merge_config_selectorIjN6thrust23THRUST_200600_302600_NS5tupleIffNS6_9null_typeES8_S8_S8_S8_S8_S8_S8_EEEEZZNS1_27merge_sort_block_merge_implIS3_NS6_6detail15normal_iteratorINS6_10device_ptrIjEEEENSD_INSE_IS9_EEEEjNS1_19radix_merge_compareILb0ELb1EjNS0_19identity_decomposerEEEEE10hipError_tT0_T1_T2_jT3_P12ihipStream_tbPNSt15iterator_traitsISN_E10value_typeEPNST_ISO_E10value_typeEPSP_NS1_7vsmem_tEENKUlT_SN_SO_SP_E_clIPjSG_PS9_SI_EESM_S12_SN_SO_SP_EUlS12_E_NS1_11comp_targetILNS1_3genE10ELNS1_11target_archE1201ELNS1_3gpuE5ELNS1_3repE0EEENS1_48merge_mergepath_partition_config_static_selectorELNS0_4arch9wavefront6targetE0EEEvSO_.numbered_sgpr, 0
	.set _ZN7rocprim17ROCPRIM_400000_NS6detail17trampoline_kernelINS0_14default_configENS1_38merge_sort_block_merge_config_selectorIjN6thrust23THRUST_200600_302600_NS5tupleIffNS6_9null_typeES8_S8_S8_S8_S8_S8_S8_EEEEZZNS1_27merge_sort_block_merge_implIS3_NS6_6detail15normal_iteratorINS6_10device_ptrIjEEEENSD_INSE_IS9_EEEEjNS1_19radix_merge_compareILb0ELb1EjNS0_19identity_decomposerEEEEE10hipError_tT0_T1_T2_jT3_P12ihipStream_tbPNSt15iterator_traitsISN_E10value_typeEPNST_ISO_E10value_typeEPSP_NS1_7vsmem_tEENKUlT_SN_SO_SP_E_clIPjSG_PS9_SI_EESM_S12_SN_SO_SP_EUlS12_E_NS1_11comp_targetILNS1_3genE10ELNS1_11target_archE1201ELNS1_3gpuE5ELNS1_3repE0EEENS1_48merge_mergepath_partition_config_static_selectorELNS0_4arch9wavefront6targetE0EEEvSO_.num_named_barrier, 0
	.set _ZN7rocprim17ROCPRIM_400000_NS6detail17trampoline_kernelINS0_14default_configENS1_38merge_sort_block_merge_config_selectorIjN6thrust23THRUST_200600_302600_NS5tupleIffNS6_9null_typeES8_S8_S8_S8_S8_S8_S8_EEEEZZNS1_27merge_sort_block_merge_implIS3_NS6_6detail15normal_iteratorINS6_10device_ptrIjEEEENSD_INSE_IS9_EEEEjNS1_19radix_merge_compareILb0ELb1EjNS0_19identity_decomposerEEEEE10hipError_tT0_T1_T2_jT3_P12ihipStream_tbPNSt15iterator_traitsISN_E10value_typeEPNST_ISO_E10value_typeEPSP_NS1_7vsmem_tEENKUlT_SN_SO_SP_E_clIPjSG_PS9_SI_EESM_S12_SN_SO_SP_EUlS12_E_NS1_11comp_targetILNS1_3genE10ELNS1_11target_archE1201ELNS1_3gpuE5ELNS1_3repE0EEENS1_48merge_mergepath_partition_config_static_selectorELNS0_4arch9wavefront6targetE0EEEvSO_.private_seg_size, 0
	.set _ZN7rocprim17ROCPRIM_400000_NS6detail17trampoline_kernelINS0_14default_configENS1_38merge_sort_block_merge_config_selectorIjN6thrust23THRUST_200600_302600_NS5tupleIffNS6_9null_typeES8_S8_S8_S8_S8_S8_S8_EEEEZZNS1_27merge_sort_block_merge_implIS3_NS6_6detail15normal_iteratorINS6_10device_ptrIjEEEENSD_INSE_IS9_EEEEjNS1_19radix_merge_compareILb0ELb1EjNS0_19identity_decomposerEEEEE10hipError_tT0_T1_T2_jT3_P12ihipStream_tbPNSt15iterator_traitsISN_E10value_typeEPNST_ISO_E10value_typeEPSP_NS1_7vsmem_tEENKUlT_SN_SO_SP_E_clIPjSG_PS9_SI_EESM_S12_SN_SO_SP_EUlS12_E_NS1_11comp_targetILNS1_3genE10ELNS1_11target_archE1201ELNS1_3gpuE5ELNS1_3repE0EEENS1_48merge_mergepath_partition_config_static_selectorELNS0_4arch9wavefront6targetE0EEEvSO_.uses_vcc, 0
	.set _ZN7rocprim17ROCPRIM_400000_NS6detail17trampoline_kernelINS0_14default_configENS1_38merge_sort_block_merge_config_selectorIjN6thrust23THRUST_200600_302600_NS5tupleIffNS6_9null_typeES8_S8_S8_S8_S8_S8_S8_EEEEZZNS1_27merge_sort_block_merge_implIS3_NS6_6detail15normal_iteratorINS6_10device_ptrIjEEEENSD_INSE_IS9_EEEEjNS1_19radix_merge_compareILb0ELb1EjNS0_19identity_decomposerEEEEE10hipError_tT0_T1_T2_jT3_P12ihipStream_tbPNSt15iterator_traitsISN_E10value_typeEPNST_ISO_E10value_typeEPSP_NS1_7vsmem_tEENKUlT_SN_SO_SP_E_clIPjSG_PS9_SI_EESM_S12_SN_SO_SP_EUlS12_E_NS1_11comp_targetILNS1_3genE10ELNS1_11target_archE1201ELNS1_3gpuE5ELNS1_3repE0EEENS1_48merge_mergepath_partition_config_static_selectorELNS0_4arch9wavefront6targetE0EEEvSO_.uses_flat_scratch, 0
	.set _ZN7rocprim17ROCPRIM_400000_NS6detail17trampoline_kernelINS0_14default_configENS1_38merge_sort_block_merge_config_selectorIjN6thrust23THRUST_200600_302600_NS5tupleIffNS6_9null_typeES8_S8_S8_S8_S8_S8_S8_EEEEZZNS1_27merge_sort_block_merge_implIS3_NS6_6detail15normal_iteratorINS6_10device_ptrIjEEEENSD_INSE_IS9_EEEEjNS1_19radix_merge_compareILb0ELb1EjNS0_19identity_decomposerEEEEE10hipError_tT0_T1_T2_jT3_P12ihipStream_tbPNSt15iterator_traitsISN_E10value_typeEPNST_ISO_E10value_typeEPSP_NS1_7vsmem_tEENKUlT_SN_SO_SP_E_clIPjSG_PS9_SI_EESM_S12_SN_SO_SP_EUlS12_E_NS1_11comp_targetILNS1_3genE10ELNS1_11target_archE1201ELNS1_3gpuE5ELNS1_3repE0EEENS1_48merge_mergepath_partition_config_static_selectorELNS0_4arch9wavefront6targetE0EEEvSO_.has_dyn_sized_stack, 0
	.set _ZN7rocprim17ROCPRIM_400000_NS6detail17trampoline_kernelINS0_14default_configENS1_38merge_sort_block_merge_config_selectorIjN6thrust23THRUST_200600_302600_NS5tupleIffNS6_9null_typeES8_S8_S8_S8_S8_S8_S8_EEEEZZNS1_27merge_sort_block_merge_implIS3_NS6_6detail15normal_iteratorINS6_10device_ptrIjEEEENSD_INSE_IS9_EEEEjNS1_19radix_merge_compareILb0ELb1EjNS0_19identity_decomposerEEEEE10hipError_tT0_T1_T2_jT3_P12ihipStream_tbPNSt15iterator_traitsISN_E10value_typeEPNST_ISO_E10value_typeEPSP_NS1_7vsmem_tEENKUlT_SN_SO_SP_E_clIPjSG_PS9_SI_EESM_S12_SN_SO_SP_EUlS12_E_NS1_11comp_targetILNS1_3genE10ELNS1_11target_archE1201ELNS1_3gpuE5ELNS1_3repE0EEENS1_48merge_mergepath_partition_config_static_selectorELNS0_4arch9wavefront6targetE0EEEvSO_.has_recursion, 0
	.set _ZN7rocprim17ROCPRIM_400000_NS6detail17trampoline_kernelINS0_14default_configENS1_38merge_sort_block_merge_config_selectorIjN6thrust23THRUST_200600_302600_NS5tupleIffNS6_9null_typeES8_S8_S8_S8_S8_S8_S8_EEEEZZNS1_27merge_sort_block_merge_implIS3_NS6_6detail15normal_iteratorINS6_10device_ptrIjEEEENSD_INSE_IS9_EEEEjNS1_19radix_merge_compareILb0ELb1EjNS0_19identity_decomposerEEEEE10hipError_tT0_T1_T2_jT3_P12ihipStream_tbPNSt15iterator_traitsISN_E10value_typeEPNST_ISO_E10value_typeEPSP_NS1_7vsmem_tEENKUlT_SN_SO_SP_E_clIPjSG_PS9_SI_EESM_S12_SN_SO_SP_EUlS12_E_NS1_11comp_targetILNS1_3genE10ELNS1_11target_archE1201ELNS1_3gpuE5ELNS1_3repE0EEENS1_48merge_mergepath_partition_config_static_selectorELNS0_4arch9wavefront6targetE0EEEvSO_.has_indirect_call, 0
	.section	.AMDGPU.csdata,"",@progbits
; Kernel info:
; codeLenInByte = 0
; TotalNumSgprs: 0
; NumVgprs: 0
; ScratchSize: 0
; MemoryBound: 0
; FloatMode: 240
; IeeeMode: 1
; LDSByteSize: 0 bytes/workgroup (compile time only)
; SGPRBlocks: 0
; VGPRBlocks: 0
; NumSGPRsForWavesPerEU: 1
; NumVGPRsForWavesPerEU: 1
; Occupancy: 16
; WaveLimiterHint : 0
; COMPUTE_PGM_RSRC2:SCRATCH_EN: 0
; COMPUTE_PGM_RSRC2:USER_SGPR: 6
; COMPUTE_PGM_RSRC2:TRAP_HANDLER: 0
; COMPUTE_PGM_RSRC2:TGID_X_EN: 1
; COMPUTE_PGM_RSRC2:TGID_Y_EN: 0
; COMPUTE_PGM_RSRC2:TGID_Z_EN: 0
; COMPUTE_PGM_RSRC2:TIDIG_COMP_CNT: 0
	.section	.text._ZN7rocprim17ROCPRIM_400000_NS6detail17trampoline_kernelINS0_14default_configENS1_38merge_sort_block_merge_config_selectorIjN6thrust23THRUST_200600_302600_NS5tupleIffNS6_9null_typeES8_S8_S8_S8_S8_S8_S8_EEEEZZNS1_27merge_sort_block_merge_implIS3_NS6_6detail15normal_iteratorINS6_10device_ptrIjEEEENSD_INSE_IS9_EEEEjNS1_19radix_merge_compareILb0ELb1EjNS0_19identity_decomposerEEEEE10hipError_tT0_T1_T2_jT3_P12ihipStream_tbPNSt15iterator_traitsISN_E10value_typeEPNST_ISO_E10value_typeEPSP_NS1_7vsmem_tEENKUlT_SN_SO_SP_E_clIPjSG_PS9_SI_EESM_S12_SN_SO_SP_EUlS12_E_NS1_11comp_targetILNS1_3genE5ELNS1_11target_archE942ELNS1_3gpuE9ELNS1_3repE0EEENS1_48merge_mergepath_partition_config_static_selectorELNS0_4arch9wavefront6targetE0EEEvSO_,"axG",@progbits,_ZN7rocprim17ROCPRIM_400000_NS6detail17trampoline_kernelINS0_14default_configENS1_38merge_sort_block_merge_config_selectorIjN6thrust23THRUST_200600_302600_NS5tupleIffNS6_9null_typeES8_S8_S8_S8_S8_S8_S8_EEEEZZNS1_27merge_sort_block_merge_implIS3_NS6_6detail15normal_iteratorINS6_10device_ptrIjEEEENSD_INSE_IS9_EEEEjNS1_19radix_merge_compareILb0ELb1EjNS0_19identity_decomposerEEEEE10hipError_tT0_T1_T2_jT3_P12ihipStream_tbPNSt15iterator_traitsISN_E10value_typeEPNST_ISO_E10value_typeEPSP_NS1_7vsmem_tEENKUlT_SN_SO_SP_E_clIPjSG_PS9_SI_EESM_S12_SN_SO_SP_EUlS12_E_NS1_11comp_targetILNS1_3genE5ELNS1_11target_archE942ELNS1_3gpuE9ELNS1_3repE0EEENS1_48merge_mergepath_partition_config_static_selectorELNS0_4arch9wavefront6targetE0EEEvSO_,comdat
	.protected	_ZN7rocprim17ROCPRIM_400000_NS6detail17trampoline_kernelINS0_14default_configENS1_38merge_sort_block_merge_config_selectorIjN6thrust23THRUST_200600_302600_NS5tupleIffNS6_9null_typeES8_S8_S8_S8_S8_S8_S8_EEEEZZNS1_27merge_sort_block_merge_implIS3_NS6_6detail15normal_iteratorINS6_10device_ptrIjEEEENSD_INSE_IS9_EEEEjNS1_19radix_merge_compareILb0ELb1EjNS0_19identity_decomposerEEEEE10hipError_tT0_T1_T2_jT3_P12ihipStream_tbPNSt15iterator_traitsISN_E10value_typeEPNST_ISO_E10value_typeEPSP_NS1_7vsmem_tEENKUlT_SN_SO_SP_E_clIPjSG_PS9_SI_EESM_S12_SN_SO_SP_EUlS12_E_NS1_11comp_targetILNS1_3genE5ELNS1_11target_archE942ELNS1_3gpuE9ELNS1_3repE0EEENS1_48merge_mergepath_partition_config_static_selectorELNS0_4arch9wavefront6targetE0EEEvSO_ ; -- Begin function _ZN7rocprim17ROCPRIM_400000_NS6detail17trampoline_kernelINS0_14default_configENS1_38merge_sort_block_merge_config_selectorIjN6thrust23THRUST_200600_302600_NS5tupleIffNS6_9null_typeES8_S8_S8_S8_S8_S8_S8_EEEEZZNS1_27merge_sort_block_merge_implIS3_NS6_6detail15normal_iteratorINS6_10device_ptrIjEEEENSD_INSE_IS9_EEEEjNS1_19radix_merge_compareILb0ELb1EjNS0_19identity_decomposerEEEEE10hipError_tT0_T1_T2_jT3_P12ihipStream_tbPNSt15iterator_traitsISN_E10value_typeEPNST_ISO_E10value_typeEPSP_NS1_7vsmem_tEENKUlT_SN_SO_SP_E_clIPjSG_PS9_SI_EESM_S12_SN_SO_SP_EUlS12_E_NS1_11comp_targetILNS1_3genE5ELNS1_11target_archE942ELNS1_3gpuE9ELNS1_3repE0EEENS1_48merge_mergepath_partition_config_static_selectorELNS0_4arch9wavefront6targetE0EEEvSO_
	.globl	_ZN7rocprim17ROCPRIM_400000_NS6detail17trampoline_kernelINS0_14default_configENS1_38merge_sort_block_merge_config_selectorIjN6thrust23THRUST_200600_302600_NS5tupleIffNS6_9null_typeES8_S8_S8_S8_S8_S8_S8_EEEEZZNS1_27merge_sort_block_merge_implIS3_NS6_6detail15normal_iteratorINS6_10device_ptrIjEEEENSD_INSE_IS9_EEEEjNS1_19radix_merge_compareILb0ELb1EjNS0_19identity_decomposerEEEEE10hipError_tT0_T1_T2_jT3_P12ihipStream_tbPNSt15iterator_traitsISN_E10value_typeEPNST_ISO_E10value_typeEPSP_NS1_7vsmem_tEENKUlT_SN_SO_SP_E_clIPjSG_PS9_SI_EESM_S12_SN_SO_SP_EUlS12_E_NS1_11comp_targetILNS1_3genE5ELNS1_11target_archE942ELNS1_3gpuE9ELNS1_3repE0EEENS1_48merge_mergepath_partition_config_static_selectorELNS0_4arch9wavefront6targetE0EEEvSO_
	.p2align	8
	.type	_ZN7rocprim17ROCPRIM_400000_NS6detail17trampoline_kernelINS0_14default_configENS1_38merge_sort_block_merge_config_selectorIjN6thrust23THRUST_200600_302600_NS5tupleIffNS6_9null_typeES8_S8_S8_S8_S8_S8_S8_EEEEZZNS1_27merge_sort_block_merge_implIS3_NS6_6detail15normal_iteratorINS6_10device_ptrIjEEEENSD_INSE_IS9_EEEEjNS1_19radix_merge_compareILb0ELb1EjNS0_19identity_decomposerEEEEE10hipError_tT0_T1_T2_jT3_P12ihipStream_tbPNSt15iterator_traitsISN_E10value_typeEPNST_ISO_E10value_typeEPSP_NS1_7vsmem_tEENKUlT_SN_SO_SP_E_clIPjSG_PS9_SI_EESM_S12_SN_SO_SP_EUlS12_E_NS1_11comp_targetILNS1_3genE5ELNS1_11target_archE942ELNS1_3gpuE9ELNS1_3repE0EEENS1_48merge_mergepath_partition_config_static_selectorELNS0_4arch9wavefront6targetE0EEEvSO_,@function
_ZN7rocprim17ROCPRIM_400000_NS6detail17trampoline_kernelINS0_14default_configENS1_38merge_sort_block_merge_config_selectorIjN6thrust23THRUST_200600_302600_NS5tupleIffNS6_9null_typeES8_S8_S8_S8_S8_S8_S8_EEEEZZNS1_27merge_sort_block_merge_implIS3_NS6_6detail15normal_iteratorINS6_10device_ptrIjEEEENSD_INSE_IS9_EEEEjNS1_19radix_merge_compareILb0ELb1EjNS0_19identity_decomposerEEEEE10hipError_tT0_T1_T2_jT3_P12ihipStream_tbPNSt15iterator_traitsISN_E10value_typeEPNST_ISO_E10value_typeEPSP_NS1_7vsmem_tEENKUlT_SN_SO_SP_E_clIPjSG_PS9_SI_EESM_S12_SN_SO_SP_EUlS12_E_NS1_11comp_targetILNS1_3genE5ELNS1_11target_archE942ELNS1_3gpuE9ELNS1_3repE0EEENS1_48merge_mergepath_partition_config_static_selectorELNS0_4arch9wavefront6targetE0EEEvSO_: ; @_ZN7rocprim17ROCPRIM_400000_NS6detail17trampoline_kernelINS0_14default_configENS1_38merge_sort_block_merge_config_selectorIjN6thrust23THRUST_200600_302600_NS5tupleIffNS6_9null_typeES8_S8_S8_S8_S8_S8_S8_EEEEZZNS1_27merge_sort_block_merge_implIS3_NS6_6detail15normal_iteratorINS6_10device_ptrIjEEEENSD_INSE_IS9_EEEEjNS1_19radix_merge_compareILb0ELb1EjNS0_19identity_decomposerEEEEE10hipError_tT0_T1_T2_jT3_P12ihipStream_tbPNSt15iterator_traitsISN_E10value_typeEPNST_ISO_E10value_typeEPSP_NS1_7vsmem_tEENKUlT_SN_SO_SP_E_clIPjSG_PS9_SI_EESM_S12_SN_SO_SP_EUlS12_E_NS1_11comp_targetILNS1_3genE5ELNS1_11target_archE942ELNS1_3gpuE9ELNS1_3repE0EEENS1_48merge_mergepath_partition_config_static_selectorELNS0_4arch9wavefront6targetE0EEEvSO_
; %bb.0:
	.section	.rodata,"a",@progbits
	.p2align	6, 0x0
	.amdhsa_kernel _ZN7rocprim17ROCPRIM_400000_NS6detail17trampoline_kernelINS0_14default_configENS1_38merge_sort_block_merge_config_selectorIjN6thrust23THRUST_200600_302600_NS5tupleIffNS6_9null_typeES8_S8_S8_S8_S8_S8_S8_EEEEZZNS1_27merge_sort_block_merge_implIS3_NS6_6detail15normal_iteratorINS6_10device_ptrIjEEEENSD_INSE_IS9_EEEEjNS1_19radix_merge_compareILb0ELb1EjNS0_19identity_decomposerEEEEE10hipError_tT0_T1_T2_jT3_P12ihipStream_tbPNSt15iterator_traitsISN_E10value_typeEPNST_ISO_E10value_typeEPSP_NS1_7vsmem_tEENKUlT_SN_SO_SP_E_clIPjSG_PS9_SI_EESM_S12_SN_SO_SP_EUlS12_E_NS1_11comp_targetILNS1_3genE5ELNS1_11target_archE942ELNS1_3gpuE9ELNS1_3repE0EEENS1_48merge_mergepath_partition_config_static_selectorELNS0_4arch9wavefront6targetE0EEEvSO_
		.amdhsa_group_segment_fixed_size 0
		.amdhsa_private_segment_fixed_size 0
		.amdhsa_kernarg_size 40
		.amdhsa_user_sgpr_count 6
		.amdhsa_user_sgpr_private_segment_buffer 1
		.amdhsa_user_sgpr_dispatch_ptr 0
		.amdhsa_user_sgpr_queue_ptr 0
		.amdhsa_user_sgpr_kernarg_segment_ptr 1
		.amdhsa_user_sgpr_dispatch_id 0
		.amdhsa_user_sgpr_flat_scratch_init 0
		.amdhsa_user_sgpr_private_segment_size 0
		.amdhsa_wavefront_size32 1
		.amdhsa_uses_dynamic_stack 0
		.amdhsa_system_sgpr_private_segment_wavefront_offset 0
		.amdhsa_system_sgpr_workgroup_id_x 1
		.amdhsa_system_sgpr_workgroup_id_y 0
		.amdhsa_system_sgpr_workgroup_id_z 0
		.amdhsa_system_sgpr_workgroup_info 0
		.amdhsa_system_vgpr_workitem_id 0
		.amdhsa_next_free_vgpr 1
		.amdhsa_next_free_sgpr 1
		.amdhsa_reserve_vcc 0
		.amdhsa_reserve_flat_scratch 0
		.amdhsa_float_round_mode_32 0
		.amdhsa_float_round_mode_16_64 0
		.amdhsa_float_denorm_mode_32 3
		.amdhsa_float_denorm_mode_16_64 3
		.amdhsa_dx10_clamp 1
		.amdhsa_ieee_mode 1
		.amdhsa_fp16_overflow 0
		.amdhsa_workgroup_processor_mode 1
		.amdhsa_memory_ordered 1
		.amdhsa_forward_progress 1
		.amdhsa_shared_vgpr_count 0
		.amdhsa_exception_fp_ieee_invalid_op 0
		.amdhsa_exception_fp_denorm_src 0
		.amdhsa_exception_fp_ieee_div_zero 0
		.amdhsa_exception_fp_ieee_overflow 0
		.amdhsa_exception_fp_ieee_underflow 0
		.amdhsa_exception_fp_ieee_inexact 0
		.amdhsa_exception_int_div_zero 0
	.end_amdhsa_kernel
	.section	.text._ZN7rocprim17ROCPRIM_400000_NS6detail17trampoline_kernelINS0_14default_configENS1_38merge_sort_block_merge_config_selectorIjN6thrust23THRUST_200600_302600_NS5tupleIffNS6_9null_typeES8_S8_S8_S8_S8_S8_S8_EEEEZZNS1_27merge_sort_block_merge_implIS3_NS6_6detail15normal_iteratorINS6_10device_ptrIjEEEENSD_INSE_IS9_EEEEjNS1_19radix_merge_compareILb0ELb1EjNS0_19identity_decomposerEEEEE10hipError_tT0_T1_T2_jT3_P12ihipStream_tbPNSt15iterator_traitsISN_E10value_typeEPNST_ISO_E10value_typeEPSP_NS1_7vsmem_tEENKUlT_SN_SO_SP_E_clIPjSG_PS9_SI_EESM_S12_SN_SO_SP_EUlS12_E_NS1_11comp_targetILNS1_3genE5ELNS1_11target_archE942ELNS1_3gpuE9ELNS1_3repE0EEENS1_48merge_mergepath_partition_config_static_selectorELNS0_4arch9wavefront6targetE0EEEvSO_,"axG",@progbits,_ZN7rocprim17ROCPRIM_400000_NS6detail17trampoline_kernelINS0_14default_configENS1_38merge_sort_block_merge_config_selectorIjN6thrust23THRUST_200600_302600_NS5tupleIffNS6_9null_typeES8_S8_S8_S8_S8_S8_S8_EEEEZZNS1_27merge_sort_block_merge_implIS3_NS6_6detail15normal_iteratorINS6_10device_ptrIjEEEENSD_INSE_IS9_EEEEjNS1_19radix_merge_compareILb0ELb1EjNS0_19identity_decomposerEEEEE10hipError_tT0_T1_T2_jT3_P12ihipStream_tbPNSt15iterator_traitsISN_E10value_typeEPNST_ISO_E10value_typeEPSP_NS1_7vsmem_tEENKUlT_SN_SO_SP_E_clIPjSG_PS9_SI_EESM_S12_SN_SO_SP_EUlS12_E_NS1_11comp_targetILNS1_3genE5ELNS1_11target_archE942ELNS1_3gpuE9ELNS1_3repE0EEENS1_48merge_mergepath_partition_config_static_selectorELNS0_4arch9wavefront6targetE0EEEvSO_,comdat
.Lfunc_end93:
	.size	_ZN7rocprim17ROCPRIM_400000_NS6detail17trampoline_kernelINS0_14default_configENS1_38merge_sort_block_merge_config_selectorIjN6thrust23THRUST_200600_302600_NS5tupleIffNS6_9null_typeES8_S8_S8_S8_S8_S8_S8_EEEEZZNS1_27merge_sort_block_merge_implIS3_NS6_6detail15normal_iteratorINS6_10device_ptrIjEEEENSD_INSE_IS9_EEEEjNS1_19radix_merge_compareILb0ELb1EjNS0_19identity_decomposerEEEEE10hipError_tT0_T1_T2_jT3_P12ihipStream_tbPNSt15iterator_traitsISN_E10value_typeEPNST_ISO_E10value_typeEPSP_NS1_7vsmem_tEENKUlT_SN_SO_SP_E_clIPjSG_PS9_SI_EESM_S12_SN_SO_SP_EUlS12_E_NS1_11comp_targetILNS1_3genE5ELNS1_11target_archE942ELNS1_3gpuE9ELNS1_3repE0EEENS1_48merge_mergepath_partition_config_static_selectorELNS0_4arch9wavefront6targetE0EEEvSO_, .Lfunc_end93-_ZN7rocprim17ROCPRIM_400000_NS6detail17trampoline_kernelINS0_14default_configENS1_38merge_sort_block_merge_config_selectorIjN6thrust23THRUST_200600_302600_NS5tupleIffNS6_9null_typeES8_S8_S8_S8_S8_S8_S8_EEEEZZNS1_27merge_sort_block_merge_implIS3_NS6_6detail15normal_iteratorINS6_10device_ptrIjEEEENSD_INSE_IS9_EEEEjNS1_19radix_merge_compareILb0ELb1EjNS0_19identity_decomposerEEEEE10hipError_tT0_T1_T2_jT3_P12ihipStream_tbPNSt15iterator_traitsISN_E10value_typeEPNST_ISO_E10value_typeEPSP_NS1_7vsmem_tEENKUlT_SN_SO_SP_E_clIPjSG_PS9_SI_EESM_S12_SN_SO_SP_EUlS12_E_NS1_11comp_targetILNS1_3genE5ELNS1_11target_archE942ELNS1_3gpuE9ELNS1_3repE0EEENS1_48merge_mergepath_partition_config_static_selectorELNS0_4arch9wavefront6targetE0EEEvSO_
                                        ; -- End function
	.set _ZN7rocprim17ROCPRIM_400000_NS6detail17trampoline_kernelINS0_14default_configENS1_38merge_sort_block_merge_config_selectorIjN6thrust23THRUST_200600_302600_NS5tupleIffNS6_9null_typeES8_S8_S8_S8_S8_S8_S8_EEEEZZNS1_27merge_sort_block_merge_implIS3_NS6_6detail15normal_iteratorINS6_10device_ptrIjEEEENSD_INSE_IS9_EEEEjNS1_19radix_merge_compareILb0ELb1EjNS0_19identity_decomposerEEEEE10hipError_tT0_T1_T2_jT3_P12ihipStream_tbPNSt15iterator_traitsISN_E10value_typeEPNST_ISO_E10value_typeEPSP_NS1_7vsmem_tEENKUlT_SN_SO_SP_E_clIPjSG_PS9_SI_EESM_S12_SN_SO_SP_EUlS12_E_NS1_11comp_targetILNS1_3genE5ELNS1_11target_archE942ELNS1_3gpuE9ELNS1_3repE0EEENS1_48merge_mergepath_partition_config_static_selectorELNS0_4arch9wavefront6targetE0EEEvSO_.num_vgpr, 0
	.set _ZN7rocprim17ROCPRIM_400000_NS6detail17trampoline_kernelINS0_14default_configENS1_38merge_sort_block_merge_config_selectorIjN6thrust23THRUST_200600_302600_NS5tupleIffNS6_9null_typeES8_S8_S8_S8_S8_S8_S8_EEEEZZNS1_27merge_sort_block_merge_implIS3_NS6_6detail15normal_iteratorINS6_10device_ptrIjEEEENSD_INSE_IS9_EEEEjNS1_19radix_merge_compareILb0ELb1EjNS0_19identity_decomposerEEEEE10hipError_tT0_T1_T2_jT3_P12ihipStream_tbPNSt15iterator_traitsISN_E10value_typeEPNST_ISO_E10value_typeEPSP_NS1_7vsmem_tEENKUlT_SN_SO_SP_E_clIPjSG_PS9_SI_EESM_S12_SN_SO_SP_EUlS12_E_NS1_11comp_targetILNS1_3genE5ELNS1_11target_archE942ELNS1_3gpuE9ELNS1_3repE0EEENS1_48merge_mergepath_partition_config_static_selectorELNS0_4arch9wavefront6targetE0EEEvSO_.num_agpr, 0
	.set _ZN7rocprim17ROCPRIM_400000_NS6detail17trampoline_kernelINS0_14default_configENS1_38merge_sort_block_merge_config_selectorIjN6thrust23THRUST_200600_302600_NS5tupleIffNS6_9null_typeES8_S8_S8_S8_S8_S8_S8_EEEEZZNS1_27merge_sort_block_merge_implIS3_NS6_6detail15normal_iteratorINS6_10device_ptrIjEEEENSD_INSE_IS9_EEEEjNS1_19radix_merge_compareILb0ELb1EjNS0_19identity_decomposerEEEEE10hipError_tT0_T1_T2_jT3_P12ihipStream_tbPNSt15iterator_traitsISN_E10value_typeEPNST_ISO_E10value_typeEPSP_NS1_7vsmem_tEENKUlT_SN_SO_SP_E_clIPjSG_PS9_SI_EESM_S12_SN_SO_SP_EUlS12_E_NS1_11comp_targetILNS1_3genE5ELNS1_11target_archE942ELNS1_3gpuE9ELNS1_3repE0EEENS1_48merge_mergepath_partition_config_static_selectorELNS0_4arch9wavefront6targetE0EEEvSO_.numbered_sgpr, 0
	.set _ZN7rocprim17ROCPRIM_400000_NS6detail17trampoline_kernelINS0_14default_configENS1_38merge_sort_block_merge_config_selectorIjN6thrust23THRUST_200600_302600_NS5tupleIffNS6_9null_typeES8_S8_S8_S8_S8_S8_S8_EEEEZZNS1_27merge_sort_block_merge_implIS3_NS6_6detail15normal_iteratorINS6_10device_ptrIjEEEENSD_INSE_IS9_EEEEjNS1_19radix_merge_compareILb0ELb1EjNS0_19identity_decomposerEEEEE10hipError_tT0_T1_T2_jT3_P12ihipStream_tbPNSt15iterator_traitsISN_E10value_typeEPNST_ISO_E10value_typeEPSP_NS1_7vsmem_tEENKUlT_SN_SO_SP_E_clIPjSG_PS9_SI_EESM_S12_SN_SO_SP_EUlS12_E_NS1_11comp_targetILNS1_3genE5ELNS1_11target_archE942ELNS1_3gpuE9ELNS1_3repE0EEENS1_48merge_mergepath_partition_config_static_selectorELNS0_4arch9wavefront6targetE0EEEvSO_.num_named_barrier, 0
	.set _ZN7rocprim17ROCPRIM_400000_NS6detail17trampoline_kernelINS0_14default_configENS1_38merge_sort_block_merge_config_selectorIjN6thrust23THRUST_200600_302600_NS5tupleIffNS6_9null_typeES8_S8_S8_S8_S8_S8_S8_EEEEZZNS1_27merge_sort_block_merge_implIS3_NS6_6detail15normal_iteratorINS6_10device_ptrIjEEEENSD_INSE_IS9_EEEEjNS1_19radix_merge_compareILb0ELb1EjNS0_19identity_decomposerEEEEE10hipError_tT0_T1_T2_jT3_P12ihipStream_tbPNSt15iterator_traitsISN_E10value_typeEPNST_ISO_E10value_typeEPSP_NS1_7vsmem_tEENKUlT_SN_SO_SP_E_clIPjSG_PS9_SI_EESM_S12_SN_SO_SP_EUlS12_E_NS1_11comp_targetILNS1_3genE5ELNS1_11target_archE942ELNS1_3gpuE9ELNS1_3repE0EEENS1_48merge_mergepath_partition_config_static_selectorELNS0_4arch9wavefront6targetE0EEEvSO_.private_seg_size, 0
	.set _ZN7rocprim17ROCPRIM_400000_NS6detail17trampoline_kernelINS0_14default_configENS1_38merge_sort_block_merge_config_selectorIjN6thrust23THRUST_200600_302600_NS5tupleIffNS6_9null_typeES8_S8_S8_S8_S8_S8_S8_EEEEZZNS1_27merge_sort_block_merge_implIS3_NS6_6detail15normal_iteratorINS6_10device_ptrIjEEEENSD_INSE_IS9_EEEEjNS1_19radix_merge_compareILb0ELb1EjNS0_19identity_decomposerEEEEE10hipError_tT0_T1_T2_jT3_P12ihipStream_tbPNSt15iterator_traitsISN_E10value_typeEPNST_ISO_E10value_typeEPSP_NS1_7vsmem_tEENKUlT_SN_SO_SP_E_clIPjSG_PS9_SI_EESM_S12_SN_SO_SP_EUlS12_E_NS1_11comp_targetILNS1_3genE5ELNS1_11target_archE942ELNS1_3gpuE9ELNS1_3repE0EEENS1_48merge_mergepath_partition_config_static_selectorELNS0_4arch9wavefront6targetE0EEEvSO_.uses_vcc, 0
	.set _ZN7rocprim17ROCPRIM_400000_NS6detail17trampoline_kernelINS0_14default_configENS1_38merge_sort_block_merge_config_selectorIjN6thrust23THRUST_200600_302600_NS5tupleIffNS6_9null_typeES8_S8_S8_S8_S8_S8_S8_EEEEZZNS1_27merge_sort_block_merge_implIS3_NS6_6detail15normal_iteratorINS6_10device_ptrIjEEEENSD_INSE_IS9_EEEEjNS1_19radix_merge_compareILb0ELb1EjNS0_19identity_decomposerEEEEE10hipError_tT0_T1_T2_jT3_P12ihipStream_tbPNSt15iterator_traitsISN_E10value_typeEPNST_ISO_E10value_typeEPSP_NS1_7vsmem_tEENKUlT_SN_SO_SP_E_clIPjSG_PS9_SI_EESM_S12_SN_SO_SP_EUlS12_E_NS1_11comp_targetILNS1_3genE5ELNS1_11target_archE942ELNS1_3gpuE9ELNS1_3repE0EEENS1_48merge_mergepath_partition_config_static_selectorELNS0_4arch9wavefront6targetE0EEEvSO_.uses_flat_scratch, 0
	.set _ZN7rocprim17ROCPRIM_400000_NS6detail17trampoline_kernelINS0_14default_configENS1_38merge_sort_block_merge_config_selectorIjN6thrust23THRUST_200600_302600_NS5tupleIffNS6_9null_typeES8_S8_S8_S8_S8_S8_S8_EEEEZZNS1_27merge_sort_block_merge_implIS3_NS6_6detail15normal_iteratorINS6_10device_ptrIjEEEENSD_INSE_IS9_EEEEjNS1_19radix_merge_compareILb0ELb1EjNS0_19identity_decomposerEEEEE10hipError_tT0_T1_T2_jT3_P12ihipStream_tbPNSt15iterator_traitsISN_E10value_typeEPNST_ISO_E10value_typeEPSP_NS1_7vsmem_tEENKUlT_SN_SO_SP_E_clIPjSG_PS9_SI_EESM_S12_SN_SO_SP_EUlS12_E_NS1_11comp_targetILNS1_3genE5ELNS1_11target_archE942ELNS1_3gpuE9ELNS1_3repE0EEENS1_48merge_mergepath_partition_config_static_selectorELNS0_4arch9wavefront6targetE0EEEvSO_.has_dyn_sized_stack, 0
	.set _ZN7rocprim17ROCPRIM_400000_NS6detail17trampoline_kernelINS0_14default_configENS1_38merge_sort_block_merge_config_selectorIjN6thrust23THRUST_200600_302600_NS5tupleIffNS6_9null_typeES8_S8_S8_S8_S8_S8_S8_EEEEZZNS1_27merge_sort_block_merge_implIS3_NS6_6detail15normal_iteratorINS6_10device_ptrIjEEEENSD_INSE_IS9_EEEEjNS1_19radix_merge_compareILb0ELb1EjNS0_19identity_decomposerEEEEE10hipError_tT0_T1_T2_jT3_P12ihipStream_tbPNSt15iterator_traitsISN_E10value_typeEPNST_ISO_E10value_typeEPSP_NS1_7vsmem_tEENKUlT_SN_SO_SP_E_clIPjSG_PS9_SI_EESM_S12_SN_SO_SP_EUlS12_E_NS1_11comp_targetILNS1_3genE5ELNS1_11target_archE942ELNS1_3gpuE9ELNS1_3repE0EEENS1_48merge_mergepath_partition_config_static_selectorELNS0_4arch9wavefront6targetE0EEEvSO_.has_recursion, 0
	.set _ZN7rocprim17ROCPRIM_400000_NS6detail17trampoline_kernelINS0_14default_configENS1_38merge_sort_block_merge_config_selectorIjN6thrust23THRUST_200600_302600_NS5tupleIffNS6_9null_typeES8_S8_S8_S8_S8_S8_S8_EEEEZZNS1_27merge_sort_block_merge_implIS3_NS6_6detail15normal_iteratorINS6_10device_ptrIjEEEENSD_INSE_IS9_EEEEjNS1_19radix_merge_compareILb0ELb1EjNS0_19identity_decomposerEEEEE10hipError_tT0_T1_T2_jT3_P12ihipStream_tbPNSt15iterator_traitsISN_E10value_typeEPNST_ISO_E10value_typeEPSP_NS1_7vsmem_tEENKUlT_SN_SO_SP_E_clIPjSG_PS9_SI_EESM_S12_SN_SO_SP_EUlS12_E_NS1_11comp_targetILNS1_3genE5ELNS1_11target_archE942ELNS1_3gpuE9ELNS1_3repE0EEENS1_48merge_mergepath_partition_config_static_selectorELNS0_4arch9wavefront6targetE0EEEvSO_.has_indirect_call, 0
	.section	.AMDGPU.csdata,"",@progbits
; Kernel info:
; codeLenInByte = 0
; TotalNumSgprs: 0
; NumVgprs: 0
; ScratchSize: 0
; MemoryBound: 0
; FloatMode: 240
; IeeeMode: 1
; LDSByteSize: 0 bytes/workgroup (compile time only)
; SGPRBlocks: 0
; VGPRBlocks: 0
; NumSGPRsForWavesPerEU: 1
; NumVGPRsForWavesPerEU: 1
; Occupancy: 16
; WaveLimiterHint : 0
; COMPUTE_PGM_RSRC2:SCRATCH_EN: 0
; COMPUTE_PGM_RSRC2:USER_SGPR: 6
; COMPUTE_PGM_RSRC2:TRAP_HANDLER: 0
; COMPUTE_PGM_RSRC2:TGID_X_EN: 1
; COMPUTE_PGM_RSRC2:TGID_Y_EN: 0
; COMPUTE_PGM_RSRC2:TGID_Z_EN: 0
; COMPUTE_PGM_RSRC2:TIDIG_COMP_CNT: 0
	.section	.text._ZN7rocprim17ROCPRIM_400000_NS6detail17trampoline_kernelINS0_14default_configENS1_38merge_sort_block_merge_config_selectorIjN6thrust23THRUST_200600_302600_NS5tupleIffNS6_9null_typeES8_S8_S8_S8_S8_S8_S8_EEEEZZNS1_27merge_sort_block_merge_implIS3_NS6_6detail15normal_iteratorINS6_10device_ptrIjEEEENSD_INSE_IS9_EEEEjNS1_19radix_merge_compareILb0ELb1EjNS0_19identity_decomposerEEEEE10hipError_tT0_T1_T2_jT3_P12ihipStream_tbPNSt15iterator_traitsISN_E10value_typeEPNST_ISO_E10value_typeEPSP_NS1_7vsmem_tEENKUlT_SN_SO_SP_E_clIPjSG_PS9_SI_EESM_S12_SN_SO_SP_EUlS12_E_NS1_11comp_targetILNS1_3genE4ELNS1_11target_archE910ELNS1_3gpuE8ELNS1_3repE0EEENS1_48merge_mergepath_partition_config_static_selectorELNS0_4arch9wavefront6targetE0EEEvSO_,"axG",@progbits,_ZN7rocprim17ROCPRIM_400000_NS6detail17trampoline_kernelINS0_14default_configENS1_38merge_sort_block_merge_config_selectorIjN6thrust23THRUST_200600_302600_NS5tupleIffNS6_9null_typeES8_S8_S8_S8_S8_S8_S8_EEEEZZNS1_27merge_sort_block_merge_implIS3_NS6_6detail15normal_iteratorINS6_10device_ptrIjEEEENSD_INSE_IS9_EEEEjNS1_19radix_merge_compareILb0ELb1EjNS0_19identity_decomposerEEEEE10hipError_tT0_T1_T2_jT3_P12ihipStream_tbPNSt15iterator_traitsISN_E10value_typeEPNST_ISO_E10value_typeEPSP_NS1_7vsmem_tEENKUlT_SN_SO_SP_E_clIPjSG_PS9_SI_EESM_S12_SN_SO_SP_EUlS12_E_NS1_11comp_targetILNS1_3genE4ELNS1_11target_archE910ELNS1_3gpuE8ELNS1_3repE0EEENS1_48merge_mergepath_partition_config_static_selectorELNS0_4arch9wavefront6targetE0EEEvSO_,comdat
	.protected	_ZN7rocprim17ROCPRIM_400000_NS6detail17trampoline_kernelINS0_14default_configENS1_38merge_sort_block_merge_config_selectorIjN6thrust23THRUST_200600_302600_NS5tupleIffNS6_9null_typeES8_S8_S8_S8_S8_S8_S8_EEEEZZNS1_27merge_sort_block_merge_implIS3_NS6_6detail15normal_iteratorINS6_10device_ptrIjEEEENSD_INSE_IS9_EEEEjNS1_19radix_merge_compareILb0ELb1EjNS0_19identity_decomposerEEEEE10hipError_tT0_T1_T2_jT3_P12ihipStream_tbPNSt15iterator_traitsISN_E10value_typeEPNST_ISO_E10value_typeEPSP_NS1_7vsmem_tEENKUlT_SN_SO_SP_E_clIPjSG_PS9_SI_EESM_S12_SN_SO_SP_EUlS12_E_NS1_11comp_targetILNS1_3genE4ELNS1_11target_archE910ELNS1_3gpuE8ELNS1_3repE0EEENS1_48merge_mergepath_partition_config_static_selectorELNS0_4arch9wavefront6targetE0EEEvSO_ ; -- Begin function _ZN7rocprim17ROCPRIM_400000_NS6detail17trampoline_kernelINS0_14default_configENS1_38merge_sort_block_merge_config_selectorIjN6thrust23THRUST_200600_302600_NS5tupleIffNS6_9null_typeES8_S8_S8_S8_S8_S8_S8_EEEEZZNS1_27merge_sort_block_merge_implIS3_NS6_6detail15normal_iteratorINS6_10device_ptrIjEEEENSD_INSE_IS9_EEEEjNS1_19radix_merge_compareILb0ELb1EjNS0_19identity_decomposerEEEEE10hipError_tT0_T1_T2_jT3_P12ihipStream_tbPNSt15iterator_traitsISN_E10value_typeEPNST_ISO_E10value_typeEPSP_NS1_7vsmem_tEENKUlT_SN_SO_SP_E_clIPjSG_PS9_SI_EESM_S12_SN_SO_SP_EUlS12_E_NS1_11comp_targetILNS1_3genE4ELNS1_11target_archE910ELNS1_3gpuE8ELNS1_3repE0EEENS1_48merge_mergepath_partition_config_static_selectorELNS0_4arch9wavefront6targetE0EEEvSO_
	.globl	_ZN7rocprim17ROCPRIM_400000_NS6detail17trampoline_kernelINS0_14default_configENS1_38merge_sort_block_merge_config_selectorIjN6thrust23THRUST_200600_302600_NS5tupleIffNS6_9null_typeES8_S8_S8_S8_S8_S8_S8_EEEEZZNS1_27merge_sort_block_merge_implIS3_NS6_6detail15normal_iteratorINS6_10device_ptrIjEEEENSD_INSE_IS9_EEEEjNS1_19radix_merge_compareILb0ELb1EjNS0_19identity_decomposerEEEEE10hipError_tT0_T1_T2_jT3_P12ihipStream_tbPNSt15iterator_traitsISN_E10value_typeEPNST_ISO_E10value_typeEPSP_NS1_7vsmem_tEENKUlT_SN_SO_SP_E_clIPjSG_PS9_SI_EESM_S12_SN_SO_SP_EUlS12_E_NS1_11comp_targetILNS1_3genE4ELNS1_11target_archE910ELNS1_3gpuE8ELNS1_3repE0EEENS1_48merge_mergepath_partition_config_static_selectorELNS0_4arch9wavefront6targetE0EEEvSO_
	.p2align	8
	.type	_ZN7rocprim17ROCPRIM_400000_NS6detail17trampoline_kernelINS0_14default_configENS1_38merge_sort_block_merge_config_selectorIjN6thrust23THRUST_200600_302600_NS5tupleIffNS6_9null_typeES8_S8_S8_S8_S8_S8_S8_EEEEZZNS1_27merge_sort_block_merge_implIS3_NS6_6detail15normal_iteratorINS6_10device_ptrIjEEEENSD_INSE_IS9_EEEEjNS1_19radix_merge_compareILb0ELb1EjNS0_19identity_decomposerEEEEE10hipError_tT0_T1_T2_jT3_P12ihipStream_tbPNSt15iterator_traitsISN_E10value_typeEPNST_ISO_E10value_typeEPSP_NS1_7vsmem_tEENKUlT_SN_SO_SP_E_clIPjSG_PS9_SI_EESM_S12_SN_SO_SP_EUlS12_E_NS1_11comp_targetILNS1_3genE4ELNS1_11target_archE910ELNS1_3gpuE8ELNS1_3repE0EEENS1_48merge_mergepath_partition_config_static_selectorELNS0_4arch9wavefront6targetE0EEEvSO_,@function
_ZN7rocprim17ROCPRIM_400000_NS6detail17trampoline_kernelINS0_14default_configENS1_38merge_sort_block_merge_config_selectorIjN6thrust23THRUST_200600_302600_NS5tupleIffNS6_9null_typeES8_S8_S8_S8_S8_S8_S8_EEEEZZNS1_27merge_sort_block_merge_implIS3_NS6_6detail15normal_iteratorINS6_10device_ptrIjEEEENSD_INSE_IS9_EEEEjNS1_19radix_merge_compareILb0ELb1EjNS0_19identity_decomposerEEEEE10hipError_tT0_T1_T2_jT3_P12ihipStream_tbPNSt15iterator_traitsISN_E10value_typeEPNST_ISO_E10value_typeEPSP_NS1_7vsmem_tEENKUlT_SN_SO_SP_E_clIPjSG_PS9_SI_EESM_S12_SN_SO_SP_EUlS12_E_NS1_11comp_targetILNS1_3genE4ELNS1_11target_archE910ELNS1_3gpuE8ELNS1_3repE0EEENS1_48merge_mergepath_partition_config_static_selectorELNS0_4arch9wavefront6targetE0EEEvSO_: ; @_ZN7rocprim17ROCPRIM_400000_NS6detail17trampoline_kernelINS0_14default_configENS1_38merge_sort_block_merge_config_selectorIjN6thrust23THRUST_200600_302600_NS5tupleIffNS6_9null_typeES8_S8_S8_S8_S8_S8_S8_EEEEZZNS1_27merge_sort_block_merge_implIS3_NS6_6detail15normal_iteratorINS6_10device_ptrIjEEEENSD_INSE_IS9_EEEEjNS1_19radix_merge_compareILb0ELb1EjNS0_19identity_decomposerEEEEE10hipError_tT0_T1_T2_jT3_P12ihipStream_tbPNSt15iterator_traitsISN_E10value_typeEPNST_ISO_E10value_typeEPSP_NS1_7vsmem_tEENKUlT_SN_SO_SP_E_clIPjSG_PS9_SI_EESM_S12_SN_SO_SP_EUlS12_E_NS1_11comp_targetILNS1_3genE4ELNS1_11target_archE910ELNS1_3gpuE8ELNS1_3repE0EEENS1_48merge_mergepath_partition_config_static_selectorELNS0_4arch9wavefront6targetE0EEEvSO_
; %bb.0:
	.section	.rodata,"a",@progbits
	.p2align	6, 0x0
	.amdhsa_kernel _ZN7rocprim17ROCPRIM_400000_NS6detail17trampoline_kernelINS0_14default_configENS1_38merge_sort_block_merge_config_selectorIjN6thrust23THRUST_200600_302600_NS5tupleIffNS6_9null_typeES8_S8_S8_S8_S8_S8_S8_EEEEZZNS1_27merge_sort_block_merge_implIS3_NS6_6detail15normal_iteratorINS6_10device_ptrIjEEEENSD_INSE_IS9_EEEEjNS1_19radix_merge_compareILb0ELb1EjNS0_19identity_decomposerEEEEE10hipError_tT0_T1_T2_jT3_P12ihipStream_tbPNSt15iterator_traitsISN_E10value_typeEPNST_ISO_E10value_typeEPSP_NS1_7vsmem_tEENKUlT_SN_SO_SP_E_clIPjSG_PS9_SI_EESM_S12_SN_SO_SP_EUlS12_E_NS1_11comp_targetILNS1_3genE4ELNS1_11target_archE910ELNS1_3gpuE8ELNS1_3repE0EEENS1_48merge_mergepath_partition_config_static_selectorELNS0_4arch9wavefront6targetE0EEEvSO_
		.amdhsa_group_segment_fixed_size 0
		.amdhsa_private_segment_fixed_size 0
		.amdhsa_kernarg_size 40
		.amdhsa_user_sgpr_count 6
		.amdhsa_user_sgpr_private_segment_buffer 1
		.amdhsa_user_sgpr_dispatch_ptr 0
		.amdhsa_user_sgpr_queue_ptr 0
		.amdhsa_user_sgpr_kernarg_segment_ptr 1
		.amdhsa_user_sgpr_dispatch_id 0
		.amdhsa_user_sgpr_flat_scratch_init 0
		.amdhsa_user_sgpr_private_segment_size 0
		.amdhsa_wavefront_size32 1
		.amdhsa_uses_dynamic_stack 0
		.amdhsa_system_sgpr_private_segment_wavefront_offset 0
		.amdhsa_system_sgpr_workgroup_id_x 1
		.amdhsa_system_sgpr_workgroup_id_y 0
		.amdhsa_system_sgpr_workgroup_id_z 0
		.amdhsa_system_sgpr_workgroup_info 0
		.amdhsa_system_vgpr_workitem_id 0
		.amdhsa_next_free_vgpr 1
		.amdhsa_next_free_sgpr 1
		.amdhsa_reserve_vcc 0
		.amdhsa_reserve_flat_scratch 0
		.amdhsa_float_round_mode_32 0
		.amdhsa_float_round_mode_16_64 0
		.amdhsa_float_denorm_mode_32 3
		.amdhsa_float_denorm_mode_16_64 3
		.amdhsa_dx10_clamp 1
		.amdhsa_ieee_mode 1
		.amdhsa_fp16_overflow 0
		.amdhsa_workgroup_processor_mode 1
		.amdhsa_memory_ordered 1
		.amdhsa_forward_progress 1
		.amdhsa_shared_vgpr_count 0
		.amdhsa_exception_fp_ieee_invalid_op 0
		.amdhsa_exception_fp_denorm_src 0
		.amdhsa_exception_fp_ieee_div_zero 0
		.amdhsa_exception_fp_ieee_overflow 0
		.amdhsa_exception_fp_ieee_underflow 0
		.amdhsa_exception_fp_ieee_inexact 0
		.amdhsa_exception_int_div_zero 0
	.end_amdhsa_kernel
	.section	.text._ZN7rocprim17ROCPRIM_400000_NS6detail17trampoline_kernelINS0_14default_configENS1_38merge_sort_block_merge_config_selectorIjN6thrust23THRUST_200600_302600_NS5tupleIffNS6_9null_typeES8_S8_S8_S8_S8_S8_S8_EEEEZZNS1_27merge_sort_block_merge_implIS3_NS6_6detail15normal_iteratorINS6_10device_ptrIjEEEENSD_INSE_IS9_EEEEjNS1_19radix_merge_compareILb0ELb1EjNS0_19identity_decomposerEEEEE10hipError_tT0_T1_T2_jT3_P12ihipStream_tbPNSt15iterator_traitsISN_E10value_typeEPNST_ISO_E10value_typeEPSP_NS1_7vsmem_tEENKUlT_SN_SO_SP_E_clIPjSG_PS9_SI_EESM_S12_SN_SO_SP_EUlS12_E_NS1_11comp_targetILNS1_3genE4ELNS1_11target_archE910ELNS1_3gpuE8ELNS1_3repE0EEENS1_48merge_mergepath_partition_config_static_selectorELNS0_4arch9wavefront6targetE0EEEvSO_,"axG",@progbits,_ZN7rocprim17ROCPRIM_400000_NS6detail17trampoline_kernelINS0_14default_configENS1_38merge_sort_block_merge_config_selectorIjN6thrust23THRUST_200600_302600_NS5tupleIffNS6_9null_typeES8_S8_S8_S8_S8_S8_S8_EEEEZZNS1_27merge_sort_block_merge_implIS3_NS6_6detail15normal_iteratorINS6_10device_ptrIjEEEENSD_INSE_IS9_EEEEjNS1_19radix_merge_compareILb0ELb1EjNS0_19identity_decomposerEEEEE10hipError_tT0_T1_T2_jT3_P12ihipStream_tbPNSt15iterator_traitsISN_E10value_typeEPNST_ISO_E10value_typeEPSP_NS1_7vsmem_tEENKUlT_SN_SO_SP_E_clIPjSG_PS9_SI_EESM_S12_SN_SO_SP_EUlS12_E_NS1_11comp_targetILNS1_3genE4ELNS1_11target_archE910ELNS1_3gpuE8ELNS1_3repE0EEENS1_48merge_mergepath_partition_config_static_selectorELNS0_4arch9wavefront6targetE0EEEvSO_,comdat
.Lfunc_end94:
	.size	_ZN7rocprim17ROCPRIM_400000_NS6detail17trampoline_kernelINS0_14default_configENS1_38merge_sort_block_merge_config_selectorIjN6thrust23THRUST_200600_302600_NS5tupleIffNS6_9null_typeES8_S8_S8_S8_S8_S8_S8_EEEEZZNS1_27merge_sort_block_merge_implIS3_NS6_6detail15normal_iteratorINS6_10device_ptrIjEEEENSD_INSE_IS9_EEEEjNS1_19radix_merge_compareILb0ELb1EjNS0_19identity_decomposerEEEEE10hipError_tT0_T1_T2_jT3_P12ihipStream_tbPNSt15iterator_traitsISN_E10value_typeEPNST_ISO_E10value_typeEPSP_NS1_7vsmem_tEENKUlT_SN_SO_SP_E_clIPjSG_PS9_SI_EESM_S12_SN_SO_SP_EUlS12_E_NS1_11comp_targetILNS1_3genE4ELNS1_11target_archE910ELNS1_3gpuE8ELNS1_3repE0EEENS1_48merge_mergepath_partition_config_static_selectorELNS0_4arch9wavefront6targetE0EEEvSO_, .Lfunc_end94-_ZN7rocprim17ROCPRIM_400000_NS6detail17trampoline_kernelINS0_14default_configENS1_38merge_sort_block_merge_config_selectorIjN6thrust23THRUST_200600_302600_NS5tupleIffNS6_9null_typeES8_S8_S8_S8_S8_S8_S8_EEEEZZNS1_27merge_sort_block_merge_implIS3_NS6_6detail15normal_iteratorINS6_10device_ptrIjEEEENSD_INSE_IS9_EEEEjNS1_19radix_merge_compareILb0ELb1EjNS0_19identity_decomposerEEEEE10hipError_tT0_T1_T2_jT3_P12ihipStream_tbPNSt15iterator_traitsISN_E10value_typeEPNST_ISO_E10value_typeEPSP_NS1_7vsmem_tEENKUlT_SN_SO_SP_E_clIPjSG_PS9_SI_EESM_S12_SN_SO_SP_EUlS12_E_NS1_11comp_targetILNS1_3genE4ELNS1_11target_archE910ELNS1_3gpuE8ELNS1_3repE0EEENS1_48merge_mergepath_partition_config_static_selectorELNS0_4arch9wavefront6targetE0EEEvSO_
                                        ; -- End function
	.set _ZN7rocprim17ROCPRIM_400000_NS6detail17trampoline_kernelINS0_14default_configENS1_38merge_sort_block_merge_config_selectorIjN6thrust23THRUST_200600_302600_NS5tupleIffNS6_9null_typeES8_S8_S8_S8_S8_S8_S8_EEEEZZNS1_27merge_sort_block_merge_implIS3_NS6_6detail15normal_iteratorINS6_10device_ptrIjEEEENSD_INSE_IS9_EEEEjNS1_19radix_merge_compareILb0ELb1EjNS0_19identity_decomposerEEEEE10hipError_tT0_T1_T2_jT3_P12ihipStream_tbPNSt15iterator_traitsISN_E10value_typeEPNST_ISO_E10value_typeEPSP_NS1_7vsmem_tEENKUlT_SN_SO_SP_E_clIPjSG_PS9_SI_EESM_S12_SN_SO_SP_EUlS12_E_NS1_11comp_targetILNS1_3genE4ELNS1_11target_archE910ELNS1_3gpuE8ELNS1_3repE0EEENS1_48merge_mergepath_partition_config_static_selectorELNS0_4arch9wavefront6targetE0EEEvSO_.num_vgpr, 0
	.set _ZN7rocprim17ROCPRIM_400000_NS6detail17trampoline_kernelINS0_14default_configENS1_38merge_sort_block_merge_config_selectorIjN6thrust23THRUST_200600_302600_NS5tupleIffNS6_9null_typeES8_S8_S8_S8_S8_S8_S8_EEEEZZNS1_27merge_sort_block_merge_implIS3_NS6_6detail15normal_iteratorINS6_10device_ptrIjEEEENSD_INSE_IS9_EEEEjNS1_19radix_merge_compareILb0ELb1EjNS0_19identity_decomposerEEEEE10hipError_tT0_T1_T2_jT3_P12ihipStream_tbPNSt15iterator_traitsISN_E10value_typeEPNST_ISO_E10value_typeEPSP_NS1_7vsmem_tEENKUlT_SN_SO_SP_E_clIPjSG_PS9_SI_EESM_S12_SN_SO_SP_EUlS12_E_NS1_11comp_targetILNS1_3genE4ELNS1_11target_archE910ELNS1_3gpuE8ELNS1_3repE0EEENS1_48merge_mergepath_partition_config_static_selectorELNS0_4arch9wavefront6targetE0EEEvSO_.num_agpr, 0
	.set _ZN7rocprim17ROCPRIM_400000_NS6detail17trampoline_kernelINS0_14default_configENS1_38merge_sort_block_merge_config_selectorIjN6thrust23THRUST_200600_302600_NS5tupleIffNS6_9null_typeES8_S8_S8_S8_S8_S8_S8_EEEEZZNS1_27merge_sort_block_merge_implIS3_NS6_6detail15normal_iteratorINS6_10device_ptrIjEEEENSD_INSE_IS9_EEEEjNS1_19radix_merge_compareILb0ELb1EjNS0_19identity_decomposerEEEEE10hipError_tT0_T1_T2_jT3_P12ihipStream_tbPNSt15iterator_traitsISN_E10value_typeEPNST_ISO_E10value_typeEPSP_NS1_7vsmem_tEENKUlT_SN_SO_SP_E_clIPjSG_PS9_SI_EESM_S12_SN_SO_SP_EUlS12_E_NS1_11comp_targetILNS1_3genE4ELNS1_11target_archE910ELNS1_3gpuE8ELNS1_3repE0EEENS1_48merge_mergepath_partition_config_static_selectorELNS0_4arch9wavefront6targetE0EEEvSO_.numbered_sgpr, 0
	.set _ZN7rocprim17ROCPRIM_400000_NS6detail17trampoline_kernelINS0_14default_configENS1_38merge_sort_block_merge_config_selectorIjN6thrust23THRUST_200600_302600_NS5tupleIffNS6_9null_typeES8_S8_S8_S8_S8_S8_S8_EEEEZZNS1_27merge_sort_block_merge_implIS3_NS6_6detail15normal_iteratorINS6_10device_ptrIjEEEENSD_INSE_IS9_EEEEjNS1_19radix_merge_compareILb0ELb1EjNS0_19identity_decomposerEEEEE10hipError_tT0_T1_T2_jT3_P12ihipStream_tbPNSt15iterator_traitsISN_E10value_typeEPNST_ISO_E10value_typeEPSP_NS1_7vsmem_tEENKUlT_SN_SO_SP_E_clIPjSG_PS9_SI_EESM_S12_SN_SO_SP_EUlS12_E_NS1_11comp_targetILNS1_3genE4ELNS1_11target_archE910ELNS1_3gpuE8ELNS1_3repE0EEENS1_48merge_mergepath_partition_config_static_selectorELNS0_4arch9wavefront6targetE0EEEvSO_.num_named_barrier, 0
	.set _ZN7rocprim17ROCPRIM_400000_NS6detail17trampoline_kernelINS0_14default_configENS1_38merge_sort_block_merge_config_selectorIjN6thrust23THRUST_200600_302600_NS5tupleIffNS6_9null_typeES8_S8_S8_S8_S8_S8_S8_EEEEZZNS1_27merge_sort_block_merge_implIS3_NS6_6detail15normal_iteratorINS6_10device_ptrIjEEEENSD_INSE_IS9_EEEEjNS1_19radix_merge_compareILb0ELb1EjNS0_19identity_decomposerEEEEE10hipError_tT0_T1_T2_jT3_P12ihipStream_tbPNSt15iterator_traitsISN_E10value_typeEPNST_ISO_E10value_typeEPSP_NS1_7vsmem_tEENKUlT_SN_SO_SP_E_clIPjSG_PS9_SI_EESM_S12_SN_SO_SP_EUlS12_E_NS1_11comp_targetILNS1_3genE4ELNS1_11target_archE910ELNS1_3gpuE8ELNS1_3repE0EEENS1_48merge_mergepath_partition_config_static_selectorELNS0_4arch9wavefront6targetE0EEEvSO_.private_seg_size, 0
	.set _ZN7rocprim17ROCPRIM_400000_NS6detail17trampoline_kernelINS0_14default_configENS1_38merge_sort_block_merge_config_selectorIjN6thrust23THRUST_200600_302600_NS5tupleIffNS6_9null_typeES8_S8_S8_S8_S8_S8_S8_EEEEZZNS1_27merge_sort_block_merge_implIS3_NS6_6detail15normal_iteratorINS6_10device_ptrIjEEEENSD_INSE_IS9_EEEEjNS1_19radix_merge_compareILb0ELb1EjNS0_19identity_decomposerEEEEE10hipError_tT0_T1_T2_jT3_P12ihipStream_tbPNSt15iterator_traitsISN_E10value_typeEPNST_ISO_E10value_typeEPSP_NS1_7vsmem_tEENKUlT_SN_SO_SP_E_clIPjSG_PS9_SI_EESM_S12_SN_SO_SP_EUlS12_E_NS1_11comp_targetILNS1_3genE4ELNS1_11target_archE910ELNS1_3gpuE8ELNS1_3repE0EEENS1_48merge_mergepath_partition_config_static_selectorELNS0_4arch9wavefront6targetE0EEEvSO_.uses_vcc, 0
	.set _ZN7rocprim17ROCPRIM_400000_NS6detail17trampoline_kernelINS0_14default_configENS1_38merge_sort_block_merge_config_selectorIjN6thrust23THRUST_200600_302600_NS5tupleIffNS6_9null_typeES8_S8_S8_S8_S8_S8_S8_EEEEZZNS1_27merge_sort_block_merge_implIS3_NS6_6detail15normal_iteratorINS6_10device_ptrIjEEEENSD_INSE_IS9_EEEEjNS1_19radix_merge_compareILb0ELb1EjNS0_19identity_decomposerEEEEE10hipError_tT0_T1_T2_jT3_P12ihipStream_tbPNSt15iterator_traitsISN_E10value_typeEPNST_ISO_E10value_typeEPSP_NS1_7vsmem_tEENKUlT_SN_SO_SP_E_clIPjSG_PS9_SI_EESM_S12_SN_SO_SP_EUlS12_E_NS1_11comp_targetILNS1_3genE4ELNS1_11target_archE910ELNS1_3gpuE8ELNS1_3repE0EEENS1_48merge_mergepath_partition_config_static_selectorELNS0_4arch9wavefront6targetE0EEEvSO_.uses_flat_scratch, 0
	.set _ZN7rocprim17ROCPRIM_400000_NS6detail17trampoline_kernelINS0_14default_configENS1_38merge_sort_block_merge_config_selectorIjN6thrust23THRUST_200600_302600_NS5tupleIffNS6_9null_typeES8_S8_S8_S8_S8_S8_S8_EEEEZZNS1_27merge_sort_block_merge_implIS3_NS6_6detail15normal_iteratorINS6_10device_ptrIjEEEENSD_INSE_IS9_EEEEjNS1_19radix_merge_compareILb0ELb1EjNS0_19identity_decomposerEEEEE10hipError_tT0_T1_T2_jT3_P12ihipStream_tbPNSt15iterator_traitsISN_E10value_typeEPNST_ISO_E10value_typeEPSP_NS1_7vsmem_tEENKUlT_SN_SO_SP_E_clIPjSG_PS9_SI_EESM_S12_SN_SO_SP_EUlS12_E_NS1_11comp_targetILNS1_3genE4ELNS1_11target_archE910ELNS1_3gpuE8ELNS1_3repE0EEENS1_48merge_mergepath_partition_config_static_selectorELNS0_4arch9wavefront6targetE0EEEvSO_.has_dyn_sized_stack, 0
	.set _ZN7rocprim17ROCPRIM_400000_NS6detail17trampoline_kernelINS0_14default_configENS1_38merge_sort_block_merge_config_selectorIjN6thrust23THRUST_200600_302600_NS5tupleIffNS6_9null_typeES8_S8_S8_S8_S8_S8_S8_EEEEZZNS1_27merge_sort_block_merge_implIS3_NS6_6detail15normal_iteratorINS6_10device_ptrIjEEEENSD_INSE_IS9_EEEEjNS1_19radix_merge_compareILb0ELb1EjNS0_19identity_decomposerEEEEE10hipError_tT0_T1_T2_jT3_P12ihipStream_tbPNSt15iterator_traitsISN_E10value_typeEPNST_ISO_E10value_typeEPSP_NS1_7vsmem_tEENKUlT_SN_SO_SP_E_clIPjSG_PS9_SI_EESM_S12_SN_SO_SP_EUlS12_E_NS1_11comp_targetILNS1_3genE4ELNS1_11target_archE910ELNS1_3gpuE8ELNS1_3repE0EEENS1_48merge_mergepath_partition_config_static_selectorELNS0_4arch9wavefront6targetE0EEEvSO_.has_recursion, 0
	.set _ZN7rocprim17ROCPRIM_400000_NS6detail17trampoline_kernelINS0_14default_configENS1_38merge_sort_block_merge_config_selectorIjN6thrust23THRUST_200600_302600_NS5tupleIffNS6_9null_typeES8_S8_S8_S8_S8_S8_S8_EEEEZZNS1_27merge_sort_block_merge_implIS3_NS6_6detail15normal_iteratorINS6_10device_ptrIjEEEENSD_INSE_IS9_EEEEjNS1_19radix_merge_compareILb0ELb1EjNS0_19identity_decomposerEEEEE10hipError_tT0_T1_T2_jT3_P12ihipStream_tbPNSt15iterator_traitsISN_E10value_typeEPNST_ISO_E10value_typeEPSP_NS1_7vsmem_tEENKUlT_SN_SO_SP_E_clIPjSG_PS9_SI_EESM_S12_SN_SO_SP_EUlS12_E_NS1_11comp_targetILNS1_3genE4ELNS1_11target_archE910ELNS1_3gpuE8ELNS1_3repE0EEENS1_48merge_mergepath_partition_config_static_selectorELNS0_4arch9wavefront6targetE0EEEvSO_.has_indirect_call, 0
	.section	.AMDGPU.csdata,"",@progbits
; Kernel info:
; codeLenInByte = 0
; TotalNumSgprs: 0
; NumVgprs: 0
; ScratchSize: 0
; MemoryBound: 0
; FloatMode: 240
; IeeeMode: 1
; LDSByteSize: 0 bytes/workgroup (compile time only)
; SGPRBlocks: 0
; VGPRBlocks: 0
; NumSGPRsForWavesPerEU: 1
; NumVGPRsForWavesPerEU: 1
; Occupancy: 16
; WaveLimiterHint : 0
; COMPUTE_PGM_RSRC2:SCRATCH_EN: 0
; COMPUTE_PGM_RSRC2:USER_SGPR: 6
; COMPUTE_PGM_RSRC2:TRAP_HANDLER: 0
; COMPUTE_PGM_RSRC2:TGID_X_EN: 1
; COMPUTE_PGM_RSRC2:TGID_Y_EN: 0
; COMPUTE_PGM_RSRC2:TGID_Z_EN: 0
; COMPUTE_PGM_RSRC2:TIDIG_COMP_CNT: 0
	.section	.text._ZN7rocprim17ROCPRIM_400000_NS6detail17trampoline_kernelINS0_14default_configENS1_38merge_sort_block_merge_config_selectorIjN6thrust23THRUST_200600_302600_NS5tupleIffNS6_9null_typeES8_S8_S8_S8_S8_S8_S8_EEEEZZNS1_27merge_sort_block_merge_implIS3_NS6_6detail15normal_iteratorINS6_10device_ptrIjEEEENSD_INSE_IS9_EEEEjNS1_19radix_merge_compareILb0ELb1EjNS0_19identity_decomposerEEEEE10hipError_tT0_T1_T2_jT3_P12ihipStream_tbPNSt15iterator_traitsISN_E10value_typeEPNST_ISO_E10value_typeEPSP_NS1_7vsmem_tEENKUlT_SN_SO_SP_E_clIPjSG_PS9_SI_EESM_S12_SN_SO_SP_EUlS12_E_NS1_11comp_targetILNS1_3genE3ELNS1_11target_archE908ELNS1_3gpuE7ELNS1_3repE0EEENS1_48merge_mergepath_partition_config_static_selectorELNS0_4arch9wavefront6targetE0EEEvSO_,"axG",@progbits,_ZN7rocprim17ROCPRIM_400000_NS6detail17trampoline_kernelINS0_14default_configENS1_38merge_sort_block_merge_config_selectorIjN6thrust23THRUST_200600_302600_NS5tupleIffNS6_9null_typeES8_S8_S8_S8_S8_S8_S8_EEEEZZNS1_27merge_sort_block_merge_implIS3_NS6_6detail15normal_iteratorINS6_10device_ptrIjEEEENSD_INSE_IS9_EEEEjNS1_19radix_merge_compareILb0ELb1EjNS0_19identity_decomposerEEEEE10hipError_tT0_T1_T2_jT3_P12ihipStream_tbPNSt15iterator_traitsISN_E10value_typeEPNST_ISO_E10value_typeEPSP_NS1_7vsmem_tEENKUlT_SN_SO_SP_E_clIPjSG_PS9_SI_EESM_S12_SN_SO_SP_EUlS12_E_NS1_11comp_targetILNS1_3genE3ELNS1_11target_archE908ELNS1_3gpuE7ELNS1_3repE0EEENS1_48merge_mergepath_partition_config_static_selectorELNS0_4arch9wavefront6targetE0EEEvSO_,comdat
	.protected	_ZN7rocprim17ROCPRIM_400000_NS6detail17trampoline_kernelINS0_14default_configENS1_38merge_sort_block_merge_config_selectorIjN6thrust23THRUST_200600_302600_NS5tupleIffNS6_9null_typeES8_S8_S8_S8_S8_S8_S8_EEEEZZNS1_27merge_sort_block_merge_implIS3_NS6_6detail15normal_iteratorINS6_10device_ptrIjEEEENSD_INSE_IS9_EEEEjNS1_19radix_merge_compareILb0ELb1EjNS0_19identity_decomposerEEEEE10hipError_tT0_T1_T2_jT3_P12ihipStream_tbPNSt15iterator_traitsISN_E10value_typeEPNST_ISO_E10value_typeEPSP_NS1_7vsmem_tEENKUlT_SN_SO_SP_E_clIPjSG_PS9_SI_EESM_S12_SN_SO_SP_EUlS12_E_NS1_11comp_targetILNS1_3genE3ELNS1_11target_archE908ELNS1_3gpuE7ELNS1_3repE0EEENS1_48merge_mergepath_partition_config_static_selectorELNS0_4arch9wavefront6targetE0EEEvSO_ ; -- Begin function _ZN7rocprim17ROCPRIM_400000_NS6detail17trampoline_kernelINS0_14default_configENS1_38merge_sort_block_merge_config_selectorIjN6thrust23THRUST_200600_302600_NS5tupleIffNS6_9null_typeES8_S8_S8_S8_S8_S8_S8_EEEEZZNS1_27merge_sort_block_merge_implIS3_NS6_6detail15normal_iteratorINS6_10device_ptrIjEEEENSD_INSE_IS9_EEEEjNS1_19radix_merge_compareILb0ELb1EjNS0_19identity_decomposerEEEEE10hipError_tT0_T1_T2_jT3_P12ihipStream_tbPNSt15iterator_traitsISN_E10value_typeEPNST_ISO_E10value_typeEPSP_NS1_7vsmem_tEENKUlT_SN_SO_SP_E_clIPjSG_PS9_SI_EESM_S12_SN_SO_SP_EUlS12_E_NS1_11comp_targetILNS1_3genE3ELNS1_11target_archE908ELNS1_3gpuE7ELNS1_3repE0EEENS1_48merge_mergepath_partition_config_static_selectorELNS0_4arch9wavefront6targetE0EEEvSO_
	.globl	_ZN7rocprim17ROCPRIM_400000_NS6detail17trampoline_kernelINS0_14default_configENS1_38merge_sort_block_merge_config_selectorIjN6thrust23THRUST_200600_302600_NS5tupleIffNS6_9null_typeES8_S8_S8_S8_S8_S8_S8_EEEEZZNS1_27merge_sort_block_merge_implIS3_NS6_6detail15normal_iteratorINS6_10device_ptrIjEEEENSD_INSE_IS9_EEEEjNS1_19radix_merge_compareILb0ELb1EjNS0_19identity_decomposerEEEEE10hipError_tT0_T1_T2_jT3_P12ihipStream_tbPNSt15iterator_traitsISN_E10value_typeEPNST_ISO_E10value_typeEPSP_NS1_7vsmem_tEENKUlT_SN_SO_SP_E_clIPjSG_PS9_SI_EESM_S12_SN_SO_SP_EUlS12_E_NS1_11comp_targetILNS1_3genE3ELNS1_11target_archE908ELNS1_3gpuE7ELNS1_3repE0EEENS1_48merge_mergepath_partition_config_static_selectorELNS0_4arch9wavefront6targetE0EEEvSO_
	.p2align	8
	.type	_ZN7rocprim17ROCPRIM_400000_NS6detail17trampoline_kernelINS0_14default_configENS1_38merge_sort_block_merge_config_selectorIjN6thrust23THRUST_200600_302600_NS5tupleIffNS6_9null_typeES8_S8_S8_S8_S8_S8_S8_EEEEZZNS1_27merge_sort_block_merge_implIS3_NS6_6detail15normal_iteratorINS6_10device_ptrIjEEEENSD_INSE_IS9_EEEEjNS1_19radix_merge_compareILb0ELb1EjNS0_19identity_decomposerEEEEE10hipError_tT0_T1_T2_jT3_P12ihipStream_tbPNSt15iterator_traitsISN_E10value_typeEPNST_ISO_E10value_typeEPSP_NS1_7vsmem_tEENKUlT_SN_SO_SP_E_clIPjSG_PS9_SI_EESM_S12_SN_SO_SP_EUlS12_E_NS1_11comp_targetILNS1_3genE3ELNS1_11target_archE908ELNS1_3gpuE7ELNS1_3repE0EEENS1_48merge_mergepath_partition_config_static_selectorELNS0_4arch9wavefront6targetE0EEEvSO_,@function
_ZN7rocprim17ROCPRIM_400000_NS6detail17trampoline_kernelINS0_14default_configENS1_38merge_sort_block_merge_config_selectorIjN6thrust23THRUST_200600_302600_NS5tupleIffNS6_9null_typeES8_S8_S8_S8_S8_S8_S8_EEEEZZNS1_27merge_sort_block_merge_implIS3_NS6_6detail15normal_iteratorINS6_10device_ptrIjEEEENSD_INSE_IS9_EEEEjNS1_19radix_merge_compareILb0ELb1EjNS0_19identity_decomposerEEEEE10hipError_tT0_T1_T2_jT3_P12ihipStream_tbPNSt15iterator_traitsISN_E10value_typeEPNST_ISO_E10value_typeEPSP_NS1_7vsmem_tEENKUlT_SN_SO_SP_E_clIPjSG_PS9_SI_EESM_S12_SN_SO_SP_EUlS12_E_NS1_11comp_targetILNS1_3genE3ELNS1_11target_archE908ELNS1_3gpuE7ELNS1_3repE0EEENS1_48merge_mergepath_partition_config_static_selectorELNS0_4arch9wavefront6targetE0EEEvSO_: ; @_ZN7rocprim17ROCPRIM_400000_NS6detail17trampoline_kernelINS0_14default_configENS1_38merge_sort_block_merge_config_selectorIjN6thrust23THRUST_200600_302600_NS5tupleIffNS6_9null_typeES8_S8_S8_S8_S8_S8_S8_EEEEZZNS1_27merge_sort_block_merge_implIS3_NS6_6detail15normal_iteratorINS6_10device_ptrIjEEEENSD_INSE_IS9_EEEEjNS1_19radix_merge_compareILb0ELb1EjNS0_19identity_decomposerEEEEE10hipError_tT0_T1_T2_jT3_P12ihipStream_tbPNSt15iterator_traitsISN_E10value_typeEPNST_ISO_E10value_typeEPSP_NS1_7vsmem_tEENKUlT_SN_SO_SP_E_clIPjSG_PS9_SI_EESM_S12_SN_SO_SP_EUlS12_E_NS1_11comp_targetILNS1_3genE3ELNS1_11target_archE908ELNS1_3gpuE7ELNS1_3repE0EEENS1_48merge_mergepath_partition_config_static_selectorELNS0_4arch9wavefront6targetE0EEEvSO_
; %bb.0:
	.section	.rodata,"a",@progbits
	.p2align	6, 0x0
	.amdhsa_kernel _ZN7rocprim17ROCPRIM_400000_NS6detail17trampoline_kernelINS0_14default_configENS1_38merge_sort_block_merge_config_selectorIjN6thrust23THRUST_200600_302600_NS5tupleIffNS6_9null_typeES8_S8_S8_S8_S8_S8_S8_EEEEZZNS1_27merge_sort_block_merge_implIS3_NS6_6detail15normal_iteratorINS6_10device_ptrIjEEEENSD_INSE_IS9_EEEEjNS1_19radix_merge_compareILb0ELb1EjNS0_19identity_decomposerEEEEE10hipError_tT0_T1_T2_jT3_P12ihipStream_tbPNSt15iterator_traitsISN_E10value_typeEPNST_ISO_E10value_typeEPSP_NS1_7vsmem_tEENKUlT_SN_SO_SP_E_clIPjSG_PS9_SI_EESM_S12_SN_SO_SP_EUlS12_E_NS1_11comp_targetILNS1_3genE3ELNS1_11target_archE908ELNS1_3gpuE7ELNS1_3repE0EEENS1_48merge_mergepath_partition_config_static_selectorELNS0_4arch9wavefront6targetE0EEEvSO_
		.amdhsa_group_segment_fixed_size 0
		.amdhsa_private_segment_fixed_size 0
		.amdhsa_kernarg_size 40
		.amdhsa_user_sgpr_count 6
		.amdhsa_user_sgpr_private_segment_buffer 1
		.amdhsa_user_sgpr_dispatch_ptr 0
		.amdhsa_user_sgpr_queue_ptr 0
		.amdhsa_user_sgpr_kernarg_segment_ptr 1
		.amdhsa_user_sgpr_dispatch_id 0
		.amdhsa_user_sgpr_flat_scratch_init 0
		.amdhsa_user_sgpr_private_segment_size 0
		.amdhsa_wavefront_size32 1
		.amdhsa_uses_dynamic_stack 0
		.amdhsa_system_sgpr_private_segment_wavefront_offset 0
		.amdhsa_system_sgpr_workgroup_id_x 1
		.amdhsa_system_sgpr_workgroup_id_y 0
		.amdhsa_system_sgpr_workgroup_id_z 0
		.amdhsa_system_sgpr_workgroup_info 0
		.amdhsa_system_vgpr_workitem_id 0
		.amdhsa_next_free_vgpr 1
		.amdhsa_next_free_sgpr 1
		.amdhsa_reserve_vcc 0
		.amdhsa_reserve_flat_scratch 0
		.amdhsa_float_round_mode_32 0
		.amdhsa_float_round_mode_16_64 0
		.amdhsa_float_denorm_mode_32 3
		.amdhsa_float_denorm_mode_16_64 3
		.amdhsa_dx10_clamp 1
		.amdhsa_ieee_mode 1
		.amdhsa_fp16_overflow 0
		.amdhsa_workgroup_processor_mode 1
		.amdhsa_memory_ordered 1
		.amdhsa_forward_progress 1
		.amdhsa_shared_vgpr_count 0
		.amdhsa_exception_fp_ieee_invalid_op 0
		.amdhsa_exception_fp_denorm_src 0
		.amdhsa_exception_fp_ieee_div_zero 0
		.amdhsa_exception_fp_ieee_overflow 0
		.amdhsa_exception_fp_ieee_underflow 0
		.amdhsa_exception_fp_ieee_inexact 0
		.amdhsa_exception_int_div_zero 0
	.end_amdhsa_kernel
	.section	.text._ZN7rocprim17ROCPRIM_400000_NS6detail17trampoline_kernelINS0_14default_configENS1_38merge_sort_block_merge_config_selectorIjN6thrust23THRUST_200600_302600_NS5tupleIffNS6_9null_typeES8_S8_S8_S8_S8_S8_S8_EEEEZZNS1_27merge_sort_block_merge_implIS3_NS6_6detail15normal_iteratorINS6_10device_ptrIjEEEENSD_INSE_IS9_EEEEjNS1_19radix_merge_compareILb0ELb1EjNS0_19identity_decomposerEEEEE10hipError_tT0_T1_T2_jT3_P12ihipStream_tbPNSt15iterator_traitsISN_E10value_typeEPNST_ISO_E10value_typeEPSP_NS1_7vsmem_tEENKUlT_SN_SO_SP_E_clIPjSG_PS9_SI_EESM_S12_SN_SO_SP_EUlS12_E_NS1_11comp_targetILNS1_3genE3ELNS1_11target_archE908ELNS1_3gpuE7ELNS1_3repE0EEENS1_48merge_mergepath_partition_config_static_selectorELNS0_4arch9wavefront6targetE0EEEvSO_,"axG",@progbits,_ZN7rocprim17ROCPRIM_400000_NS6detail17trampoline_kernelINS0_14default_configENS1_38merge_sort_block_merge_config_selectorIjN6thrust23THRUST_200600_302600_NS5tupleIffNS6_9null_typeES8_S8_S8_S8_S8_S8_S8_EEEEZZNS1_27merge_sort_block_merge_implIS3_NS6_6detail15normal_iteratorINS6_10device_ptrIjEEEENSD_INSE_IS9_EEEEjNS1_19radix_merge_compareILb0ELb1EjNS0_19identity_decomposerEEEEE10hipError_tT0_T1_T2_jT3_P12ihipStream_tbPNSt15iterator_traitsISN_E10value_typeEPNST_ISO_E10value_typeEPSP_NS1_7vsmem_tEENKUlT_SN_SO_SP_E_clIPjSG_PS9_SI_EESM_S12_SN_SO_SP_EUlS12_E_NS1_11comp_targetILNS1_3genE3ELNS1_11target_archE908ELNS1_3gpuE7ELNS1_3repE0EEENS1_48merge_mergepath_partition_config_static_selectorELNS0_4arch9wavefront6targetE0EEEvSO_,comdat
.Lfunc_end95:
	.size	_ZN7rocprim17ROCPRIM_400000_NS6detail17trampoline_kernelINS0_14default_configENS1_38merge_sort_block_merge_config_selectorIjN6thrust23THRUST_200600_302600_NS5tupleIffNS6_9null_typeES8_S8_S8_S8_S8_S8_S8_EEEEZZNS1_27merge_sort_block_merge_implIS3_NS6_6detail15normal_iteratorINS6_10device_ptrIjEEEENSD_INSE_IS9_EEEEjNS1_19radix_merge_compareILb0ELb1EjNS0_19identity_decomposerEEEEE10hipError_tT0_T1_T2_jT3_P12ihipStream_tbPNSt15iterator_traitsISN_E10value_typeEPNST_ISO_E10value_typeEPSP_NS1_7vsmem_tEENKUlT_SN_SO_SP_E_clIPjSG_PS9_SI_EESM_S12_SN_SO_SP_EUlS12_E_NS1_11comp_targetILNS1_3genE3ELNS1_11target_archE908ELNS1_3gpuE7ELNS1_3repE0EEENS1_48merge_mergepath_partition_config_static_selectorELNS0_4arch9wavefront6targetE0EEEvSO_, .Lfunc_end95-_ZN7rocprim17ROCPRIM_400000_NS6detail17trampoline_kernelINS0_14default_configENS1_38merge_sort_block_merge_config_selectorIjN6thrust23THRUST_200600_302600_NS5tupleIffNS6_9null_typeES8_S8_S8_S8_S8_S8_S8_EEEEZZNS1_27merge_sort_block_merge_implIS3_NS6_6detail15normal_iteratorINS6_10device_ptrIjEEEENSD_INSE_IS9_EEEEjNS1_19radix_merge_compareILb0ELb1EjNS0_19identity_decomposerEEEEE10hipError_tT0_T1_T2_jT3_P12ihipStream_tbPNSt15iterator_traitsISN_E10value_typeEPNST_ISO_E10value_typeEPSP_NS1_7vsmem_tEENKUlT_SN_SO_SP_E_clIPjSG_PS9_SI_EESM_S12_SN_SO_SP_EUlS12_E_NS1_11comp_targetILNS1_3genE3ELNS1_11target_archE908ELNS1_3gpuE7ELNS1_3repE0EEENS1_48merge_mergepath_partition_config_static_selectorELNS0_4arch9wavefront6targetE0EEEvSO_
                                        ; -- End function
	.set _ZN7rocprim17ROCPRIM_400000_NS6detail17trampoline_kernelINS0_14default_configENS1_38merge_sort_block_merge_config_selectorIjN6thrust23THRUST_200600_302600_NS5tupleIffNS6_9null_typeES8_S8_S8_S8_S8_S8_S8_EEEEZZNS1_27merge_sort_block_merge_implIS3_NS6_6detail15normal_iteratorINS6_10device_ptrIjEEEENSD_INSE_IS9_EEEEjNS1_19radix_merge_compareILb0ELb1EjNS0_19identity_decomposerEEEEE10hipError_tT0_T1_T2_jT3_P12ihipStream_tbPNSt15iterator_traitsISN_E10value_typeEPNST_ISO_E10value_typeEPSP_NS1_7vsmem_tEENKUlT_SN_SO_SP_E_clIPjSG_PS9_SI_EESM_S12_SN_SO_SP_EUlS12_E_NS1_11comp_targetILNS1_3genE3ELNS1_11target_archE908ELNS1_3gpuE7ELNS1_3repE0EEENS1_48merge_mergepath_partition_config_static_selectorELNS0_4arch9wavefront6targetE0EEEvSO_.num_vgpr, 0
	.set _ZN7rocprim17ROCPRIM_400000_NS6detail17trampoline_kernelINS0_14default_configENS1_38merge_sort_block_merge_config_selectorIjN6thrust23THRUST_200600_302600_NS5tupleIffNS6_9null_typeES8_S8_S8_S8_S8_S8_S8_EEEEZZNS1_27merge_sort_block_merge_implIS3_NS6_6detail15normal_iteratorINS6_10device_ptrIjEEEENSD_INSE_IS9_EEEEjNS1_19radix_merge_compareILb0ELb1EjNS0_19identity_decomposerEEEEE10hipError_tT0_T1_T2_jT3_P12ihipStream_tbPNSt15iterator_traitsISN_E10value_typeEPNST_ISO_E10value_typeEPSP_NS1_7vsmem_tEENKUlT_SN_SO_SP_E_clIPjSG_PS9_SI_EESM_S12_SN_SO_SP_EUlS12_E_NS1_11comp_targetILNS1_3genE3ELNS1_11target_archE908ELNS1_3gpuE7ELNS1_3repE0EEENS1_48merge_mergepath_partition_config_static_selectorELNS0_4arch9wavefront6targetE0EEEvSO_.num_agpr, 0
	.set _ZN7rocprim17ROCPRIM_400000_NS6detail17trampoline_kernelINS0_14default_configENS1_38merge_sort_block_merge_config_selectorIjN6thrust23THRUST_200600_302600_NS5tupleIffNS6_9null_typeES8_S8_S8_S8_S8_S8_S8_EEEEZZNS1_27merge_sort_block_merge_implIS3_NS6_6detail15normal_iteratorINS6_10device_ptrIjEEEENSD_INSE_IS9_EEEEjNS1_19radix_merge_compareILb0ELb1EjNS0_19identity_decomposerEEEEE10hipError_tT0_T1_T2_jT3_P12ihipStream_tbPNSt15iterator_traitsISN_E10value_typeEPNST_ISO_E10value_typeEPSP_NS1_7vsmem_tEENKUlT_SN_SO_SP_E_clIPjSG_PS9_SI_EESM_S12_SN_SO_SP_EUlS12_E_NS1_11comp_targetILNS1_3genE3ELNS1_11target_archE908ELNS1_3gpuE7ELNS1_3repE0EEENS1_48merge_mergepath_partition_config_static_selectorELNS0_4arch9wavefront6targetE0EEEvSO_.numbered_sgpr, 0
	.set _ZN7rocprim17ROCPRIM_400000_NS6detail17trampoline_kernelINS0_14default_configENS1_38merge_sort_block_merge_config_selectorIjN6thrust23THRUST_200600_302600_NS5tupleIffNS6_9null_typeES8_S8_S8_S8_S8_S8_S8_EEEEZZNS1_27merge_sort_block_merge_implIS3_NS6_6detail15normal_iteratorINS6_10device_ptrIjEEEENSD_INSE_IS9_EEEEjNS1_19radix_merge_compareILb0ELb1EjNS0_19identity_decomposerEEEEE10hipError_tT0_T1_T2_jT3_P12ihipStream_tbPNSt15iterator_traitsISN_E10value_typeEPNST_ISO_E10value_typeEPSP_NS1_7vsmem_tEENKUlT_SN_SO_SP_E_clIPjSG_PS9_SI_EESM_S12_SN_SO_SP_EUlS12_E_NS1_11comp_targetILNS1_3genE3ELNS1_11target_archE908ELNS1_3gpuE7ELNS1_3repE0EEENS1_48merge_mergepath_partition_config_static_selectorELNS0_4arch9wavefront6targetE0EEEvSO_.num_named_barrier, 0
	.set _ZN7rocprim17ROCPRIM_400000_NS6detail17trampoline_kernelINS0_14default_configENS1_38merge_sort_block_merge_config_selectorIjN6thrust23THRUST_200600_302600_NS5tupleIffNS6_9null_typeES8_S8_S8_S8_S8_S8_S8_EEEEZZNS1_27merge_sort_block_merge_implIS3_NS6_6detail15normal_iteratorINS6_10device_ptrIjEEEENSD_INSE_IS9_EEEEjNS1_19radix_merge_compareILb0ELb1EjNS0_19identity_decomposerEEEEE10hipError_tT0_T1_T2_jT3_P12ihipStream_tbPNSt15iterator_traitsISN_E10value_typeEPNST_ISO_E10value_typeEPSP_NS1_7vsmem_tEENKUlT_SN_SO_SP_E_clIPjSG_PS9_SI_EESM_S12_SN_SO_SP_EUlS12_E_NS1_11comp_targetILNS1_3genE3ELNS1_11target_archE908ELNS1_3gpuE7ELNS1_3repE0EEENS1_48merge_mergepath_partition_config_static_selectorELNS0_4arch9wavefront6targetE0EEEvSO_.private_seg_size, 0
	.set _ZN7rocprim17ROCPRIM_400000_NS6detail17trampoline_kernelINS0_14default_configENS1_38merge_sort_block_merge_config_selectorIjN6thrust23THRUST_200600_302600_NS5tupleIffNS6_9null_typeES8_S8_S8_S8_S8_S8_S8_EEEEZZNS1_27merge_sort_block_merge_implIS3_NS6_6detail15normal_iteratorINS6_10device_ptrIjEEEENSD_INSE_IS9_EEEEjNS1_19radix_merge_compareILb0ELb1EjNS0_19identity_decomposerEEEEE10hipError_tT0_T1_T2_jT3_P12ihipStream_tbPNSt15iterator_traitsISN_E10value_typeEPNST_ISO_E10value_typeEPSP_NS1_7vsmem_tEENKUlT_SN_SO_SP_E_clIPjSG_PS9_SI_EESM_S12_SN_SO_SP_EUlS12_E_NS1_11comp_targetILNS1_3genE3ELNS1_11target_archE908ELNS1_3gpuE7ELNS1_3repE0EEENS1_48merge_mergepath_partition_config_static_selectorELNS0_4arch9wavefront6targetE0EEEvSO_.uses_vcc, 0
	.set _ZN7rocprim17ROCPRIM_400000_NS6detail17trampoline_kernelINS0_14default_configENS1_38merge_sort_block_merge_config_selectorIjN6thrust23THRUST_200600_302600_NS5tupleIffNS6_9null_typeES8_S8_S8_S8_S8_S8_S8_EEEEZZNS1_27merge_sort_block_merge_implIS3_NS6_6detail15normal_iteratorINS6_10device_ptrIjEEEENSD_INSE_IS9_EEEEjNS1_19radix_merge_compareILb0ELb1EjNS0_19identity_decomposerEEEEE10hipError_tT0_T1_T2_jT3_P12ihipStream_tbPNSt15iterator_traitsISN_E10value_typeEPNST_ISO_E10value_typeEPSP_NS1_7vsmem_tEENKUlT_SN_SO_SP_E_clIPjSG_PS9_SI_EESM_S12_SN_SO_SP_EUlS12_E_NS1_11comp_targetILNS1_3genE3ELNS1_11target_archE908ELNS1_3gpuE7ELNS1_3repE0EEENS1_48merge_mergepath_partition_config_static_selectorELNS0_4arch9wavefront6targetE0EEEvSO_.uses_flat_scratch, 0
	.set _ZN7rocprim17ROCPRIM_400000_NS6detail17trampoline_kernelINS0_14default_configENS1_38merge_sort_block_merge_config_selectorIjN6thrust23THRUST_200600_302600_NS5tupleIffNS6_9null_typeES8_S8_S8_S8_S8_S8_S8_EEEEZZNS1_27merge_sort_block_merge_implIS3_NS6_6detail15normal_iteratorINS6_10device_ptrIjEEEENSD_INSE_IS9_EEEEjNS1_19radix_merge_compareILb0ELb1EjNS0_19identity_decomposerEEEEE10hipError_tT0_T1_T2_jT3_P12ihipStream_tbPNSt15iterator_traitsISN_E10value_typeEPNST_ISO_E10value_typeEPSP_NS1_7vsmem_tEENKUlT_SN_SO_SP_E_clIPjSG_PS9_SI_EESM_S12_SN_SO_SP_EUlS12_E_NS1_11comp_targetILNS1_3genE3ELNS1_11target_archE908ELNS1_3gpuE7ELNS1_3repE0EEENS1_48merge_mergepath_partition_config_static_selectorELNS0_4arch9wavefront6targetE0EEEvSO_.has_dyn_sized_stack, 0
	.set _ZN7rocprim17ROCPRIM_400000_NS6detail17trampoline_kernelINS0_14default_configENS1_38merge_sort_block_merge_config_selectorIjN6thrust23THRUST_200600_302600_NS5tupleIffNS6_9null_typeES8_S8_S8_S8_S8_S8_S8_EEEEZZNS1_27merge_sort_block_merge_implIS3_NS6_6detail15normal_iteratorINS6_10device_ptrIjEEEENSD_INSE_IS9_EEEEjNS1_19radix_merge_compareILb0ELb1EjNS0_19identity_decomposerEEEEE10hipError_tT0_T1_T2_jT3_P12ihipStream_tbPNSt15iterator_traitsISN_E10value_typeEPNST_ISO_E10value_typeEPSP_NS1_7vsmem_tEENKUlT_SN_SO_SP_E_clIPjSG_PS9_SI_EESM_S12_SN_SO_SP_EUlS12_E_NS1_11comp_targetILNS1_3genE3ELNS1_11target_archE908ELNS1_3gpuE7ELNS1_3repE0EEENS1_48merge_mergepath_partition_config_static_selectorELNS0_4arch9wavefront6targetE0EEEvSO_.has_recursion, 0
	.set _ZN7rocprim17ROCPRIM_400000_NS6detail17trampoline_kernelINS0_14default_configENS1_38merge_sort_block_merge_config_selectorIjN6thrust23THRUST_200600_302600_NS5tupleIffNS6_9null_typeES8_S8_S8_S8_S8_S8_S8_EEEEZZNS1_27merge_sort_block_merge_implIS3_NS6_6detail15normal_iteratorINS6_10device_ptrIjEEEENSD_INSE_IS9_EEEEjNS1_19radix_merge_compareILb0ELb1EjNS0_19identity_decomposerEEEEE10hipError_tT0_T1_T2_jT3_P12ihipStream_tbPNSt15iterator_traitsISN_E10value_typeEPNST_ISO_E10value_typeEPSP_NS1_7vsmem_tEENKUlT_SN_SO_SP_E_clIPjSG_PS9_SI_EESM_S12_SN_SO_SP_EUlS12_E_NS1_11comp_targetILNS1_3genE3ELNS1_11target_archE908ELNS1_3gpuE7ELNS1_3repE0EEENS1_48merge_mergepath_partition_config_static_selectorELNS0_4arch9wavefront6targetE0EEEvSO_.has_indirect_call, 0
	.section	.AMDGPU.csdata,"",@progbits
; Kernel info:
; codeLenInByte = 0
; TotalNumSgprs: 0
; NumVgprs: 0
; ScratchSize: 0
; MemoryBound: 0
; FloatMode: 240
; IeeeMode: 1
; LDSByteSize: 0 bytes/workgroup (compile time only)
; SGPRBlocks: 0
; VGPRBlocks: 0
; NumSGPRsForWavesPerEU: 1
; NumVGPRsForWavesPerEU: 1
; Occupancy: 16
; WaveLimiterHint : 0
; COMPUTE_PGM_RSRC2:SCRATCH_EN: 0
; COMPUTE_PGM_RSRC2:USER_SGPR: 6
; COMPUTE_PGM_RSRC2:TRAP_HANDLER: 0
; COMPUTE_PGM_RSRC2:TGID_X_EN: 1
; COMPUTE_PGM_RSRC2:TGID_Y_EN: 0
; COMPUTE_PGM_RSRC2:TGID_Z_EN: 0
; COMPUTE_PGM_RSRC2:TIDIG_COMP_CNT: 0
	.section	.text._ZN7rocprim17ROCPRIM_400000_NS6detail17trampoline_kernelINS0_14default_configENS1_38merge_sort_block_merge_config_selectorIjN6thrust23THRUST_200600_302600_NS5tupleIffNS6_9null_typeES8_S8_S8_S8_S8_S8_S8_EEEEZZNS1_27merge_sort_block_merge_implIS3_NS6_6detail15normal_iteratorINS6_10device_ptrIjEEEENSD_INSE_IS9_EEEEjNS1_19radix_merge_compareILb0ELb1EjNS0_19identity_decomposerEEEEE10hipError_tT0_T1_T2_jT3_P12ihipStream_tbPNSt15iterator_traitsISN_E10value_typeEPNST_ISO_E10value_typeEPSP_NS1_7vsmem_tEENKUlT_SN_SO_SP_E_clIPjSG_PS9_SI_EESM_S12_SN_SO_SP_EUlS12_E_NS1_11comp_targetILNS1_3genE2ELNS1_11target_archE906ELNS1_3gpuE6ELNS1_3repE0EEENS1_48merge_mergepath_partition_config_static_selectorELNS0_4arch9wavefront6targetE0EEEvSO_,"axG",@progbits,_ZN7rocprim17ROCPRIM_400000_NS6detail17trampoline_kernelINS0_14default_configENS1_38merge_sort_block_merge_config_selectorIjN6thrust23THRUST_200600_302600_NS5tupleIffNS6_9null_typeES8_S8_S8_S8_S8_S8_S8_EEEEZZNS1_27merge_sort_block_merge_implIS3_NS6_6detail15normal_iteratorINS6_10device_ptrIjEEEENSD_INSE_IS9_EEEEjNS1_19radix_merge_compareILb0ELb1EjNS0_19identity_decomposerEEEEE10hipError_tT0_T1_T2_jT3_P12ihipStream_tbPNSt15iterator_traitsISN_E10value_typeEPNST_ISO_E10value_typeEPSP_NS1_7vsmem_tEENKUlT_SN_SO_SP_E_clIPjSG_PS9_SI_EESM_S12_SN_SO_SP_EUlS12_E_NS1_11comp_targetILNS1_3genE2ELNS1_11target_archE906ELNS1_3gpuE6ELNS1_3repE0EEENS1_48merge_mergepath_partition_config_static_selectorELNS0_4arch9wavefront6targetE0EEEvSO_,comdat
	.protected	_ZN7rocprim17ROCPRIM_400000_NS6detail17trampoline_kernelINS0_14default_configENS1_38merge_sort_block_merge_config_selectorIjN6thrust23THRUST_200600_302600_NS5tupleIffNS6_9null_typeES8_S8_S8_S8_S8_S8_S8_EEEEZZNS1_27merge_sort_block_merge_implIS3_NS6_6detail15normal_iteratorINS6_10device_ptrIjEEEENSD_INSE_IS9_EEEEjNS1_19radix_merge_compareILb0ELb1EjNS0_19identity_decomposerEEEEE10hipError_tT0_T1_T2_jT3_P12ihipStream_tbPNSt15iterator_traitsISN_E10value_typeEPNST_ISO_E10value_typeEPSP_NS1_7vsmem_tEENKUlT_SN_SO_SP_E_clIPjSG_PS9_SI_EESM_S12_SN_SO_SP_EUlS12_E_NS1_11comp_targetILNS1_3genE2ELNS1_11target_archE906ELNS1_3gpuE6ELNS1_3repE0EEENS1_48merge_mergepath_partition_config_static_selectorELNS0_4arch9wavefront6targetE0EEEvSO_ ; -- Begin function _ZN7rocprim17ROCPRIM_400000_NS6detail17trampoline_kernelINS0_14default_configENS1_38merge_sort_block_merge_config_selectorIjN6thrust23THRUST_200600_302600_NS5tupleIffNS6_9null_typeES8_S8_S8_S8_S8_S8_S8_EEEEZZNS1_27merge_sort_block_merge_implIS3_NS6_6detail15normal_iteratorINS6_10device_ptrIjEEEENSD_INSE_IS9_EEEEjNS1_19radix_merge_compareILb0ELb1EjNS0_19identity_decomposerEEEEE10hipError_tT0_T1_T2_jT3_P12ihipStream_tbPNSt15iterator_traitsISN_E10value_typeEPNST_ISO_E10value_typeEPSP_NS1_7vsmem_tEENKUlT_SN_SO_SP_E_clIPjSG_PS9_SI_EESM_S12_SN_SO_SP_EUlS12_E_NS1_11comp_targetILNS1_3genE2ELNS1_11target_archE906ELNS1_3gpuE6ELNS1_3repE0EEENS1_48merge_mergepath_partition_config_static_selectorELNS0_4arch9wavefront6targetE0EEEvSO_
	.globl	_ZN7rocprim17ROCPRIM_400000_NS6detail17trampoline_kernelINS0_14default_configENS1_38merge_sort_block_merge_config_selectorIjN6thrust23THRUST_200600_302600_NS5tupleIffNS6_9null_typeES8_S8_S8_S8_S8_S8_S8_EEEEZZNS1_27merge_sort_block_merge_implIS3_NS6_6detail15normal_iteratorINS6_10device_ptrIjEEEENSD_INSE_IS9_EEEEjNS1_19radix_merge_compareILb0ELb1EjNS0_19identity_decomposerEEEEE10hipError_tT0_T1_T2_jT3_P12ihipStream_tbPNSt15iterator_traitsISN_E10value_typeEPNST_ISO_E10value_typeEPSP_NS1_7vsmem_tEENKUlT_SN_SO_SP_E_clIPjSG_PS9_SI_EESM_S12_SN_SO_SP_EUlS12_E_NS1_11comp_targetILNS1_3genE2ELNS1_11target_archE906ELNS1_3gpuE6ELNS1_3repE0EEENS1_48merge_mergepath_partition_config_static_selectorELNS0_4arch9wavefront6targetE0EEEvSO_
	.p2align	8
	.type	_ZN7rocprim17ROCPRIM_400000_NS6detail17trampoline_kernelINS0_14default_configENS1_38merge_sort_block_merge_config_selectorIjN6thrust23THRUST_200600_302600_NS5tupleIffNS6_9null_typeES8_S8_S8_S8_S8_S8_S8_EEEEZZNS1_27merge_sort_block_merge_implIS3_NS6_6detail15normal_iteratorINS6_10device_ptrIjEEEENSD_INSE_IS9_EEEEjNS1_19radix_merge_compareILb0ELb1EjNS0_19identity_decomposerEEEEE10hipError_tT0_T1_T2_jT3_P12ihipStream_tbPNSt15iterator_traitsISN_E10value_typeEPNST_ISO_E10value_typeEPSP_NS1_7vsmem_tEENKUlT_SN_SO_SP_E_clIPjSG_PS9_SI_EESM_S12_SN_SO_SP_EUlS12_E_NS1_11comp_targetILNS1_3genE2ELNS1_11target_archE906ELNS1_3gpuE6ELNS1_3repE0EEENS1_48merge_mergepath_partition_config_static_selectorELNS0_4arch9wavefront6targetE0EEEvSO_,@function
_ZN7rocprim17ROCPRIM_400000_NS6detail17trampoline_kernelINS0_14default_configENS1_38merge_sort_block_merge_config_selectorIjN6thrust23THRUST_200600_302600_NS5tupleIffNS6_9null_typeES8_S8_S8_S8_S8_S8_S8_EEEEZZNS1_27merge_sort_block_merge_implIS3_NS6_6detail15normal_iteratorINS6_10device_ptrIjEEEENSD_INSE_IS9_EEEEjNS1_19radix_merge_compareILb0ELb1EjNS0_19identity_decomposerEEEEE10hipError_tT0_T1_T2_jT3_P12ihipStream_tbPNSt15iterator_traitsISN_E10value_typeEPNST_ISO_E10value_typeEPSP_NS1_7vsmem_tEENKUlT_SN_SO_SP_E_clIPjSG_PS9_SI_EESM_S12_SN_SO_SP_EUlS12_E_NS1_11comp_targetILNS1_3genE2ELNS1_11target_archE906ELNS1_3gpuE6ELNS1_3repE0EEENS1_48merge_mergepath_partition_config_static_selectorELNS0_4arch9wavefront6targetE0EEEvSO_: ; @_ZN7rocprim17ROCPRIM_400000_NS6detail17trampoline_kernelINS0_14default_configENS1_38merge_sort_block_merge_config_selectorIjN6thrust23THRUST_200600_302600_NS5tupleIffNS6_9null_typeES8_S8_S8_S8_S8_S8_S8_EEEEZZNS1_27merge_sort_block_merge_implIS3_NS6_6detail15normal_iteratorINS6_10device_ptrIjEEEENSD_INSE_IS9_EEEEjNS1_19radix_merge_compareILb0ELb1EjNS0_19identity_decomposerEEEEE10hipError_tT0_T1_T2_jT3_P12ihipStream_tbPNSt15iterator_traitsISN_E10value_typeEPNST_ISO_E10value_typeEPSP_NS1_7vsmem_tEENKUlT_SN_SO_SP_E_clIPjSG_PS9_SI_EESM_S12_SN_SO_SP_EUlS12_E_NS1_11comp_targetILNS1_3genE2ELNS1_11target_archE906ELNS1_3gpuE6ELNS1_3repE0EEENS1_48merge_mergepath_partition_config_static_selectorELNS0_4arch9wavefront6targetE0EEEvSO_
; %bb.0:
	.section	.rodata,"a",@progbits
	.p2align	6, 0x0
	.amdhsa_kernel _ZN7rocprim17ROCPRIM_400000_NS6detail17trampoline_kernelINS0_14default_configENS1_38merge_sort_block_merge_config_selectorIjN6thrust23THRUST_200600_302600_NS5tupleIffNS6_9null_typeES8_S8_S8_S8_S8_S8_S8_EEEEZZNS1_27merge_sort_block_merge_implIS3_NS6_6detail15normal_iteratorINS6_10device_ptrIjEEEENSD_INSE_IS9_EEEEjNS1_19radix_merge_compareILb0ELb1EjNS0_19identity_decomposerEEEEE10hipError_tT0_T1_T2_jT3_P12ihipStream_tbPNSt15iterator_traitsISN_E10value_typeEPNST_ISO_E10value_typeEPSP_NS1_7vsmem_tEENKUlT_SN_SO_SP_E_clIPjSG_PS9_SI_EESM_S12_SN_SO_SP_EUlS12_E_NS1_11comp_targetILNS1_3genE2ELNS1_11target_archE906ELNS1_3gpuE6ELNS1_3repE0EEENS1_48merge_mergepath_partition_config_static_selectorELNS0_4arch9wavefront6targetE0EEEvSO_
		.amdhsa_group_segment_fixed_size 0
		.amdhsa_private_segment_fixed_size 0
		.amdhsa_kernarg_size 40
		.amdhsa_user_sgpr_count 6
		.amdhsa_user_sgpr_private_segment_buffer 1
		.amdhsa_user_sgpr_dispatch_ptr 0
		.amdhsa_user_sgpr_queue_ptr 0
		.amdhsa_user_sgpr_kernarg_segment_ptr 1
		.amdhsa_user_sgpr_dispatch_id 0
		.amdhsa_user_sgpr_flat_scratch_init 0
		.amdhsa_user_sgpr_private_segment_size 0
		.amdhsa_wavefront_size32 1
		.amdhsa_uses_dynamic_stack 0
		.amdhsa_system_sgpr_private_segment_wavefront_offset 0
		.amdhsa_system_sgpr_workgroup_id_x 1
		.amdhsa_system_sgpr_workgroup_id_y 0
		.amdhsa_system_sgpr_workgroup_id_z 0
		.amdhsa_system_sgpr_workgroup_info 0
		.amdhsa_system_vgpr_workitem_id 0
		.amdhsa_next_free_vgpr 1
		.amdhsa_next_free_sgpr 1
		.amdhsa_reserve_vcc 0
		.amdhsa_reserve_flat_scratch 0
		.amdhsa_float_round_mode_32 0
		.amdhsa_float_round_mode_16_64 0
		.amdhsa_float_denorm_mode_32 3
		.amdhsa_float_denorm_mode_16_64 3
		.amdhsa_dx10_clamp 1
		.amdhsa_ieee_mode 1
		.amdhsa_fp16_overflow 0
		.amdhsa_workgroup_processor_mode 1
		.amdhsa_memory_ordered 1
		.amdhsa_forward_progress 1
		.amdhsa_shared_vgpr_count 0
		.amdhsa_exception_fp_ieee_invalid_op 0
		.amdhsa_exception_fp_denorm_src 0
		.amdhsa_exception_fp_ieee_div_zero 0
		.amdhsa_exception_fp_ieee_overflow 0
		.amdhsa_exception_fp_ieee_underflow 0
		.amdhsa_exception_fp_ieee_inexact 0
		.amdhsa_exception_int_div_zero 0
	.end_amdhsa_kernel
	.section	.text._ZN7rocprim17ROCPRIM_400000_NS6detail17trampoline_kernelINS0_14default_configENS1_38merge_sort_block_merge_config_selectorIjN6thrust23THRUST_200600_302600_NS5tupleIffNS6_9null_typeES8_S8_S8_S8_S8_S8_S8_EEEEZZNS1_27merge_sort_block_merge_implIS3_NS6_6detail15normal_iteratorINS6_10device_ptrIjEEEENSD_INSE_IS9_EEEEjNS1_19radix_merge_compareILb0ELb1EjNS0_19identity_decomposerEEEEE10hipError_tT0_T1_T2_jT3_P12ihipStream_tbPNSt15iterator_traitsISN_E10value_typeEPNST_ISO_E10value_typeEPSP_NS1_7vsmem_tEENKUlT_SN_SO_SP_E_clIPjSG_PS9_SI_EESM_S12_SN_SO_SP_EUlS12_E_NS1_11comp_targetILNS1_3genE2ELNS1_11target_archE906ELNS1_3gpuE6ELNS1_3repE0EEENS1_48merge_mergepath_partition_config_static_selectorELNS0_4arch9wavefront6targetE0EEEvSO_,"axG",@progbits,_ZN7rocprim17ROCPRIM_400000_NS6detail17trampoline_kernelINS0_14default_configENS1_38merge_sort_block_merge_config_selectorIjN6thrust23THRUST_200600_302600_NS5tupleIffNS6_9null_typeES8_S8_S8_S8_S8_S8_S8_EEEEZZNS1_27merge_sort_block_merge_implIS3_NS6_6detail15normal_iteratorINS6_10device_ptrIjEEEENSD_INSE_IS9_EEEEjNS1_19radix_merge_compareILb0ELb1EjNS0_19identity_decomposerEEEEE10hipError_tT0_T1_T2_jT3_P12ihipStream_tbPNSt15iterator_traitsISN_E10value_typeEPNST_ISO_E10value_typeEPSP_NS1_7vsmem_tEENKUlT_SN_SO_SP_E_clIPjSG_PS9_SI_EESM_S12_SN_SO_SP_EUlS12_E_NS1_11comp_targetILNS1_3genE2ELNS1_11target_archE906ELNS1_3gpuE6ELNS1_3repE0EEENS1_48merge_mergepath_partition_config_static_selectorELNS0_4arch9wavefront6targetE0EEEvSO_,comdat
.Lfunc_end96:
	.size	_ZN7rocprim17ROCPRIM_400000_NS6detail17trampoline_kernelINS0_14default_configENS1_38merge_sort_block_merge_config_selectorIjN6thrust23THRUST_200600_302600_NS5tupleIffNS6_9null_typeES8_S8_S8_S8_S8_S8_S8_EEEEZZNS1_27merge_sort_block_merge_implIS3_NS6_6detail15normal_iteratorINS6_10device_ptrIjEEEENSD_INSE_IS9_EEEEjNS1_19radix_merge_compareILb0ELb1EjNS0_19identity_decomposerEEEEE10hipError_tT0_T1_T2_jT3_P12ihipStream_tbPNSt15iterator_traitsISN_E10value_typeEPNST_ISO_E10value_typeEPSP_NS1_7vsmem_tEENKUlT_SN_SO_SP_E_clIPjSG_PS9_SI_EESM_S12_SN_SO_SP_EUlS12_E_NS1_11comp_targetILNS1_3genE2ELNS1_11target_archE906ELNS1_3gpuE6ELNS1_3repE0EEENS1_48merge_mergepath_partition_config_static_selectorELNS0_4arch9wavefront6targetE0EEEvSO_, .Lfunc_end96-_ZN7rocprim17ROCPRIM_400000_NS6detail17trampoline_kernelINS0_14default_configENS1_38merge_sort_block_merge_config_selectorIjN6thrust23THRUST_200600_302600_NS5tupleIffNS6_9null_typeES8_S8_S8_S8_S8_S8_S8_EEEEZZNS1_27merge_sort_block_merge_implIS3_NS6_6detail15normal_iteratorINS6_10device_ptrIjEEEENSD_INSE_IS9_EEEEjNS1_19radix_merge_compareILb0ELb1EjNS0_19identity_decomposerEEEEE10hipError_tT0_T1_T2_jT3_P12ihipStream_tbPNSt15iterator_traitsISN_E10value_typeEPNST_ISO_E10value_typeEPSP_NS1_7vsmem_tEENKUlT_SN_SO_SP_E_clIPjSG_PS9_SI_EESM_S12_SN_SO_SP_EUlS12_E_NS1_11comp_targetILNS1_3genE2ELNS1_11target_archE906ELNS1_3gpuE6ELNS1_3repE0EEENS1_48merge_mergepath_partition_config_static_selectorELNS0_4arch9wavefront6targetE0EEEvSO_
                                        ; -- End function
	.set _ZN7rocprim17ROCPRIM_400000_NS6detail17trampoline_kernelINS0_14default_configENS1_38merge_sort_block_merge_config_selectorIjN6thrust23THRUST_200600_302600_NS5tupleIffNS6_9null_typeES8_S8_S8_S8_S8_S8_S8_EEEEZZNS1_27merge_sort_block_merge_implIS3_NS6_6detail15normal_iteratorINS6_10device_ptrIjEEEENSD_INSE_IS9_EEEEjNS1_19radix_merge_compareILb0ELb1EjNS0_19identity_decomposerEEEEE10hipError_tT0_T1_T2_jT3_P12ihipStream_tbPNSt15iterator_traitsISN_E10value_typeEPNST_ISO_E10value_typeEPSP_NS1_7vsmem_tEENKUlT_SN_SO_SP_E_clIPjSG_PS9_SI_EESM_S12_SN_SO_SP_EUlS12_E_NS1_11comp_targetILNS1_3genE2ELNS1_11target_archE906ELNS1_3gpuE6ELNS1_3repE0EEENS1_48merge_mergepath_partition_config_static_selectorELNS0_4arch9wavefront6targetE0EEEvSO_.num_vgpr, 0
	.set _ZN7rocprim17ROCPRIM_400000_NS6detail17trampoline_kernelINS0_14default_configENS1_38merge_sort_block_merge_config_selectorIjN6thrust23THRUST_200600_302600_NS5tupleIffNS6_9null_typeES8_S8_S8_S8_S8_S8_S8_EEEEZZNS1_27merge_sort_block_merge_implIS3_NS6_6detail15normal_iteratorINS6_10device_ptrIjEEEENSD_INSE_IS9_EEEEjNS1_19radix_merge_compareILb0ELb1EjNS0_19identity_decomposerEEEEE10hipError_tT0_T1_T2_jT3_P12ihipStream_tbPNSt15iterator_traitsISN_E10value_typeEPNST_ISO_E10value_typeEPSP_NS1_7vsmem_tEENKUlT_SN_SO_SP_E_clIPjSG_PS9_SI_EESM_S12_SN_SO_SP_EUlS12_E_NS1_11comp_targetILNS1_3genE2ELNS1_11target_archE906ELNS1_3gpuE6ELNS1_3repE0EEENS1_48merge_mergepath_partition_config_static_selectorELNS0_4arch9wavefront6targetE0EEEvSO_.num_agpr, 0
	.set _ZN7rocprim17ROCPRIM_400000_NS6detail17trampoline_kernelINS0_14default_configENS1_38merge_sort_block_merge_config_selectorIjN6thrust23THRUST_200600_302600_NS5tupleIffNS6_9null_typeES8_S8_S8_S8_S8_S8_S8_EEEEZZNS1_27merge_sort_block_merge_implIS3_NS6_6detail15normal_iteratorINS6_10device_ptrIjEEEENSD_INSE_IS9_EEEEjNS1_19radix_merge_compareILb0ELb1EjNS0_19identity_decomposerEEEEE10hipError_tT0_T1_T2_jT3_P12ihipStream_tbPNSt15iterator_traitsISN_E10value_typeEPNST_ISO_E10value_typeEPSP_NS1_7vsmem_tEENKUlT_SN_SO_SP_E_clIPjSG_PS9_SI_EESM_S12_SN_SO_SP_EUlS12_E_NS1_11comp_targetILNS1_3genE2ELNS1_11target_archE906ELNS1_3gpuE6ELNS1_3repE0EEENS1_48merge_mergepath_partition_config_static_selectorELNS0_4arch9wavefront6targetE0EEEvSO_.numbered_sgpr, 0
	.set _ZN7rocprim17ROCPRIM_400000_NS6detail17trampoline_kernelINS0_14default_configENS1_38merge_sort_block_merge_config_selectorIjN6thrust23THRUST_200600_302600_NS5tupleIffNS6_9null_typeES8_S8_S8_S8_S8_S8_S8_EEEEZZNS1_27merge_sort_block_merge_implIS3_NS6_6detail15normal_iteratorINS6_10device_ptrIjEEEENSD_INSE_IS9_EEEEjNS1_19radix_merge_compareILb0ELb1EjNS0_19identity_decomposerEEEEE10hipError_tT0_T1_T2_jT3_P12ihipStream_tbPNSt15iterator_traitsISN_E10value_typeEPNST_ISO_E10value_typeEPSP_NS1_7vsmem_tEENKUlT_SN_SO_SP_E_clIPjSG_PS9_SI_EESM_S12_SN_SO_SP_EUlS12_E_NS1_11comp_targetILNS1_3genE2ELNS1_11target_archE906ELNS1_3gpuE6ELNS1_3repE0EEENS1_48merge_mergepath_partition_config_static_selectorELNS0_4arch9wavefront6targetE0EEEvSO_.num_named_barrier, 0
	.set _ZN7rocprim17ROCPRIM_400000_NS6detail17trampoline_kernelINS0_14default_configENS1_38merge_sort_block_merge_config_selectorIjN6thrust23THRUST_200600_302600_NS5tupleIffNS6_9null_typeES8_S8_S8_S8_S8_S8_S8_EEEEZZNS1_27merge_sort_block_merge_implIS3_NS6_6detail15normal_iteratorINS6_10device_ptrIjEEEENSD_INSE_IS9_EEEEjNS1_19radix_merge_compareILb0ELb1EjNS0_19identity_decomposerEEEEE10hipError_tT0_T1_T2_jT3_P12ihipStream_tbPNSt15iterator_traitsISN_E10value_typeEPNST_ISO_E10value_typeEPSP_NS1_7vsmem_tEENKUlT_SN_SO_SP_E_clIPjSG_PS9_SI_EESM_S12_SN_SO_SP_EUlS12_E_NS1_11comp_targetILNS1_3genE2ELNS1_11target_archE906ELNS1_3gpuE6ELNS1_3repE0EEENS1_48merge_mergepath_partition_config_static_selectorELNS0_4arch9wavefront6targetE0EEEvSO_.private_seg_size, 0
	.set _ZN7rocprim17ROCPRIM_400000_NS6detail17trampoline_kernelINS0_14default_configENS1_38merge_sort_block_merge_config_selectorIjN6thrust23THRUST_200600_302600_NS5tupleIffNS6_9null_typeES8_S8_S8_S8_S8_S8_S8_EEEEZZNS1_27merge_sort_block_merge_implIS3_NS6_6detail15normal_iteratorINS6_10device_ptrIjEEEENSD_INSE_IS9_EEEEjNS1_19radix_merge_compareILb0ELb1EjNS0_19identity_decomposerEEEEE10hipError_tT0_T1_T2_jT3_P12ihipStream_tbPNSt15iterator_traitsISN_E10value_typeEPNST_ISO_E10value_typeEPSP_NS1_7vsmem_tEENKUlT_SN_SO_SP_E_clIPjSG_PS9_SI_EESM_S12_SN_SO_SP_EUlS12_E_NS1_11comp_targetILNS1_3genE2ELNS1_11target_archE906ELNS1_3gpuE6ELNS1_3repE0EEENS1_48merge_mergepath_partition_config_static_selectorELNS0_4arch9wavefront6targetE0EEEvSO_.uses_vcc, 0
	.set _ZN7rocprim17ROCPRIM_400000_NS6detail17trampoline_kernelINS0_14default_configENS1_38merge_sort_block_merge_config_selectorIjN6thrust23THRUST_200600_302600_NS5tupleIffNS6_9null_typeES8_S8_S8_S8_S8_S8_S8_EEEEZZNS1_27merge_sort_block_merge_implIS3_NS6_6detail15normal_iteratorINS6_10device_ptrIjEEEENSD_INSE_IS9_EEEEjNS1_19radix_merge_compareILb0ELb1EjNS0_19identity_decomposerEEEEE10hipError_tT0_T1_T2_jT3_P12ihipStream_tbPNSt15iterator_traitsISN_E10value_typeEPNST_ISO_E10value_typeEPSP_NS1_7vsmem_tEENKUlT_SN_SO_SP_E_clIPjSG_PS9_SI_EESM_S12_SN_SO_SP_EUlS12_E_NS1_11comp_targetILNS1_3genE2ELNS1_11target_archE906ELNS1_3gpuE6ELNS1_3repE0EEENS1_48merge_mergepath_partition_config_static_selectorELNS0_4arch9wavefront6targetE0EEEvSO_.uses_flat_scratch, 0
	.set _ZN7rocprim17ROCPRIM_400000_NS6detail17trampoline_kernelINS0_14default_configENS1_38merge_sort_block_merge_config_selectorIjN6thrust23THRUST_200600_302600_NS5tupleIffNS6_9null_typeES8_S8_S8_S8_S8_S8_S8_EEEEZZNS1_27merge_sort_block_merge_implIS3_NS6_6detail15normal_iteratorINS6_10device_ptrIjEEEENSD_INSE_IS9_EEEEjNS1_19radix_merge_compareILb0ELb1EjNS0_19identity_decomposerEEEEE10hipError_tT0_T1_T2_jT3_P12ihipStream_tbPNSt15iterator_traitsISN_E10value_typeEPNST_ISO_E10value_typeEPSP_NS1_7vsmem_tEENKUlT_SN_SO_SP_E_clIPjSG_PS9_SI_EESM_S12_SN_SO_SP_EUlS12_E_NS1_11comp_targetILNS1_3genE2ELNS1_11target_archE906ELNS1_3gpuE6ELNS1_3repE0EEENS1_48merge_mergepath_partition_config_static_selectorELNS0_4arch9wavefront6targetE0EEEvSO_.has_dyn_sized_stack, 0
	.set _ZN7rocprim17ROCPRIM_400000_NS6detail17trampoline_kernelINS0_14default_configENS1_38merge_sort_block_merge_config_selectorIjN6thrust23THRUST_200600_302600_NS5tupleIffNS6_9null_typeES8_S8_S8_S8_S8_S8_S8_EEEEZZNS1_27merge_sort_block_merge_implIS3_NS6_6detail15normal_iteratorINS6_10device_ptrIjEEEENSD_INSE_IS9_EEEEjNS1_19radix_merge_compareILb0ELb1EjNS0_19identity_decomposerEEEEE10hipError_tT0_T1_T2_jT3_P12ihipStream_tbPNSt15iterator_traitsISN_E10value_typeEPNST_ISO_E10value_typeEPSP_NS1_7vsmem_tEENKUlT_SN_SO_SP_E_clIPjSG_PS9_SI_EESM_S12_SN_SO_SP_EUlS12_E_NS1_11comp_targetILNS1_3genE2ELNS1_11target_archE906ELNS1_3gpuE6ELNS1_3repE0EEENS1_48merge_mergepath_partition_config_static_selectorELNS0_4arch9wavefront6targetE0EEEvSO_.has_recursion, 0
	.set _ZN7rocprim17ROCPRIM_400000_NS6detail17trampoline_kernelINS0_14default_configENS1_38merge_sort_block_merge_config_selectorIjN6thrust23THRUST_200600_302600_NS5tupleIffNS6_9null_typeES8_S8_S8_S8_S8_S8_S8_EEEEZZNS1_27merge_sort_block_merge_implIS3_NS6_6detail15normal_iteratorINS6_10device_ptrIjEEEENSD_INSE_IS9_EEEEjNS1_19radix_merge_compareILb0ELb1EjNS0_19identity_decomposerEEEEE10hipError_tT0_T1_T2_jT3_P12ihipStream_tbPNSt15iterator_traitsISN_E10value_typeEPNST_ISO_E10value_typeEPSP_NS1_7vsmem_tEENKUlT_SN_SO_SP_E_clIPjSG_PS9_SI_EESM_S12_SN_SO_SP_EUlS12_E_NS1_11comp_targetILNS1_3genE2ELNS1_11target_archE906ELNS1_3gpuE6ELNS1_3repE0EEENS1_48merge_mergepath_partition_config_static_selectorELNS0_4arch9wavefront6targetE0EEEvSO_.has_indirect_call, 0
	.section	.AMDGPU.csdata,"",@progbits
; Kernel info:
; codeLenInByte = 0
; TotalNumSgprs: 0
; NumVgprs: 0
; ScratchSize: 0
; MemoryBound: 0
; FloatMode: 240
; IeeeMode: 1
; LDSByteSize: 0 bytes/workgroup (compile time only)
; SGPRBlocks: 0
; VGPRBlocks: 0
; NumSGPRsForWavesPerEU: 1
; NumVGPRsForWavesPerEU: 1
; Occupancy: 16
; WaveLimiterHint : 0
; COMPUTE_PGM_RSRC2:SCRATCH_EN: 0
; COMPUTE_PGM_RSRC2:USER_SGPR: 6
; COMPUTE_PGM_RSRC2:TRAP_HANDLER: 0
; COMPUTE_PGM_RSRC2:TGID_X_EN: 1
; COMPUTE_PGM_RSRC2:TGID_Y_EN: 0
; COMPUTE_PGM_RSRC2:TGID_Z_EN: 0
; COMPUTE_PGM_RSRC2:TIDIG_COMP_CNT: 0
	.section	.text._ZN7rocprim17ROCPRIM_400000_NS6detail17trampoline_kernelINS0_14default_configENS1_38merge_sort_block_merge_config_selectorIjN6thrust23THRUST_200600_302600_NS5tupleIffNS6_9null_typeES8_S8_S8_S8_S8_S8_S8_EEEEZZNS1_27merge_sort_block_merge_implIS3_NS6_6detail15normal_iteratorINS6_10device_ptrIjEEEENSD_INSE_IS9_EEEEjNS1_19radix_merge_compareILb0ELb1EjNS0_19identity_decomposerEEEEE10hipError_tT0_T1_T2_jT3_P12ihipStream_tbPNSt15iterator_traitsISN_E10value_typeEPNST_ISO_E10value_typeEPSP_NS1_7vsmem_tEENKUlT_SN_SO_SP_E_clIPjSG_PS9_SI_EESM_S12_SN_SO_SP_EUlS12_E_NS1_11comp_targetILNS1_3genE9ELNS1_11target_archE1100ELNS1_3gpuE3ELNS1_3repE0EEENS1_48merge_mergepath_partition_config_static_selectorELNS0_4arch9wavefront6targetE0EEEvSO_,"axG",@progbits,_ZN7rocprim17ROCPRIM_400000_NS6detail17trampoline_kernelINS0_14default_configENS1_38merge_sort_block_merge_config_selectorIjN6thrust23THRUST_200600_302600_NS5tupleIffNS6_9null_typeES8_S8_S8_S8_S8_S8_S8_EEEEZZNS1_27merge_sort_block_merge_implIS3_NS6_6detail15normal_iteratorINS6_10device_ptrIjEEEENSD_INSE_IS9_EEEEjNS1_19radix_merge_compareILb0ELb1EjNS0_19identity_decomposerEEEEE10hipError_tT0_T1_T2_jT3_P12ihipStream_tbPNSt15iterator_traitsISN_E10value_typeEPNST_ISO_E10value_typeEPSP_NS1_7vsmem_tEENKUlT_SN_SO_SP_E_clIPjSG_PS9_SI_EESM_S12_SN_SO_SP_EUlS12_E_NS1_11comp_targetILNS1_3genE9ELNS1_11target_archE1100ELNS1_3gpuE3ELNS1_3repE0EEENS1_48merge_mergepath_partition_config_static_selectorELNS0_4arch9wavefront6targetE0EEEvSO_,comdat
	.protected	_ZN7rocprim17ROCPRIM_400000_NS6detail17trampoline_kernelINS0_14default_configENS1_38merge_sort_block_merge_config_selectorIjN6thrust23THRUST_200600_302600_NS5tupleIffNS6_9null_typeES8_S8_S8_S8_S8_S8_S8_EEEEZZNS1_27merge_sort_block_merge_implIS3_NS6_6detail15normal_iteratorINS6_10device_ptrIjEEEENSD_INSE_IS9_EEEEjNS1_19radix_merge_compareILb0ELb1EjNS0_19identity_decomposerEEEEE10hipError_tT0_T1_T2_jT3_P12ihipStream_tbPNSt15iterator_traitsISN_E10value_typeEPNST_ISO_E10value_typeEPSP_NS1_7vsmem_tEENKUlT_SN_SO_SP_E_clIPjSG_PS9_SI_EESM_S12_SN_SO_SP_EUlS12_E_NS1_11comp_targetILNS1_3genE9ELNS1_11target_archE1100ELNS1_3gpuE3ELNS1_3repE0EEENS1_48merge_mergepath_partition_config_static_selectorELNS0_4arch9wavefront6targetE0EEEvSO_ ; -- Begin function _ZN7rocprim17ROCPRIM_400000_NS6detail17trampoline_kernelINS0_14default_configENS1_38merge_sort_block_merge_config_selectorIjN6thrust23THRUST_200600_302600_NS5tupleIffNS6_9null_typeES8_S8_S8_S8_S8_S8_S8_EEEEZZNS1_27merge_sort_block_merge_implIS3_NS6_6detail15normal_iteratorINS6_10device_ptrIjEEEENSD_INSE_IS9_EEEEjNS1_19radix_merge_compareILb0ELb1EjNS0_19identity_decomposerEEEEE10hipError_tT0_T1_T2_jT3_P12ihipStream_tbPNSt15iterator_traitsISN_E10value_typeEPNST_ISO_E10value_typeEPSP_NS1_7vsmem_tEENKUlT_SN_SO_SP_E_clIPjSG_PS9_SI_EESM_S12_SN_SO_SP_EUlS12_E_NS1_11comp_targetILNS1_3genE9ELNS1_11target_archE1100ELNS1_3gpuE3ELNS1_3repE0EEENS1_48merge_mergepath_partition_config_static_selectorELNS0_4arch9wavefront6targetE0EEEvSO_
	.globl	_ZN7rocprim17ROCPRIM_400000_NS6detail17trampoline_kernelINS0_14default_configENS1_38merge_sort_block_merge_config_selectorIjN6thrust23THRUST_200600_302600_NS5tupleIffNS6_9null_typeES8_S8_S8_S8_S8_S8_S8_EEEEZZNS1_27merge_sort_block_merge_implIS3_NS6_6detail15normal_iteratorINS6_10device_ptrIjEEEENSD_INSE_IS9_EEEEjNS1_19radix_merge_compareILb0ELb1EjNS0_19identity_decomposerEEEEE10hipError_tT0_T1_T2_jT3_P12ihipStream_tbPNSt15iterator_traitsISN_E10value_typeEPNST_ISO_E10value_typeEPSP_NS1_7vsmem_tEENKUlT_SN_SO_SP_E_clIPjSG_PS9_SI_EESM_S12_SN_SO_SP_EUlS12_E_NS1_11comp_targetILNS1_3genE9ELNS1_11target_archE1100ELNS1_3gpuE3ELNS1_3repE0EEENS1_48merge_mergepath_partition_config_static_selectorELNS0_4arch9wavefront6targetE0EEEvSO_
	.p2align	8
	.type	_ZN7rocprim17ROCPRIM_400000_NS6detail17trampoline_kernelINS0_14default_configENS1_38merge_sort_block_merge_config_selectorIjN6thrust23THRUST_200600_302600_NS5tupleIffNS6_9null_typeES8_S8_S8_S8_S8_S8_S8_EEEEZZNS1_27merge_sort_block_merge_implIS3_NS6_6detail15normal_iteratorINS6_10device_ptrIjEEEENSD_INSE_IS9_EEEEjNS1_19radix_merge_compareILb0ELb1EjNS0_19identity_decomposerEEEEE10hipError_tT0_T1_T2_jT3_P12ihipStream_tbPNSt15iterator_traitsISN_E10value_typeEPNST_ISO_E10value_typeEPSP_NS1_7vsmem_tEENKUlT_SN_SO_SP_E_clIPjSG_PS9_SI_EESM_S12_SN_SO_SP_EUlS12_E_NS1_11comp_targetILNS1_3genE9ELNS1_11target_archE1100ELNS1_3gpuE3ELNS1_3repE0EEENS1_48merge_mergepath_partition_config_static_selectorELNS0_4arch9wavefront6targetE0EEEvSO_,@function
_ZN7rocprim17ROCPRIM_400000_NS6detail17trampoline_kernelINS0_14default_configENS1_38merge_sort_block_merge_config_selectorIjN6thrust23THRUST_200600_302600_NS5tupleIffNS6_9null_typeES8_S8_S8_S8_S8_S8_S8_EEEEZZNS1_27merge_sort_block_merge_implIS3_NS6_6detail15normal_iteratorINS6_10device_ptrIjEEEENSD_INSE_IS9_EEEEjNS1_19radix_merge_compareILb0ELb1EjNS0_19identity_decomposerEEEEE10hipError_tT0_T1_T2_jT3_P12ihipStream_tbPNSt15iterator_traitsISN_E10value_typeEPNST_ISO_E10value_typeEPSP_NS1_7vsmem_tEENKUlT_SN_SO_SP_E_clIPjSG_PS9_SI_EESM_S12_SN_SO_SP_EUlS12_E_NS1_11comp_targetILNS1_3genE9ELNS1_11target_archE1100ELNS1_3gpuE3ELNS1_3repE0EEENS1_48merge_mergepath_partition_config_static_selectorELNS0_4arch9wavefront6targetE0EEEvSO_: ; @_ZN7rocprim17ROCPRIM_400000_NS6detail17trampoline_kernelINS0_14default_configENS1_38merge_sort_block_merge_config_selectorIjN6thrust23THRUST_200600_302600_NS5tupleIffNS6_9null_typeES8_S8_S8_S8_S8_S8_S8_EEEEZZNS1_27merge_sort_block_merge_implIS3_NS6_6detail15normal_iteratorINS6_10device_ptrIjEEEENSD_INSE_IS9_EEEEjNS1_19radix_merge_compareILb0ELb1EjNS0_19identity_decomposerEEEEE10hipError_tT0_T1_T2_jT3_P12ihipStream_tbPNSt15iterator_traitsISN_E10value_typeEPNST_ISO_E10value_typeEPSP_NS1_7vsmem_tEENKUlT_SN_SO_SP_E_clIPjSG_PS9_SI_EESM_S12_SN_SO_SP_EUlS12_E_NS1_11comp_targetILNS1_3genE9ELNS1_11target_archE1100ELNS1_3gpuE3ELNS1_3repE0EEENS1_48merge_mergepath_partition_config_static_selectorELNS0_4arch9wavefront6targetE0EEEvSO_
; %bb.0:
	.section	.rodata,"a",@progbits
	.p2align	6, 0x0
	.amdhsa_kernel _ZN7rocprim17ROCPRIM_400000_NS6detail17trampoline_kernelINS0_14default_configENS1_38merge_sort_block_merge_config_selectorIjN6thrust23THRUST_200600_302600_NS5tupleIffNS6_9null_typeES8_S8_S8_S8_S8_S8_S8_EEEEZZNS1_27merge_sort_block_merge_implIS3_NS6_6detail15normal_iteratorINS6_10device_ptrIjEEEENSD_INSE_IS9_EEEEjNS1_19radix_merge_compareILb0ELb1EjNS0_19identity_decomposerEEEEE10hipError_tT0_T1_T2_jT3_P12ihipStream_tbPNSt15iterator_traitsISN_E10value_typeEPNST_ISO_E10value_typeEPSP_NS1_7vsmem_tEENKUlT_SN_SO_SP_E_clIPjSG_PS9_SI_EESM_S12_SN_SO_SP_EUlS12_E_NS1_11comp_targetILNS1_3genE9ELNS1_11target_archE1100ELNS1_3gpuE3ELNS1_3repE0EEENS1_48merge_mergepath_partition_config_static_selectorELNS0_4arch9wavefront6targetE0EEEvSO_
		.amdhsa_group_segment_fixed_size 0
		.amdhsa_private_segment_fixed_size 0
		.amdhsa_kernarg_size 40
		.amdhsa_user_sgpr_count 6
		.amdhsa_user_sgpr_private_segment_buffer 1
		.amdhsa_user_sgpr_dispatch_ptr 0
		.amdhsa_user_sgpr_queue_ptr 0
		.amdhsa_user_sgpr_kernarg_segment_ptr 1
		.amdhsa_user_sgpr_dispatch_id 0
		.amdhsa_user_sgpr_flat_scratch_init 0
		.amdhsa_user_sgpr_private_segment_size 0
		.amdhsa_wavefront_size32 1
		.amdhsa_uses_dynamic_stack 0
		.amdhsa_system_sgpr_private_segment_wavefront_offset 0
		.amdhsa_system_sgpr_workgroup_id_x 1
		.amdhsa_system_sgpr_workgroup_id_y 0
		.amdhsa_system_sgpr_workgroup_id_z 0
		.amdhsa_system_sgpr_workgroup_info 0
		.amdhsa_system_vgpr_workitem_id 0
		.amdhsa_next_free_vgpr 1
		.amdhsa_next_free_sgpr 1
		.amdhsa_reserve_vcc 0
		.amdhsa_reserve_flat_scratch 0
		.amdhsa_float_round_mode_32 0
		.amdhsa_float_round_mode_16_64 0
		.amdhsa_float_denorm_mode_32 3
		.amdhsa_float_denorm_mode_16_64 3
		.amdhsa_dx10_clamp 1
		.amdhsa_ieee_mode 1
		.amdhsa_fp16_overflow 0
		.amdhsa_workgroup_processor_mode 1
		.amdhsa_memory_ordered 1
		.amdhsa_forward_progress 1
		.amdhsa_shared_vgpr_count 0
		.amdhsa_exception_fp_ieee_invalid_op 0
		.amdhsa_exception_fp_denorm_src 0
		.amdhsa_exception_fp_ieee_div_zero 0
		.amdhsa_exception_fp_ieee_overflow 0
		.amdhsa_exception_fp_ieee_underflow 0
		.amdhsa_exception_fp_ieee_inexact 0
		.amdhsa_exception_int_div_zero 0
	.end_amdhsa_kernel
	.section	.text._ZN7rocprim17ROCPRIM_400000_NS6detail17trampoline_kernelINS0_14default_configENS1_38merge_sort_block_merge_config_selectorIjN6thrust23THRUST_200600_302600_NS5tupleIffNS6_9null_typeES8_S8_S8_S8_S8_S8_S8_EEEEZZNS1_27merge_sort_block_merge_implIS3_NS6_6detail15normal_iteratorINS6_10device_ptrIjEEEENSD_INSE_IS9_EEEEjNS1_19radix_merge_compareILb0ELb1EjNS0_19identity_decomposerEEEEE10hipError_tT0_T1_T2_jT3_P12ihipStream_tbPNSt15iterator_traitsISN_E10value_typeEPNST_ISO_E10value_typeEPSP_NS1_7vsmem_tEENKUlT_SN_SO_SP_E_clIPjSG_PS9_SI_EESM_S12_SN_SO_SP_EUlS12_E_NS1_11comp_targetILNS1_3genE9ELNS1_11target_archE1100ELNS1_3gpuE3ELNS1_3repE0EEENS1_48merge_mergepath_partition_config_static_selectorELNS0_4arch9wavefront6targetE0EEEvSO_,"axG",@progbits,_ZN7rocprim17ROCPRIM_400000_NS6detail17trampoline_kernelINS0_14default_configENS1_38merge_sort_block_merge_config_selectorIjN6thrust23THRUST_200600_302600_NS5tupleIffNS6_9null_typeES8_S8_S8_S8_S8_S8_S8_EEEEZZNS1_27merge_sort_block_merge_implIS3_NS6_6detail15normal_iteratorINS6_10device_ptrIjEEEENSD_INSE_IS9_EEEEjNS1_19radix_merge_compareILb0ELb1EjNS0_19identity_decomposerEEEEE10hipError_tT0_T1_T2_jT3_P12ihipStream_tbPNSt15iterator_traitsISN_E10value_typeEPNST_ISO_E10value_typeEPSP_NS1_7vsmem_tEENKUlT_SN_SO_SP_E_clIPjSG_PS9_SI_EESM_S12_SN_SO_SP_EUlS12_E_NS1_11comp_targetILNS1_3genE9ELNS1_11target_archE1100ELNS1_3gpuE3ELNS1_3repE0EEENS1_48merge_mergepath_partition_config_static_selectorELNS0_4arch9wavefront6targetE0EEEvSO_,comdat
.Lfunc_end97:
	.size	_ZN7rocprim17ROCPRIM_400000_NS6detail17trampoline_kernelINS0_14default_configENS1_38merge_sort_block_merge_config_selectorIjN6thrust23THRUST_200600_302600_NS5tupleIffNS6_9null_typeES8_S8_S8_S8_S8_S8_S8_EEEEZZNS1_27merge_sort_block_merge_implIS3_NS6_6detail15normal_iteratorINS6_10device_ptrIjEEEENSD_INSE_IS9_EEEEjNS1_19radix_merge_compareILb0ELb1EjNS0_19identity_decomposerEEEEE10hipError_tT0_T1_T2_jT3_P12ihipStream_tbPNSt15iterator_traitsISN_E10value_typeEPNST_ISO_E10value_typeEPSP_NS1_7vsmem_tEENKUlT_SN_SO_SP_E_clIPjSG_PS9_SI_EESM_S12_SN_SO_SP_EUlS12_E_NS1_11comp_targetILNS1_3genE9ELNS1_11target_archE1100ELNS1_3gpuE3ELNS1_3repE0EEENS1_48merge_mergepath_partition_config_static_selectorELNS0_4arch9wavefront6targetE0EEEvSO_, .Lfunc_end97-_ZN7rocprim17ROCPRIM_400000_NS6detail17trampoline_kernelINS0_14default_configENS1_38merge_sort_block_merge_config_selectorIjN6thrust23THRUST_200600_302600_NS5tupleIffNS6_9null_typeES8_S8_S8_S8_S8_S8_S8_EEEEZZNS1_27merge_sort_block_merge_implIS3_NS6_6detail15normal_iteratorINS6_10device_ptrIjEEEENSD_INSE_IS9_EEEEjNS1_19radix_merge_compareILb0ELb1EjNS0_19identity_decomposerEEEEE10hipError_tT0_T1_T2_jT3_P12ihipStream_tbPNSt15iterator_traitsISN_E10value_typeEPNST_ISO_E10value_typeEPSP_NS1_7vsmem_tEENKUlT_SN_SO_SP_E_clIPjSG_PS9_SI_EESM_S12_SN_SO_SP_EUlS12_E_NS1_11comp_targetILNS1_3genE9ELNS1_11target_archE1100ELNS1_3gpuE3ELNS1_3repE0EEENS1_48merge_mergepath_partition_config_static_selectorELNS0_4arch9wavefront6targetE0EEEvSO_
                                        ; -- End function
	.set _ZN7rocprim17ROCPRIM_400000_NS6detail17trampoline_kernelINS0_14default_configENS1_38merge_sort_block_merge_config_selectorIjN6thrust23THRUST_200600_302600_NS5tupleIffNS6_9null_typeES8_S8_S8_S8_S8_S8_S8_EEEEZZNS1_27merge_sort_block_merge_implIS3_NS6_6detail15normal_iteratorINS6_10device_ptrIjEEEENSD_INSE_IS9_EEEEjNS1_19radix_merge_compareILb0ELb1EjNS0_19identity_decomposerEEEEE10hipError_tT0_T1_T2_jT3_P12ihipStream_tbPNSt15iterator_traitsISN_E10value_typeEPNST_ISO_E10value_typeEPSP_NS1_7vsmem_tEENKUlT_SN_SO_SP_E_clIPjSG_PS9_SI_EESM_S12_SN_SO_SP_EUlS12_E_NS1_11comp_targetILNS1_3genE9ELNS1_11target_archE1100ELNS1_3gpuE3ELNS1_3repE0EEENS1_48merge_mergepath_partition_config_static_selectorELNS0_4arch9wavefront6targetE0EEEvSO_.num_vgpr, 0
	.set _ZN7rocprim17ROCPRIM_400000_NS6detail17trampoline_kernelINS0_14default_configENS1_38merge_sort_block_merge_config_selectorIjN6thrust23THRUST_200600_302600_NS5tupleIffNS6_9null_typeES8_S8_S8_S8_S8_S8_S8_EEEEZZNS1_27merge_sort_block_merge_implIS3_NS6_6detail15normal_iteratorINS6_10device_ptrIjEEEENSD_INSE_IS9_EEEEjNS1_19radix_merge_compareILb0ELb1EjNS0_19identity_decomposerEEEEE10hipError_tT0_T1_T2_jT3_P12ihipStream_tbPNSt15iterator_traitsISN_E10value_typeEPNST_ISO_E10value_typeEPSP_NS1_7vsmem_tEENKUlT_SN_SO_SP_E_clIPjSG_PS9_SI_EESM_S12_SN_SO_SP_EUlS12_E_NS1_11comp_targetILNS1_3genE9ELNS1_11target_archE1100ELNS1_3gpuE3ELNS1_3repE0EEENS1_48merge_mergepath_partition_config_static_selectorELNS0_4arch9wavefront6targetE0EEEvSO_.num_agpr, 0
	.set _ZN7rocprim17ROCPRIM_400000_NS6detail17trampoline_kernelINS0_14default_configENS1_38merge_sort_block_merge_config_selectorIjN6thrust23THRUST_200600_302600_NS5tupleIffNS6_9null_typeES8_S8_S8_S8_S8_S8_S8_EEEEZZNS1_27merge_sort_block_merge_implIS3_NS6_6detail15normal_iteratorINS6_10device_ptrIjEEEENSD_INSE_IS9_EEEEjNS1_19radix_merge_compareILb0ELb1EjNS0_19identity_decomposerEEEEE10hipError_tT0_T1_T2_jT3_P12ihipStream_tbPNSt15iterator_traitsISN_E10value_typeEPNST_ISO_E10value_typeEPSP_NS1_7vsmem_tEENKUlT_SN_SO_SP_E_clIPjSG_PS9_SI_EESM_S12_SN_SO_SP_EUlS12_E_NS1_11comp_targetILNS1_3genE9ELNS1_11target_archE1100ELNS1_3gpuE3ELNS1_3repE0EEENS1_48merge_mergepath_partition_config_static_selectorELNS0_4arch9wavefront6targetE0EEEvSO_.numbered_sgpr, 0
	.set _ZN7rocprim17ROCPRIM_400000_NS6detail17trampoline_kernelINS0_14default_configENS1_38merge_sort_block_merge_config_selectorIjN6thrust23THRUST_200600_302600_NS5tupleIffNS6_9null_typeES8_S8_S8_S8_S8_S8_S8_EEEEZZNS1_27merge_sort_block_merge_implIS3_NS6_6detail15normal_iteratorINS6_10device_ptrIjEEEENSD_INSE_IS9_EEEEjNS1_19radix_merge_compareILb0ELb1EjNS0_19identity_decomposerEEEEE10hipError_tT0_T1_T2_jT3_P12ihipStream_tbPNSt15iterator_traitsISN_E10value_typeEPNST_ISO_E10value_typeEPSP_NS1_7vsmem_tEENKUlT_SN_SO_SP_E_clIPjSG_PS9_SI_EESM_S12_SN_SO_SP_EUlS12_E_NS1_11comp_targetILNS1_3genE9ELNS1_11target_archE1100ELNS1_3gpuE3ELNS1_3repE0EEENS1_48merge_mergepath_partition_config_static_selectorELNS0_4arch9wavefront6targetE0EEEvSO_.num_named_barrier, 0
	.set _ZN7rocprim17ROCPRIM_400000_NS6detail17trampoline_kernelINS0_14default_configENS1_38merge_sort_block_merge_config_selectorIjN6thrust23THRUST_200600_302600_NS5tupleIffNS6_9null_typeES8_S8_S8_S8_S8_S8_S8_EEEEZZNS1_27merge_sort_block_merge_implIS3_NS6_6detail15normal_iteratorINS6_10device_ptrIjEEEENSD_INSE_IS9_EEEEjNS1_19radix_merge_compareILb0ELb1EjNS0_19identity_decomposerEEEEE10hipError_tT0_T1_T2_jT3_P12ihipStream_tbPNSt15iterator_traitsISN_E10value_typeEPNST_ISO_E10value_typeEPSP_NS1_7vsmem_tEENKUlT_SN_SO_SP_E_clIPjSG_PS9_SI_EESM_S12_SN_SO_SP_EUlS12_E_NS1_11comp_targetILNS1_3genE9ELNS1_11target_archE1100ELNS1_3gpuE3ELNS1_3repE0EEENS1_48merge_mergepath_partition_config_static_selectorELNS0_4arch9wavefront6targetE0EEEvSO_.private_seg_size, 0
	.set _ZN7rocprim17ROCPRIM_400000_NS6detail17trampoline_kernelINS0_14default_configENS1_38merge_sort_block_merge_config_selectorIjN6thrust23THRUST_200600_302600_NS5tupleIffNS6_9null_typeES8_S8_S8_S8_S8_S8_S8_EEEEZZNS1_27merge_sort_block_merge_implIS3_NS6_6detail15normal_iteratorINS6_10device_ptrIjEEEENSD_INSE_IS9_EEEEjNS1_19radix_merge_compareILb0ELb1EjNS0_19identity_decomposerEEEEE10hipError_tT0_T1_T2_jT3_P12ihipStream_tbPNSt15iterator_traitsISN_E10value_typeEPNST_ISO_E10value_typeEPSP_NS1_7vsmem_tEENKUlT_SN_SO_SP_E_clIPjSG_PS9_SI_EESM_S12_SN_SO_SP_EUlS12_E_NS1_11comp_targetILNS1_3genE9ELNS1_11target_archE1100ELNS1_3gpuE3ELNS1_3repE0EEENS1_48merge_mergepath_partition_config_static_selectorELNS0_4arch9wavefront6targetE0EEEvSO_.uses_vcc, 0
	.set _ZN7rocprim17ROCPRIM_400000_NS6detail17trampoline_kernelINS0_14default_configENS1_38merge_sort_block_merge_config_selectorIjN6thrust23THRUST_200600_302600_NS5tupleIffNS6_9null_typeES8_S8_S8_S8_S8_S8_S8_EEEEZZNS1_27merge_sort_block_merge_implIS3_NS6_6detail15normal_iteratorINS6_10device_ptrIjEEEENSD_INSE_IS9_EEEEjNS1_19radix_merge_compareILb0ELb1EjNS0_19identity_decomposerEEEEE10hipError_tT0_T1_T2_jT3_P12ihipStream_tbPNSt15iterator_traitsISN_E10value_typeEPNST_ISO_E10value_typeEPSP_NS1_7vsmem_tEENKUlT_SN_SO_SP_E_clIPjSG_PS9_SI_EESM_S12_SN_SO_SP_EUlS12_E_NS1_11comp_targetILNS1_3genE9ELNS1_11target_archE1100ELNS1_3gpuE3ELNS1_3repE0EEENS1_48merge_mergepath_partition_config_static_selectorELNS0_4arch9wavefront6targetE0EEEvSO_.uses_flat_scratch, 0
	.set _ZN7rocprim17ROCPRIM_400000_NS6detail17trampoline_kernelINS0_14default_configENS1_38merge_sort_block_merge_config_selectorIjN6thrust23THRUST_200600_302600_NS5tupleIffNS6_9null_typeES8_S8_S8_S8_S8_S8_S8_EEEEZZNS1_27merge_sort_block_merge_implIS3_NS6_6detail15normal_iteratorINS6_10device_ptrIjEEEENSD_INSE_IS9_EEEEjNS1_19radix_merge_compareILb0ELb1EjNS0_19identity_decomposerEEEEE10hipError_tT0_T1_T2_jT3_P12ihipStream_tbPNSt15iterator_traitsISN_E10value_typeEPNST_ISO_E10value_typeEPSP_NS1_7vsmem_tEENKUlT_SN_SO_SP_E_clIPjSG_PS9_SI_EESM_S12_SN_SO_SP_EUlS12_E_NS1_11comp_targetILNS1_3genE9ELNS1_11target_archE1100ELNS1_3gpuE3ELNS1_3repE0EEENS1_48merge_mergepath_partition_config_static_selectorELNS0_4arch9wavefront6targetE0EEEvSO_.has_dyn_sized_stack, 0
	.set _ZN7rocprim17ROCPRIM_400000_NS6detail17trampoline_kernelINS0_14default_configENS1_38merge_sort_block_merge_config_selectorIjN6thrust23THRUST_200600_302600_NS5tupleIffNS6_9null_typeES8_S8_S8_S8_S8_S8_S8_EEEEZZNS1_27merge_sort_block_merge_implIS3_NS6_6detail15normal_iteratorINS6_10device_ptrIjEEEENSD_INSE_IS9_EEEEjNS1_19radix_merge_compareILb0ELb1EjNS0_19identity_decomposerEEEEE10hipError_tT0_T1_T2_jT3_P12ihipStream_tbPNSt15iterator_traitsISN_E10value_typeEPNST_ISO_E10value_typeEPSP_NS1_7vsmem_tEENKUlT_SN_SO_SP_E_clIPjSG_PS9_SI_EESM_S12_SN_SO_SP_EUlS12_E_NS1_11comp_targetILNS1_3genE9ELNS1_11target_archE1100ELNS1_3gpuE3ELNS1_3repE0EEENS1_48merge_mergepath_partition_config_static_selectorELNS0_4arch9wavefront6targetE0EEEvSO_.has_recursion, 0
	.set _ZN7rocprim17ROCPRIM_400000_NS6detail17trampoline_kernelINS0_14default_configENS1_38merge_sort_block_merge_config_selectorIjN6thrust23THRUST_200600_302600_NS5tupleIffNS6_9null_typeES8_S8_S8_S8_S8_S8_S8_EEEEZZNS1_27merge_sort_block_merge_implIS3_NS6_6detail15normal_iteratorINS6_10device_ptrIjEEEENSD_INSE_IS9_EEEEjNS1_19radix_merge_compareILb0ELb1EjNS0_19identity_decomposerEEEEE10hipError_tT0_T1_T2_jT3_P12ihipStream_tbPNSt15iterator_traitsISN_E10value_typeEPNST_ISO_E10value_typeEPSP_NS1_7vsmem_tEENKUlT_SN_SO_SP_E_clIPjSG_PS9_SI_EESM_S12_SN_SO_SP_EUlS12_E_NS1_11comp_targetILNS1_3genE9ELNS1_11target_archE1100ELNS1_3gpuE3ELNS1_3repE0EEENS1_48merge_mergepath_partition_config_static_selectorELNS0_4arch9wavefront6targetE0EEEvSO_.has_indirect_call, 0
	.section	.AMDGPU.csdata,"",@progbits
; Kernel info:
; codeLenInByte = 0
; TotalNumSgprs: 0
; NumVgprs: 0
; ScratchSize: 0
; MemoryBound: 0
; FloatMode: 240
; IeeeMode: 1
; LDSByteSize: 0 bytes/workgroup (compile time only)
; SGPRBlocks: 0
; VGPRBlocks: 0
; NumSGPRsForWavesPerEU: 1
; NumVGPRsForWavesPerEU: 1
; Occupancy: 16
; WaveLimiterHint : 0
; COMPUTE_PGM_RSRC2:SCRATCH_EN: 0
; COMPUTE_PGM_RSRC2:USER_SGPR: 6
; COMPUTE_PGM_RSRC2:TRAP_HANDLER: 0
; COMPUTE_PGM_RSRC2:TGID_X_EN: 1
; COMPUTE_PGM_RSRC2:TGID_Y_EN: 0
; COMPUTE_PGM_RSRC2:TGID_Z_EN: 0
; COMPUTE_PGM_RSRC2:TIDIG_COMP_CNT: 0
	.section	.text._ZN7rocprim17ROCPRIM_400000_NS6detail17trampoline_kernelINS0_14default_configENS1_38merge_sort_block_merge_config_selectorIjN6thrust23THRUST_200600_302600_NS5tupleIffNS6_9null_typeES8_S8_S8_S8_S8_S8_S8_EEEEZZNS1_27merge_sort_block_merge_implIS3_NS6_6detail15normal_iteratorINS6_10device_ptrIjEEEENSD_INSE_IS9_EEEEjNS1_19radix_merge_compareILb0ELb1EjNS0_19identity_decomposerEEEEE10hipError_tT0_T1_T2_jT3_P12ihipStream_tbPNSt15iterator_traitsISN_E10value_typeEPNST_ISO_E10value_typeEPSP_NS1_7vsmem_tEENKUlT_SN_SO_SP_E_clIPjSG_PS9_SI_EESM_S12_SN_SO_SP_EUlS12_E_NS1_11comp_targetILNS1_3genE8ELNS1_11target_archE1030ELNS1_3gpuE2ELNS1_3repE0EEENS1_48merge_mergepath_partition_config_static_selectorELNS0_4arch9wavefront6targetE0EEEvSO_,"axG",@progbits,_ZN7rocprim17ROCPRIM_400000_NS6detail17trampoline_kernelINS0_14default_configENS1_38merge_sort_block_merge_config_selectorIjN6thrust23THRUST_200600_302600_NS5tupleIffNS6_9null_typeES8_S8_S8_S8_S8_S8_S8_EEEEZZNS1_27merge_sort_block_merge_implIS3_NS6_6detail15normal_iteratorINS6_10device_ptrIjEEEENSD_INSE_IS9_EEEEjNS1_19radix_merge_compareILb0ELb1EjNS0_19identity_decomposerEEEEE10hipError_tT0_T1_T2_jT3_P12ihipStream_tbPNSt15iterator_traitsISN_E10value_typeEPNST_ISO_E10value_typeEPSP_NS1_7vsmem_tEENKUlT_SN_SO_SP_E_clIPjSG_PS9_SI_EESM_S12_SN_SO_SP_EUlS12_E_NS1_11comp_targetILNS1_3genE8ELNS1_11target_archE1030ELNS1_3gpuE2ELNS1_3repE0EEENS1_48merge_mergepath_partition_config_static_selectorELNS0_4arch9wavefront6targetE0EEEvSO_,comdat
	.protected	_ZN7rocprim17ROCPRIM_400000_NS6detail17trampoline_kernelINS0_14default_configENS1_38merge_sort_block_merge_config_selectorIjN6thrust23THRUST_200600_302600_NS5tupleIffNS6_9null_typeES8_S8_S8_S8_S8_S8_S8_EEEEZZNS1_27merge_sort_block_merge_implIS3_NS6_6detail15normal_iteratorINS6_10device_ptrIjEEEENSD_INSE_IS9_EEEEjNS1_19radix_merge_compareILb0ELb1EjNS0_19identity_decomposerEEEEE10hipError_tT0_T1_T2_jT3_P12ihipStream_tbPNSt15iterator_traitsISN_E10value_typeEPNST_ISO_E10value_typeEPSP_NS1_7vsmem_tEENKUlT_SN_SO_SP_E_clIPjSG_PS9_SI_EESM_S12_SN_SO_SP_EUlS12_E_NS1_11comp_targetILNS1_3genE8ELNS1_11target_archE1030ELNS1_3gpuE2ELNS1_3repE0EEENS1_48merge_mergepath_partition_config_static_selectorELNS0_4arch9wavefront6targetE0EEEvSO_ ; -- Begin function _ZN7rocprim17ROCPRIM_400000_NS6detail17trampoline_kernelINS0_14default_configENS1_38merge_sort_block_merge_config_selectorIjN6thrust23THRUST_200600_302600_NS5tupleIffNS6_9null_typeES8_S8_S8_S8_S8_S8_S8_EEEEZZNS1_27merge_sort_block_merge_implIS3_NS6_6detail15normal_iteratorINS6_10device_ptrIjEEEENSD_INSE_IS9_EEEEjNS1_19radix_merge_compareILb0ELb1EjNS0_19identity_decomposerEEEEE10hipError_tT0_T1_T2_jT3_P12ihipStream_tbPNSt15iterator_traitsISN_E10value_typeEPNST_ISO_E10value_typeEPSP_NS1_7vsmem_tEENKUlT_SN_SO_SP_E_clIPjSG_PS9_SI_EESM_S12_SN_SO_SP_EUlS12_E_NS1_11comp_targetILNS1_3genE8ELNS1_11target_archE1030ELNS1_3gpuE2ELNS1_3repE0EEENS1_48merge_mergepath_partition_config_static_selectorELNS0_4arch9wavefront6targetE0EEEvSO_
	.globl	_ZN7rocprim17ROCPRIM_400000_NS6detail17trampoline_kernelINS0_14default_configENS1_38merge_sort_block_merge_config_selectorIjN6thrust23THRUST_200600_302600_NS5tupleIffNS6_9null_typeES8_S8_S8_S8_S8_S8_S8_EEEEZZNS1_27merge_sort_block_merge_implIS3_NS6_6detail15normal_iteratorINS6_10device_ptrIjEEEENSD_INSE_IS9_EEEEjNS1_19radix_merge_compareILb0ELb1EjNS0_19identity_decomposerEEEEE10hipError_tT0_T1_T2_jT3_P12ihipStream_tbPNSt15iterator_traitsISN_E10value_typeEPNST_ISO_E10value_typeEPSP_NS1_7vsmem_tEENKUlT_SN_SO_SP_E_clIPjSG_PS9_SI_EESM_S12_SN_SO_SP_EUlS12_E_NS1_11comp_targetILNS1_3genE8ELNS1_11target_archE1030ELNS1_3gpuE2ELNS1_3repE0EEENS1_48merge_mergepath_partition_config_static_selectorELNS0_4arch9wavefront6targetE0EEEvSO_
	.p2align	8
	.type	_ZN7rocprim17ROCPRIM_400000_NS6detail17trampoline_kernelINS0_14default_configENS1_38merge_sort_block_merge_config_selectorIjN6thrust23THRUST_200600_302600_NS5tupleIffNS6_9null_typeES8_S8_S8_S8_S8_S8_S8_EEEEZZNS1_27merge_sort_block_merge_implIS3_NS6_6detail15normal_iteratorINS6_10device_ptrIjEEEENSD_INSE_IS9_EEEEjNS1_19radix_merge_compareILb0ELb1EjNS0_19identity_decomposerEEEEE10hipError_tT0_T1_T2_jT3_P12ihipStream_tbPNSt15iterator_traitsISN_E10value_typeEPNST_ISO_E10value_typeEPSP_NS1_7vsmem_tEENKUlT_SN_SO_SP_E_clIPjSG_PS9_SI_EESM_S12_SN_SO_SP_EUlS12_E_NS1_11comp_targetILNS1_3genE8ELNS1_11target_archE1030ELNS1_3gpuE2ELNS1_3repE0EEENS1_48merge_mergepath_partition_config_static_selectorELNS0_4arch9wavefront6targetE0EEEvSO_,@function
_ZN7rocprim17ROCPRIM_400000_NS6detail17trampoline_kernelINS0_14default_configENS1_38merge_sort_block_merge_config_selectorIjN6thrust23THRUST_200600_302600_NS5tupleIffNS6_9null_typeES8_S8_S8_S8_S8_S8_S8_EEEEZZNS1_27merge_sort_block_merge_implIS3_NS6_6detail15normal_iteratorINS6_10device_ptrIjEEEENSD_INSE_IS9_EEEEjNS1_19radix_merge_compareILb0ELb1EjNS0_19identity_decomposerEEEEE10hipError_tT0_T1_T2_jT3_P12ihipStream_tbPNSt15iterator_traitsISN_E10value_typeEPNST_ISO_E10value_typeEPSP_NS1_7vsmem_tEENKUlT_SN_SO_SP_E_clIPjSG_PS9_SI_EESM_S12_SN_SO_SP_EUlS12_E_NS1_11comp_targetILNS1_3genE8ELNS1_11target_archE1030ELNS1_3gpuE2ELNS1_3repE0EEENS1_48merge_mergepath_partition_config_static_selectorELNS0_4arch9wavefront6targetE0EEEvSO_: ; @_ZN7rocprim17ROCPRIM_400000_NS6detail17trampoline_kernelINS0_14default_configENS1_38merge_sort_block_merge_config_selectorIjN6thrust23THRUST_200600_302600_NS5tupleIffNS6_9null_typeES8_S8_S8_S8_S8_S8_S8_EEEEZZNS1_27merge_sort_block_merge_implIS3_NS6_6detail15normal_iteratorINS6_10device_ptrIjEEEENSD_INSE_IS9_EEEEjNS1_19radix_merge_compareILb0ELb1EjNS0_19identity_decomposerEEEEE10hipError_tT0_T1_T2_jT3_P12ihipStream_tbPNSt15iterator_traitsISN_E10value_typeEPNST_ISO_E10value_typeEPSP_NS1_7vsmem_tEENKUlT_SN_SO_SP_E_clIPjSG_PS9_SI_EESM_S12_SN_SO_SP_EUlS12_E_NS1_11comp_targetILNS1_3genE8ELNS1_11target_archE1030ELNS1_3gpuE2ELNS1_3repE0EEENS1_48merge_mergepath_partition_config_static_selectorELNS0_4arch9wavefront6targetE0EEEvSO_
; %bb.0:
	s_load_dword s0, s[4:5], 0x0
	v_lshl_or_b32 v0, s6, 7, v0
	s_waitcnt lgkmcnt(0)
	v_cmp_gt_u32_e32 vcc_lo, s0, v0
	s_and_saveexec_b32 s0, vcc_lo
	s_cbranch_execz .LBB98_6
; %bb.1:
	s_load_dwordx2 s[0:1], s[4:5], 0x4
	s_waitcnt lgkmcnt(0)
	s_lshr_b32 s2, s0, 9
	s_and_b32 s2, s2, 0x7ffffe
	s_sub_i32 s3, 0, s2
	s_add_i32 s2, s2, -1
	v_and_b32_e32 v1, s3, v0
	v_and_b32_e32 v5, s2, v0
	s_mov_b32 s3, 0
	s_mov_b32 s2, exec_lo
	v_lshlrev_b32_e32 v1, 10, v1
	v_add_nc_u32_e32 v2, s0, v1
	v_min_u32_e32 v4, s1, v2
	v_min_u32_e32 v2, s1, v1
	v_add_nc_u32_e32 v3, s0, v4
	v_min_u32_e32 v1, s1, v3
	s_load_dwordx2 s[0:1], s[4:5], 0x20
	v_lshlrev_b32_e32 v3, 10, v5
	v_sub_nc_u32_e32 v5, v1, v2
	v_sub_nc_u32_e32 v6, v1, v4
	v_min_u32_e32 v1, v5, v3
	v_sub_nc_u32_e32 v3, v4, v2
	v_sub_nc_u32_e64 v6, v1, v6 clamp
	v_min_u32_e32 v7, v1, v3
	v_cmpx_lt_u32_e64 v6, v7
	s_cbranch_execz .LBB98_5
; %bb.2:
	s_load_dwordx2 s[6:7], s[4:5], 0x10
	v_mov_b32_e32 v5, 0
	s_load_dword s4, s[4:5], 0x18
	v_mov_b32_e32 v3, v5
	v_lshlrev_b64 v[10:11], 2, v[4:5]
	v_lshlrev_b64 v[8:9], 2, v[2:3]
	s_waitcnt lgkmcnt(0)
	v_add_co_u32 v3, vcc_lo, s6, v8
	v_add_co_ci_u32_e64 v8, null, s7, v9, vcc_lo
	v_add_co_u32 v9, vcc_lo, s6, v10
	v_add_co_ci_u32_e64 v10, null, s7, v11, vcc_lo
	.p2align	6
.LBB98_3:                               ; =>This Inner Loop Header: Depth=1
	v_add_nc_u32_e32 v4, v7, v6
	v_mov_b32_e32 v12, v5
	v_lshrrev_b32_e32 v4, 1, v4
	v_xad_u32 v11, v4, -1, v1
	v_lshlrev_b64 v[13:14], 2, v[4:5]
	v_lshlrev_b64 v[11:12], 2, v[11:12]
	v_add_co_u32 v13, vcc_lo, v3, v13
	v_add_co_ci_u32_e64 v14, null, v8, v14, vcc_lo
	v_add_co_u32 v11, vcc_lo, v9, v11
	v_add_co_ci_u32_e64 v12, null, v10, v12, vcc_lo
	s_clause 0x1
	global_load_dword v13, v[13:14], off
	global_load_dword v11, v[11:12], off
	s_waitcnt vmcnt(1)
	v_and_b32_e32 v12, s4, v13
	s_waitcnt vmcnt(0)
	v_and_b32_e32 v11, s4, v11
	v_add_nc_u32_e32 v13, 1, v4
	v_cmp_gt_u32_e32 vcc_lo, v12, v11
	v_cndmask_b32_e32 v7, v7, v4, vcc_lo
	v_cndmask_b32_e32 v6, v13, v6, vcc_lo
	v_cmp_ge_u32_e32 vcc_lo, v6, v7
	s_or_b32 s3, vcc_lo, s3
	s_andn2_b32 exec_lo, exec_lo, s3
	s_cbranch_execnz .LBB98_3
; %bb.4:
	s_or_b32 exec_lo, exec_lo, s3
.LBB98_5:
	s_or_b32 exec_lo, exec_lo, s2
	v_mov_b32_e32 v1, 0
	v_add_nc_u32_e32 v2, v6, v2
	v_lshlrev_b64 v[0:1], 2, v[0:1]
	s_waitcnt lgkmcnt(0)
	v_add_co_u32 v0, vcc_lo, s0, v0
	v_add_co_ci_u32_e64 v1, null, s1, v1, vcc_lo
	global_store_dword v[0:1], v2, off
.LBB98_6:
	s_endpgm
	.section	.rodata,"a",@progbits
	.p2align	6, 0x0
	.amdhsa_kernel _ZN7rocprim17ROCPRIM_400000_NS6detail17trampoline_kernelINS0_14default_configENS1_38merge_sort_block_merge_config_selectorIjN6thrust23THRUST_200600_302600_NS5tupleIffNS6_9null_typeES8_S8_S8_S8_S8_S8_S8_EEEEZZNS1_27merge_sort_block_merge_implIS3_NS6_6detail15normal_iteratorINS6_10device_ptrIjEEEENSD_INSE_IS9_EEEEjNS1_19radix_merge_compareILb0ELb1EjNS0_19identity_decomposerEEEEE10hipError_tT0_T1_T2_jT3_P12ihipStream_tbPNSt15iterator_traitsISN_E10value_typeEPNST_ISO_E10value_typeEPSP_NS1_7vsmem_tEENKUlT_SN_SO_SP_E_clIPjSG_PS9_SI_EESM_S12_SN_SO_SP_EUlS12_E_NS1_11comp_targetILNS1_3genE8ELNS1_11target_archE1030ELNS1_3gpuE2ELNS1_3repE0EEENS1_48merge_mergepath_partition_config_static_selectorELNS0_4arch9wavefront6targetE0EEEvSO_
		.amdhsa_group_segment_fixed_size 0
		.amdhsa_private_segment_fixed_size 0
		.amdhsa_kernarg_size 40
		.amdhsa_user_sgpr_count 6
		.amdhsa_user_sgpr_private_segment_buffer 1
		.amdhsa_user_sgpr_dispatch_ptr 0
		.amdhsa_user_sgpr_queue_ptr 0
		.amdhsa_user_sgpr_kernarg_segment_ptr 1
		.amdhsa_user_sgpr_dispatch_id 0
		.amdhsa_user_sgpr_flat_scratch_init 0
		.amdhsa_user_sgpr_private_segment_size 0
		.amdhsa_wavefront_size32 1
		.amdhsa_uses_dynamic_stack 0
		.amdhsa_system_sgpr_private_segment_wavefront_offset 0
		.amdhsa_system_sgpr_workgroup_id_x 1
		.amdhsa_system_sgpr_workgroup_id_y 0
		.amdhsa_system_sgpr_workgroup_id_z 0
		.amdhsa_system_sgpr_workgroup_info 0
		.amdhsa_system_vgpr_workitem_id 0
		.amdhsa_next_free_vgpr 15
		.amdhsa_next_free_sgpr 8
		.amdhsa_reserve_vcc 1
		.amdhsa_reserve_flat_scratch 0
		.amdhsa_float_round_mode_32 0
		.amdhsa_float_round_mode_16_64 0
		.amdhsa_float_denorm_mode_32 3
		.amdhsa_float_denorm_mode_16_64 3
		.amdhsa_dx10_clamp 1
		.amdhsa_ieee_mode 1
		.amdhsa_fp16_overflow 0
		.amdhsa_workgroup_processor_mode 1
		.amdhsa_memory_ordered 1
		.amdhsa_forward_progress 1
		.amdhsa_shared_vgpr_count 0
		.amdhsa_exception_fp_ieee_invalid_op 0
		.amdhsa_exception_fp_denorm_src 0
		.amdhsa_exception_fp_ieee_div_zero 0
		.amdhsa_exception_fp_ieee_overflow 0
		.amdhsa_exception_fp_ieee_underflow 0
		.amdhsa_exception_fp_ieee_inexact 0
		.amdhsa_exception_int_div_zero 0
	.end_amdhsa_kernel
	.section	.text._ZN7rocprim17ROCPRIM_400000_NS6detail17trampoline_kernelINS0_14default_configENS1_38merge_sort_block_merge_config_selectorIjN6thrust23THRUST_200600_302600_NS5tupleIffNS6_9null_typeES8_S8_S8_S8_S8_S8_S8_EEEEZZNS1_27merge_sort_block_merge_implIS3_NS6_6detail15normal_iteratorINS6_10device_ptrIjEEEENSD_INSE_IS9_EEEEjNS1_19radix_merge_compareILb0ELb1EjNS0_19identity_decomposerEEEEE10hipError_tT0_T1_T2_jT3_P12ihipStream_tbPNSt15iterator_traitsISN_E10value_typeEPNST_ISO_E10value_typeEPSP_NS1_7vsmem_tEENKUlT_SN_SO_SP_E_clIPjSG_PS9_SI_EESM_S12_SN_SO_SP_EUlS12_E_NS1_11comp_targetILNS1_3genE8ELNS1_11target_archE1030ELNS1_3gpuE2ELNS1_3repE0EEENS1_48merge_mergepath_partition_config_static_selectorELNS0_4arch9wavefront6targetE0EEEvSO_,"axG",@progbits,_ZN7rocprim17ROCPRIM_400000_NS6detail17trampoline_kernelINS0_14default_configENS1_38merge_sort_block_merge_config_selectorIjN6thrust23THRUST_200600_302600_NS5tupleIffNS6_9null_typeES8_S8_S8_S8_S8_S8_S8_EEEEZZNS1_27merge_sort_block_merge_implIS3_NS6_6detail15normal_iteratorINS6_10device_ptrIjEEEENSD_INSE_IS9_EEEEjNS1_19radix_merge_compareILb0ELb1EjNS0_19identity_decomposerEEEEE10hipError_tT0_T1_T2_jT3_P12ihipStream_tbPNSt15iterator_traitsISN_E10value_typeEPNST_ISO_E10value_typeEPSP_NS1_7vsmem_tEENKUlT_SN_SO_SP_E_clIPjSG_PS9_SI_EESM_S12_SN_SO_SP_EUlS12_E_NS1_11comp_targetILNS1_3genE8ELNS1_11target_archE1030ELNS1_3gpuE2ELNS1_3repE0EEENS1_48merge_mergepath_partition_config_static_selectorELNS0_4arch9wavefront6targetE0EEEvSO_,comdat
.Lfunc_end98:
	.size	_ZN7rocprim17ROCPRIM_400000_NS6detail17trampoline_kernelINS0_14default_configENS1_38merge_sort_block_merge_config_selectorIjN6thrust23THRUST_200600_302600_NS5tupleIffNS6_9null_typeES8_S8_S8_S8_S8_S8_S8_EEEEZZNS1_27merge_sort_block_merge_implIS3_NS6_6detail15normal_iteratorINS6_10device_ptrIjEEEENSD_INSE_IS9_EEEEjNS1_19radix_merge_compareILb0ELb1EjNS0_19identity_decomposerEEEEE10hipError_tT0_T1_T2_jT3_P12ihipStream_tbPNSt15iterator_traitsISN_E10value_typeEPNST_ISO_E10value_typeEPSP_NS1_7vsmem_tEENKUlT_SN_SO_SP_E_clIPjSG_PS9_SI_EESM_S12_SN_SO_SP_EUlS12_E_NS1_11comp_targetILNS1_3genE8ELNS1_11target_archE1030ELNS1_3gpuE2ELNS1_3repE0EEENS1_48merge_mergepath_partition_config_static_selectorELNS0_4arch9wavefront6targetE0EEEvSO_, .Lfunc_end98-_ZN7rocprim17ROCPRIM_400000_NS6detail17trampoline_kernelINS0_14default_configENS1_38merge_sort_block_merge_config_selectorIjN6thrust23THRUST_200600_302600_NS5tupleIffNS6_9null_typeES8_S8_S8_S8_S8_S8_S8_EEEEZZNS1_27merge_sort_block_merge_implIS3_NS6_6detail15normal_iteratorINS6_10device_ptrIjEEEENSD_INSE_IS9_EEEEjNS1_19radix_merge_compareILb0ELb1EjNS0_19identity_decomposerEEEEE10hipError_tT0_T1_T2_jT3_P12ihipStream_tbPNSt15iterator_traitsISN_E10value_typeEPNST_ISO_E10value_typeEPSP_NS1_7vsmem_tEENKUlT_SN_SO_SP_E_clIPjSG_PS9_SI_EESM_S12_SN_SO_SP_EUlS12_E_NS1_11comp_targetILNS1_3genE8ELNS1_11target_archE1030ELNS1_3gpuE2ELNS1_3repE0EEENS1_48merge_mergepath_partition_config_static_selectorELNS0_4arch9wavefront6targetE0EEEvSO_
                                        ; -- End function
	.set _ZN7rocprim17ROCPRIM_400000_NS6detail17trampoline_kernelINS0_14default_configENS1_38merge_sort_block_merge_config_selectorIjN6thrust23THRUST_200600_302600_NS5tupleIffNS6_9null_typeES8_S8_S8_S8_S8_S8_S8_EEEEZZNS1_27merge_sort_block_merge_implIS3_NS6_6detail15normal_iteratorINS6_10device_ptrIjEEEENSD_INSE_IS9_EEEEjNS1_19radix_merge_compareILb0ELb1EjNS0_19identity_decomposerEEEEE10hipError_tT0_T1_T2_jT3_P12ihipStream_tbPNSt15iterator_traitsISN_E10value_typeEPNST_ISO_E10value_typeEPSP_NS1_7vsmem_tEENKUlT_SN_SO_SP_E_clIPjSG_PS9_SI_EESM_S12_SN_SO_SP_EUlS12_E_NS1_11comp_targetILNS1_3genE8ELNS1_11target_archE1030ELNS1_3gpuE2ELNS1_3repE0EEENS1_48merge_mergepath_partition_config_static_selectorELNS0_4arch9wavefront6targetE0EEEvSO_.num_vgpr, 15
	.set _ZN7rocprim17ROCPRIM_400000_NS6detail17trampoline_kernelINS0_14default_configENS1_38merge_sort_block_merge_config_selectorIjN6thrust23THRUST_200600_302600_NS5tupleIffNS6_9null_typeES8_S8_S8_S8_S8_S8_S8_EEEEZZNS1_27merge_sort_block_merge_implIS3_NS6_6detail15normal_iteratorINS6_10device_ptrIjEEEENSD_INSE_IS9_EEEEjNS1_19radix_merge_compareILb0ELb1EjNS0_19identity_decomposerEEEEE10hipError_tT0_T1_T2_jT3_P12ihipStream_tbPNSt15iterator_traitsISN_E10value_typeEPNST_ISO_E10value_typeEPSP_NS1_7vsmem_tEENKUlT_SN_SO_SP_E_clIPjSG_PS9_SI_EESM_S12_SN_SO_SP_EUlS12_E_NS1_11comp_targetILNS1_3genE8ELNS1_11target_archE1030ELNS1_3gpuE2ELNS1_3repE0EEENS1_48merge_mergepath_partition_config_static_selectorELNS0_4arch9wavefront6targetE0EEEvSO_.num_agpr, 0
	.set _ZN7rocprim17ROCPRIM_400000_NS6detail17trampoline_kernelINS0_14default_configENS1_38merge_sort_block_merge_config_selectorIjN6thrust23THRUST_200600_302600_NS5tupleIffNS6_9null_typeES8_S8_S8_S8_S8_S8_S8_EEEEZZNS1_27merge_sort_block_merge_implIS3_NS6_6detail15normal_iteratorINS6_10device_ptrIjEEEENSD_INSE_IS9_EEEEjNS1_19radix_merge_compareILb0ELb1EjNS0_19identity_decomposerEEEEE10hipError_tT0_T1_T2_jT3_P12ihipStream_tbPNSt15iterator_traitsISN_E10value_typeEPNST_ISO_E10value_typeEPSP_NS1_7vsmem_tEENKUlT_SN_SO_SP_E_clIPjSG_PS9_SI_EESM_S12_SN_SO_SP_EUlS12_E_NS1_11comp_targetILNS1_3genE8ELNS1_11target_archE1030ELNS1_3gpuE2ELNS1_3repE0EEENS1_48merge_mergepath_partition_config_static_selectorELNS0_4arch9wavefront6targetE0EEEvSO_.numbered_sgpr, 8
	.set _ZN7rocprim17ROCPRIM_400000_NS6detail17trampoline_kernelINS0_14default_configENS1_38merge_sort_block_merge_config_selectorIjN6thrust23THRUST_200600_302600_NS5tupleIffNS6_9null_typeES8_S8_S8_S8_S8_S8_S8_EEEEZZNS1_27merge_sort_block_merge_implIS3_NS6_6detail15normal_iteratorINS6_10device_ptrIjEEEENSD_INSE_IS9_EEEEjNS1_19radix_merge_compareILb0ELb1EjNS0_19identity_decomposerEEEEE10hipError_tT0_T1_T2_jT3_P12ihipStream_tbPNSt15iterator_traitsISN_E10value_typeEPNST_ISO_E10value_typeEPSP_NS1_7vsmem_tEENKUlT_SN_SO_SP_E_clIPjSG_PS9_SI_EESM_S12_SN_SO_SP_EUlS12_E_NS1_11comp_targetILNS1_3genE8ELNS1_11target_archE1030ELNS1_3gpuE2ELNS1_3repE0EEENS1_48merge_mergepath_partition_config_static_selectorELNS0_4arch9wavefront6targetE0EEEvSO_.num_named_barrier, 0
	.set _ZN7rocprim17ROCPRIM_400000_NS6detail17trampoline_kernelINS0_14default_configENS1_38merge_sort_block_merge_config_selectorIjN6thrust23THRUST_200600_302600_NS5tupleIffNS6_9null_typeES8_S8_S8_S8_S8_S8_S8_EEEEZZNS1_27merge_sort_block_merge_implIS3_NS6_6detail15normal_iteratorINS6_10device_ptrIjEEEENSD_INSE_IS9_EEEEjNS1_19radix_merge_compareILb0ELb1EjNS0_19identity_decomposerEEEEE10hipError_tT0_T1_T2_jT3_P12ihipStream_tbPNSt15iterator_traitsISN_E10value_typeEPNST_ISO_E10value_typeEPSP_NS1_7vsmem_tEENKUlT_SN_SO_SP_E_clIPjSG_PS9_SI_EESM_S12_SN_SO_SP_EUlS12_E_NS1_11comp_targetILNS1_3genE8ELNS1_11target_archE1030ELNS1_3gpuE2ELNS1_3repE0EEENS1_48merge_mergepath_partition_config_static_selectorELNS0_4arch9wavefront6targetE0EEEvSO_.private_seg_size, 0
	.set _ZN7rocprim17ROCPRIM_400000_NS6detail17trampoline_kernelINS0_14default_configENS1_38merge_sort_block_merge_config_selectorIjN6thrust23THRUST_200600_302600_NS5tupleIffNS6_9null_typeES8_S8_S8_S8_S8_S8_S8_EEEEZZNS1_27merge_sort_block_merge_implIS3_NS6_6detail15normal_iteratorINS6_10device_ptrIjEEEENSD_INSE_IS9_EEEEjNS1_19radix_merge_compareILb0ELb1EjNS0_19identity_decomposerEEEEE10hipError_tT0_T1_T2_jT3_P12ihipStream_tbPNSt15iterator_traitsISN_E10value_typeEPNST_ISO_E10value_typeEPSP_NS1_7vsmem_tEENKUlT_SN_SO_SP_E_clIPjSG_PS9_SI_EESM_S12_SN_SO_SP_EUlS12_E_NS1_11comp_targetILNS1_3genE8ELNS1_11target_archE1030ELNS1_3gpuE2ELNS1_3repE0EEENS1_48merge_mergepath_partition_config_static_selectorELNS0_4arch9wavefront6targetE0EEEvSO_.uses_vcc, 1
	.set _ZN7rocprim17ROCPRIM_400000_NS6detail17trampoline_kernelINS0_14default_configENS1_38merge_sort_block_merge_config_selectorIjN6thrust23THRUST_200600_302600_NS5tupleIffNS6_9null_typeES8_S8_S8_S8_S8_S8_S8_EEEEZZNS1_27merge_sort_block_merge_implIS3_NS6_6detail15normal_iteratorINS6_10device_ptrIjEEEENSD_INSE_IS9_EEEEjNS1_19radix_merge_compareILb0ELb1EjNS0_19identity_decomposerEEEEE10hipError_tT0_T1_T2_jT3_P12ihipStream_tbPNSt15iterator_traitsISN_E10value_typeEPNST_ISO_E10value_typeEPSP_NS1_7vsmem_tEENKUlT_SN_SO_SP_E_clIPjSG_PS9_SI_EESM_S12_SN_SO_SP_EUlS12_E_NS1_11comp_targetILNS1_3genE8ELNS1_11target_archE1030ELNS1_3gpuE2ELNS1_3repE0EEENS1_48merge_mergepath_partition_config_static_selectorELNS0_4arch9wavefront6targetE0EEEvSO_.uses_flat_scratch, 0
	.set _ZN7rocprim17ROCPRIM_400000_NS6detail17trampoline_kernelINS0_14default_configENS1_38merge_sort_block_merge_config_selectorIjN6thrust23THRUST_200600_302600_NS5tupleIffNS6_9null_typeES8_S8_S8_S8_S8_S8_S8_EEEEZZNS1_27merge_sort_block_merge_implIS3_NS6_6detail15normal_iteratorINS6_10device_ptrIjEEEENSD_INSE_IS9_EEEEjNS1_19radix_merge_compareILb0ELb1EjNS0_19identity_decomposerEEEEE10hipError_tT0_T1_T2_jT3_P12ihipStream_tbPNSt15iterator_traitsISN_E10value_typeEPNST_ISO_E10value_typeEPSP_NS1_7vsmem_tEENKUlT_SN_SO_SP_E_clIPjSG_PS9_SI_EESM_S12_SN_SO_SP_EUlS12_E_NS1_11comp_targetILNS1_3genE8ELNS1_11target_archE1030ELNS1_3gpuE2ELNS1_3repE0EEENS1_48merge_mergepath_partition_config_static_selectorELNS0_4arch9wavefront6targetE0EEEvSO_.has_dyn_sized_stack, 0
	.set _ZN7rocprim17ROCPRIM_400000_NS6detail17trampoline_kernelINS0_14default_configENS1_38merge_sort_block_merge_config_selectorIjN6thrust23THRUST_200600_302600_NS5tupleIffNS6_9null_typeES8_S8_S8_S8_S8_S8_S8_EEEEZZNS1_27merge_sort_block_merge_implIS3_NS6_6detail15normal_iteratorINS6_10device_ptrIjEEEENSD_INSE_IS9_EEEEjNS1_19radix_merge_compareILb0ELb1EjNS0_19identity_decomposerEEEEE10hipError_tT0_T1_T2_jT3_P12ihipStream_tbPNSt15iterator_traitsISN_E10value_typeEPNST_ISO_E10value_typeEPSP_NS1_7vsmem_tEENKUlT_SN_SO_SP_E_clIPjSG_PS9_SI_EESM_S12_SN_SO_SP_EUlS12_E_NS1_11comp_targetILNS1_3genE8ELNS1_11target_archE1030ELNS1_3gpuE2ELNS1_3repE0EEENS1_48merge_mergepath_partition_config_static_selectorELNS0_4arch9wavefront6targetE0EEEvSO_.has_recursion, 0
	.set _ZN7rocprim17ROCPRIM_400000_NS6detail17trampoline_kernelINS0_14default_configENS1_38merge_sort_block_merge_config_selectorIjN6thrust23THRUST_200600_302600_NS5tupleIffNS6_9null_typeES8_S8_S8_S8_S8_S8_S8_EEEEZZNS1_27merge_sort_block_merge_implIS3_NS6_6detail15normal_iteratorINS6_10device_ptrIjEEEENSD_INSE_IS9_EEEEjNS1_19radix_merge_compareILb0ELb1EjNS0_19identity_decomposerEEEEE10hipError_tT0_T1_T2_jT3_P12ihipStream_tbPNSt15iterator_traitsISN_E10value_typeEPNST_ISO_E10value_typeEPSP_NS1_7vsmem_tEENKUlT_SN_SO_SP_E_clIPjSG_PS9_SI_EESM_S12_SN_SO_SP_EUlS12_E_NS1_11comp_targetILNS1_3genE8ELNS1_11target_archE1030ELNS1_3gpuE2ELNS1_3repE0EEENS1_48merge_mergepath_partition_config_static_selectorELNS0_4arch9wavefront6targetE0EEEvSO_.has_indirect_call, 0
	.section	.AMDGPU.csdata,"",@progbits
; Kernel info:
; codeLenInByte = 448
; TotalNumSgprs: 10
; NumVgprs: 15
; ScratchSize: 0
; MemoryBound: 0
; FloatMode: 240
; IeeeMode: 1
; LDSByteSize: 0 bytes/workgroup (compile time only)
; SGPRBlocks: 0
; VGPRBlocks: 1
; NumSGPRsForWavesPerEU: 10
; NumVGPRsForWavesPerEU: 15
; Occupancy: 16
; WaveLimiterHint : 0
; COMPUTE_PGM_RSRC2:SCRATCH_EN: 0
; COMPUTE_PGM_RSRC2:USER_SGPR: 6
; COMPUTE_PGM_RSRC2:TRAP_HANDLER: 0
; COMPUTE_PGM_RSRC2:TGID_X_EN: 1
; COMPUTE_PGM_RSRC2:TGID_Y_EN: 0
; COMPUTE_PGM_RSRC2:TGID_Z_EN: 0
; COMPUTE_PGM_RSRC2:TIDIG_COMP_CNT: 0
	.section	.text._ZN7rocprim17ROCPRIM_400000_NS6detail17trampoline_kernelINS0_14default_configENS1_38merge_sort_block_merge_config_selectorIjN6thrust23THRUST_200600_302600_NS5tupleIffNS6_9null_typeES8_S8_S8_S8_S8_S8_S8_EEEEZZNS1_27merge_sort_block_merge_implIS3_NS6_6detail15normal_iteratorINS6_10device_ptrIjEEEENSD_INSE_IS9_EEEEjNS1_19radix_merge_compareILb0ELb1EjNS0_19identity_decomposerEEEEE10hipError_tT0_T1_T2_jT3_P12ihipStream_tbPNSt15iterator_traitsISN_E10value_typeEPNST_ISO_E10value_typeEPSP_NS1_7vsmem_tEENKUlT_SN_SO_SP_E_clIPjSG_PS9_SI_EESM_S12_SN_SO_SP_EUlS12_E0_NS1_11comp_targetILNS1_3genE0ELNS1_11target_archE4294967295ELNS1_3gpuE0ELNS1_3repE0EEENS1_38merge_mergepath_config_static_selectorELNS0_4arch9wavefront6targetE0EEEvSO_,"axG",@progbits,_ZN7rocprim17ROCPRIM_400000_NS6detail17trampoline_kernelINS0_14default_configENS1_38merge_sort_block_merge_config_selectorIjN6thrust23THRUST_200600_302600_NS5tupleIffNS6_9null_typeES8_S8_S8_S8_S8_S8_S8_EEEEZZNS1_27merge_sort_block_merge_implIS3_NS6_6detail15normal_iteratorINS6_10device_ptrIjEEEENSD_INSE_IS9_EEEEjNS1_19radix_merge_compareILb0ELb1EjNS0_19identity_decomposerEEEEE10hipError_tT0_T1_T2_jT3_P12ihipStream_tbPNSt15iterator_traitsISN_E10value_typeEPNST_ISO_E10value_typeEPSP_NS1_7vsmem_tEENKUlT_SN_SO_SP_E_clIPjSG_PS9_SI_EESM_S12_SN_SO_SP_EUlS12_E0_NS1_11comp_targetILNS1_3genE0ELNS1_11target_archE4294967295ELNS1_3gpuE0ELNS1_3repE0EEENS1_38merge_mergepath_config_static_selectorELNS0_4arch9wavefront6targetE0EEEvSO_,comdat
	.protected	_ZN7rocprim17ROCPRIM_400000_NS6detail17trampoline_kernelINS0_14default_configENS1_38merge_sort_block_merge_config_selectorIjN6thrust23THRUST_200600_302600_NS5tupleIffNS6_9null_typeES8_S8_S8_S8_S8_S8_S8_EEEEZZNS1_27merge_sort_block_merge_implIS3_NS6_6detail15normal_iteratorINS6_10device_ptrIjEEEENSD_INSE_IS9_EEEEjNS1_19radix_merge_compareILb0ELb1EjNS0_19identity_decomposerEEEEE10hipError_tT0_T1_T2_jT3_P12ihipStream_tbPNSt15iterator_traitsISN_E10value_typeEPNST_ISO_E10value_typeEPSP_NS1_7vsmem_tEENKUlT_SN_SO_SP_E_clIPjSG_PS9_SI_EESM_S12_SN_SO_SP_EUlS12_E0_NS1_11comp_targetILNS1_3genE0ELNS1_11target_archE4294967295ELNS1_3gpuE0ELNS1_3repE0EEENS1_38merge_mergepath_config_static_selectorELNS0_4arch9wavefront6targetE0EEEvSO_ ; -- Begin function _ZN7rocprim17ROCPRIM_400000_NS6detail17trampoline_kernelINS0_14default_configENS1_38merge_sort_block_merge_config_selectorIjN6thrust23THRUST_200600_302600_NS5tupleIffNS6_9null_typeES8_S8_S8_S8_S8_S8_S8_EEEEZZNS1_27merge_sort_block_merge_implIS3_NS6_6detail15normal_iteratorINS6_10device_ptrIjEEEENSD_INSE_IS9_EEEEjNS1_19radix_merge_compareILb0ELb1EjNS0_19identity_decomposerEEEEE10hipError_tT0_T1_T2_jT3_P12ihipStream_tbPNSt15iterator_traitsISN_E10value_typeEPNST_ISO_E10value_typeEPSP_NS1_7vsmem_tEENKUlT_SN_SO_SP_E_clIPjSG_PS9_SI_EESM_S12_SN_SO_SP_EUlS12_E0_NS1_11comp_targetILNS1_3genE0ELNS1_11target_archE4294967295ELNS1_3gpuE0ELNS1_3repE0EEENS1_38merge_mergepath_config_static_selectorELNS0_4arch9wavefront6targetE0EEEvSO_
	.globl	_ZN7rocprim17ROCPRIM_400000_NS6detail17trampoline_kernelINS0_14default_configENS1_38merge_sort_block_merge_config_selectorIjN6thrust23THRUST_200600_302600_NS5tupleIffNS6_9null_typeES8_S8_S8_S8_S8_S8_S8_EEEEZZNS1_27merge_sort_block_merge_implIS3_NS6_6detail15normal_iteratorINS6_10device_ptrIjEEEENSD_INSE_IS9_EEEEjNS1_19radix_merge_compareILb0ELb1EjNS0_19identity_decomposerEEEEE10hipError_tT0_T1_T2_jT3_P12ihipStream_tbPNSt15iterator_traitsISN_E10value_typeEPNST_ISO_E10value_typeEPSP_NS1_7vsmem_tEENKUlT_SN_SO_SP_E_clIPjSG_PS9_SI_EESM_S12_SN_SO_SP_EUlS12_E0_NS1_11comp_targetILNS1_3genE0ELNS1_11target_archE4294967295ELNS1_3gpuE0ELNS1_3repE0EEENS1_38merge_mergepath_config_static_selectorELNS0_4arch9wavefront6targetE0EEEvSO_
	.p2align	8
	.type	_ZN7rocprim17ROCPRIM_400000_NS6detail17trampoline_kernelINS0_14default_configENS1_38merge_sort_block_merge_config_selectorIjN6thrust23THRUST_200600_302600_NS5tupleIffNS6_9null_typeES8_S8_S8_S8_S8_S8_S8_EEEEZZNS1_27merge_sort_block_merge_implIS3_NS6_6detail15normal_iteratorINS6_10device_ptrIjEEEENSD_INSE_IS9_EEEEjNS1_19radix_merge_compareILb0ELb1EjNS0_19identity_decomposerEEEEE10hipError_tT0_T1_T2_jT3_P12ihipStream_tbPNSt15iterator_traitsISN_E10value_typeEPNST_ISO_E10value_typeEPSP_NS1_7vsmem_tEENKUlT_SN_SO_SP_E_clIPjSG_PS9_SI_EESM_S12_SN_SO_SP_EUlS12_E0_NS1_11comp_targetILNS1_3genE0ELNS1_11target_archE4294967295ELNS1_3gpuE0ELNS1_3repE0EEENS1_38merge_mergepath_config_static_selectorELNS0_4arch9wavefront6targetE0EEEvSO_,@function
_ZN7rocprim17ROCPRIM_400000_NS6detail17trampoline_kernelINS0_14default_configENS1_38merge_sort_block_merge_config_selectorIjN6thrust23THRUST_200600_302600_NS5tupleIffNS6_9null_typeES8_S8_S8_S8_S8_S8_S8_EEEEZZNS1_27merge_sort_block_merge_implIS3_NS6_6detail15normal_iteratorINS6_10device_ptrIjEEEENSD_INSE_IS9_EEEEjNS1_19radix_merge_compareILb0ELb1EjNS0_19identity_decomposerEEEEE10hipError_tT0_T1_T2_jT3_P12ihipStream_tbPNSt15iterator_traitsISN_E10value_typeEPNST_ISO_E10value_typeEPSP_NS1_7vsmem_tEENKUlT_SN_SO_SP_E_clIPjSG_PS9_SI_EESM_S12_SN_SO_SP_EUlS12_E0_NS1_11comp_targetILNS1_3genE0ELNS1_11target_archE4294967295ELNS1_3gpuE0ELNS1_3repE0EEENS1_38merge_mergepath_config_static_selectorELNS0_4arch9wavefront6targetE0EEEvSO_: ; @_ZN7rocprim17ROCPRIM_400000_NS6detail17trampoline_kernelINS0_14default_configENS1_38merge_sort_block_merge_config_selectorIjN6thrust23THRUST_200600_302600_NS5tupleIffNS6_9null_typeES8_S8_S8_S8_S8_S8_S8_EEEEZZNS1_27merge_sort_block_merge_implIS3_NS6_6detail15normal_iteratorINS6_10device_ptrIjEEEENSD_INSE_IS9_EEEEjNS1_19radix_merge_compareILb0ELb1EjNS0_19identity_decomposerEEEEE10hipError_tT0_T1_T2_jT3_P12ihipStream_tbPNSt15iterator_traitsISN_E10value_typeEPNST_ISO_E10value_typeEPSP_NS1_7vsmem_tEENKUlT_SN_SO_SP_E_clIPjSG_PS9_SI_EESM_S12_SN_SO_SP_EUlS12_E0_NS1_11comp_targetILNS1_3genE0ELNS1_11target_archE4294967295ELNS1_3gpuE0ELNS1_3repE0EEENS1_38merge_mergepath_config_static_selectorELNS0_4arch9wavefront6targetE0EEEvSO_
; %bb.0:
	.section	.rodata,"a",@progbits
	.p2align	6, 0x0
	.amdhsa_kernel _ZN7rocprim17ROCPRIM_400000_NS6detail17trampoline_kernelINS0_14default_configENS1_38merge_sort_block_merge_config_selectorIjN6thrust23THRUST_200600_302600_NS5tupleIffNS6_9null_typeES8_S8_S8_S8_S8_S8_S8_EEEEZZNS1_27merge_sort_block_merge_implIS3_NS6_6detail15normal_iteratorINS6_10device_ptrIjEEEENSD_INSE_IS9_EEEEjNS1_19radix_merge_compareILb0ELb1EjNS0_19identity_decomposerEEEEE10hipError_tT0_T1_T2_jT3_P12ihipStream_tbPNSt15iterator_traitsISN_E10value_typeEPNST_ISO_E10value_typeEPSP_NS1_7vsmem_tEENKUlT_SN_SO_SP_E_clIPjSG_PS9_SI_EESM_S12_SN_SO_SP_EUlS12_E0_NS1_11comp_targetILNS1_3genE0ELNS1_11target_archE4294967295ELNS1_3gpuE0ELNS1_3repE0EEENS1_38merge_mergepath_config_static_selectorELNS0_4arch9wavefront6targetE0EEEvSO_
		.amdhsa_group_segment_fixed_size 0
		.amdhsa_private_segment_fixed_size 0
		.amdhsa_kernarg_size 64
		.amdhsa_user_sgpr_count 6
		.amdhsa_user_sgpr_private_segment_buffer 1
		.amdhsa_user_sgpr_dispatch_ptr 0
		.amdhsa_user_sgpr_queue_ptr 0
		.amdhsa_user_sgpr_kernarg_segment_ptr 1
		.amdhsa_user_sgpr_dispatch_id 0
		.amdhsa_user_sgpr_flat_scratch_init 0
		.amdhsa_user_sgpr_private_segment_size 0
		.amdhsa_wavefront_size32 1
		.amdhsa_uses_dynamic_stack 0
		.amdhsa_system_sgpr_private_segment_wavefront_offset 0
		.amdhsa_system_sgpr_workgroup_id_x 1
		.amdhsa_system_sgpr_workgroup_id_y 0
		.amdhsa_system_sgpr_workgroup_id_z 0
		.amdhsa_system_sgpr_workgroup_info 0
		.amdhsa_system_vgpr_workitem_id 0
		.amdhsa_next_free_vgpr 1
		.amdhsa_next_free_sgpr 1
		.amdhsa_reserve_vcc 0
		.amdhsa_reserve_flat_scratch 0
		.amdhsa_float_round_mode_32 0
		.amdhsa_float_round_mode_16_64 0
		.amdhsa_float_denorm_mode_32 3
		.amdhsa_float_denorm_mode_16_64 3
		.amdhsa_dx10_clamp 1
		.amdhsa_ieee_mode 1
		.amdhsa_fp16_overflow 0
		.amdhsa_workgroup_processor_mode 1
		.amdhsa_memory_ordered 1
		.amdhsa_forward_progress 1
		.amdhsa_shared_vgpr_count 0
		.amdhsa_exception_fp_ieee_invalid_op 0
		.amdhsa_exception_fp_denorm_src 0
		.amdhsa_exception_fp_ieee_div_zero 0
		.amdhsa_exception_fp_ieee_overflow 0
		.amdhsa_exception_fp_ieee_underflow 0
		.amdhsa_exception_fp_ieee_inexact 0
		.amdhsa_exception_int_div_zero 0
	.end_amdhsa_kernel
	.section	.text._ZN7rocprim17ROCPRIM_400000_NS6detail17trampoline_kernelINS0_14default_configENS1_38merge_sort_block_merge_config_selectorIjN6thrust23THRUST_200600_302600_NS5tupleIffNS6_9null_typeES8_S8_S8_S8_S8_S8_S8_EEEEZZNS1_27merge_sort_block_merge_implIS3_NS6_6detail15normal_iteratorINS6_10device_ptrIjEEEENSD_INSE_IS9_EEEEjNS1_19radix_merge_compareILb0ELb1EjNS0_19identity_decomposerEEEEE10hipError_tT0_T1_T2_jT3_P12ihipStream_tbPNSt15iterator_traitsISN_E10value_typeEPNST_ISO_E10value_typeEPSP_NS1_7vsmem_tEENKUlT_SN_SO_SP_E_clIPjSG_PS9_SI_EESM_S12_SN_SO_SP_EUlS12_E0_NS1_11comp_targetILNS1_3genE0ELNS1_11target_archE4294967295ELNS1_3gpuE0ELNS1_3repE0EEENS1_38merge_mergepath_config_static_selectorELNS0_4arch9wavefront6targetE0EEEvSO_,"axG",@progbits,_ZN7rocprim17ROCPRIM_400000_NS6detail17trampoline_kernelINS0_14default_configENS1_38merge_sort_block_merge_config_selectorIjN6thrust23THRUST_200600_302600_NS5tupleIffNS6_9null_typeES8_S8_S8_S8_S8_S8_S8_EEEEZZNS1_27merge_sort_block_merge_implIS3_NS6_6detail15normal_iteratorINS6_10device_ptrIjEEEENSD_INSE_IS9_EEEEjNS1_19radix_merge_compareILb0ELb1EjNS0_19identity_decomposerEEEEE10hipError_tT0_T1_T2_jT3_P12ihipStream_tbPNSt15iterator_traitsISN_E10value_typeEPNST_ISO_E10value_typeEPSP_NS1_7vsmem_tEENKUlT_SN_SO_SP_E_clIPjSG_PS9_SI_EESM_S12_SN_SO_SP_EUlS12_E0_NS1_11comp_targetILNS1_3genE0ELNS1_11target_archE4294967295ELNS1_3gpuE0ELNS1_3repE0EEENS1_38merge_mergepath_config_static_selectorELNS0_4arch9wavefront6targetE0EEEvSO_,comdat
.Lfunc_end99:
	.size	_ZN7rocprim17ROCPRIM_400000_NS6detail17trampoline_kernelINS0_14default_configENS1_38merge_sort_block_merge_config_selectorIjN6thrust23THRUST_200600_302600_NS5tupleIffNS6_9null_typeES8_S8_S8_S8_S8_S8_S8_EEEEZZNS1_27merge_sort_block_merge_implIS3_NS6_6detail15normal_iteratorINS6_10device_ptrIjEEEENSD_INSE_IS9_EEEEjNS1_19radix_merge_compareILb0ELb1EjNS0_19identity_decomposerEEEEE10hipError_tT0_T1_T2_jT3_P12ihipStream_tbPNSt15iterator_traitsISN_E10value_typeEPNST_ISO_E10value_typeEPSP_NS1_7vsmem_tEENKUlT_SN_SO_SP_E_clIPjSG_PS9_SI_EESM_S12_SN_SO_SP_EUlS12_E0_NS1_11comp_targetILNS1_3genE0ELNS1_11target_archE4294967295ELNS1_3gpuE0ELNS1_3repE0EEENS1_38merge_mergepath_config_static_selectorELNS0_4arch9wavefront6targetE0EEEvSO_, .Lfunc_end99-_ZN7rocprim17ROCPRIM_400000_NS6detail17trampoline_kernelINS0_14default_configENS1_38merge_sort_block_merge_config_selectorIjN6thrust23THRUST_200600_302600_NS5tupleIffNS6_9null_typeES8_S8_S8_S8_S8_S8_S8_EEEEZZNS1_27merge_sort_block_merge_implIS3_NS6_6detail15normal_iteratorINS6_10device_ptrIjEEEENSD_INSE_IS9_EEEEjNS1_19radix_merge_compareILb0ELb1EjNS0_19identity_decomposerEEEEE10hipError_tT0_T1_T2_jT3_P12ihipStream_tbPNSt15iterator_traitsISN_E10value_typeEPNST_ISO_E10value_typeEPSP_NS1_7vsmem_tEENKUlT_SN_SO_SP_E_clIPjSG_PS9_SI_EESM_S12_SN_SO_SP_EUlS12_E0_NS1_11comp_targetILNS1_3genE0ELNS1_11target_archE4294967295ELNS1_3gpuE0ELNS1_3repE0EEENS1_38merge_mergepath_config_static_selectorELNS0_4arch9wavefront6targetE0EEEvSO_
                                        ; -- End function
	.set _ZN7rocprim17ROCPRIM_400000_NS6detail17trampoline_kernelINS0_14default_configENS1_38merge_sort_block_merge_config_selectorIjN6thrust23THRUST_200600_302600_NS5tupleIffNS6_9null_typeES8_S8_S8_S8_S8_S8_S8_EEEEZZNS1_27merge_sort_block_merge_implIS3_NS6_6detail15normal_iteratorINS6_10device_ptrIjEEEENSD_INSE_IS9_EEEEjNS1_19radix_merge_compareILb0ELb1EjNS0_19identity_decomposerEEEEE10hipError_tT0_T1_T2_jT3_P12ihipStream_tbPNSt15iterator_traitsISN_E10value_typeEPNST_ISO_E10value_typeEPSP_NS1_7vsmem_tEENKUlT_SN_SO_SP_E_clIPjSG_PS9_SI_EESM_S12_SN_SO_SP_EUlS12_E0_NS1_11comp_targetILNS1_3genE0ELNS1_11target_archE4294967295ELNS1_3gpuE0ELNS1_3repE0EEENS1_38merge_mergepath_config_static_selectorELNS0_4arch9wavefront6targetE0EEEvSO_.num_vgpr, 0
	.set _ZN7rocprim17ROCPRIM_400000_NS6detail17trampoline_kernelINS0_14default_configENS1_38merge_sort_block_merge_config_selectorIjN6thrust23THRUST_200600_302600_NS5tupleIffNS6_9null_typeES8_S8_S8_S8_S8_S8_S8_EEEEZZNS1_27merge_sort_block_merge_implIS3_NS6_6detail15normal_iteratorINS6_10device_ptrIjEEEENSD_INSE_IS9_EEEEjNS1_19radix_merge_compareILb0ELb1EjNS0_19identity_decomposerEEEEE10hipError_tT0_T1_T2_jT3_P12ihipStream_tbPNSt15iterator_traitsISN_E10value_typeEPNST_ISO_E10value_typeEPSP_NS1_7vsmem_tEENKUlT_SN_SO_SP_E_clIPjSG_PS9_SI_EESM_S12_SN_SO_SP_EUlS12_E0_NS1_11comp_targetILNS1_3genE0ELNS1_11target_archE4294967295ELNS1_3gpuE0ELNS1_3repE0EEENS1_38merge_mergepath_config_static_selectorELNS0_4arch9wavefront6targetE0EEEvSO_.num_agpr, 0
	.set _ZN7rocprim17ROCPRIM_400000_NS6detail17trampoline_kernelINS0_14default_configENS1_38merge_sort_block_merge_config_selectorIjN6thrust23THRUST_200600_302600_NS5tupleIffNS6_9null_typeES8_S8_S8_S8_S8_S8_S8_EEEEZZNS1_27merge_sort_block_merge_implIS3_NS6_6detail15normal_iteratorINS6_10device_ptrIjEEEENSD_INSE_IS9_EEEEjNS1_19radix_merge_compareILb0ELb1EjNS0_19identity_decomposerEEEEE10hipError_tT0_T1_T2_jT3_P12ihipStream_tbPNSt15iterator_traitsISN_E10value_typeEPNST_ISO_E10value_typeEPSP_NS1_7vsmem_tEENKUlT_SN_SO_SP_E_clIPjSG_PS9_SI_EESM_S12_SN_SO_SP_EUlS12_E0_NS1_11comp_targetILNS1_3genE0ELNS1_11target_archE4294967295ELNS1_3gpuE0ELNS1_3repE0EEENS1_38merge_mergepath_config_static_selectorELNS0_4arch9wavefront6targetE0EEEvSO_.numbered_sgpr, 0
	.set _ZN7rocprim17ROCPRIM_400000_NS6detail17trampoline_kernelINS0_14default_configENS1_38merge_sort_block_merge_config_selectorIjN6thrust23THRUST_200600_302600_NS5tupleIffNS6_9null_typeES8_S8_S8_S8_S8_S8_S8_EEEEZZNS1_27merge_sort_block_merge_implIS3_NS6_6detail15normal_iteratorINS6_10device_ptrIjEEEENSD_INSE_IS9_EEEEjNS1_19radix_merge_compareILb0ELb1EjNS0_19identity_decomposerEEEEE10hipError_tT0_T1_T2_jT3_P12ihipStream_tbPNSt15iterator_traitsISN_E10value_typeEPNST_ISO_E10value_typeEPSP_NS1_7vsmem_tEENKUlT_SN_SO_SP_E_clIPjSG_PS9_SI_EESM_S12_SN_SO_SP_EUlS12_E0_NS1_11comp_targetILNS1_3genE0ELNS1_11target_archE4294967295ELNS1_3gpuE0ELNS1_3repE0EEENS1_38merge_mergepath_config_static_selectorELNS0_4arch9wavefront6targetE0EEEvSO_.num_named_barrier, 0
	.set _ZN7rocprim17ROCPRIM_400000_NS6detail17trampoline_kernelINS0_14default_configENS1_38merge_sort_block_merge_config_selectorIjN6thrust23THRUST_200600_302600_NS5tupleIffNS6_9null_typeES8_S8_S8_S8_S8_S8_S8_EEEEZZNS1_27merge_sort_block_merge_implIS3_NS6_6detail15normal_iteratorINS6_10device_ptrIjEEEENSD_INSE_IS9_EEEEjNS1_19radix_merge_compareILb0ELb1EjNS0_19identity_decomposerEEEEE10hipError_tT0_T1_T2_jT3_P12ihipStream_tbPNSt15iterator_traitsISN_E10value_typeEPNST_ISO_E10value_typeEPSP_NS1_7vsmem_tEENKUlT_SN_SO_SP_E_clIPjSG_PS9_SI_EESM_S12_SN_SO_SP_EUlS12_E0_NS1_11comp_targetILNS1_3genE0ELNS1_11target_archE4294967295ELNS1_3gpuE0ELNS1_3repE0EEENS1_38merge_mergepath_config_static_selectorELNS0_4arch9wavefront6targetE0EEEvSO_.private_seg_size, 0
	.set _ZN7rocprim17ROCPRIM_400000_NS6detail17trampoline_kernelINS0_14default_configENS1_38merge_sort_block_merge_config_selectorIjN6thrust23THRUST_200600_302600_NS5tupleIffNS6_9null_typeES8_S8_S8_S8_S8_S8_S8_EEEEZZNS1_27merge_sort_block_merge_implIS3_NS6_6detail15normal_iteratorINS6_10device_ptrIjEEEENSD_INSE_IS9_EEEEjNS1_19radix_merge_compareILb0ELb1EjNS0_19identity_decomposerEEEEE10hipError_tT0_T1_T2_jT3_P12ihipStream_tbPNSt15iterator_traitsISN_E10value_typeEPNST_ISO_E10value_typeEPSP_NS1_7vsmem_tEENKUlT_SN_SO_SP_E_clIPjSG_PS9_SI_EESM_S12_SN_SO_SP_EUlS12_E0_NS1_11comp_targetILNS1_3genE0ELNS1_11target_archE4294967295ELNS1_3gpuE0ELNS1_3repE0EEENS1_38merge_mergepath_config_static_selectorELNS0_4arch9wavefront6targetE0EEEvSO_.uses_vcc, 0
	.set _ZN7rocprim17ROCPRIM_400000_NS6detail17trampoline_kernelINS0_14default_configENS1_38merge_sort_block_merge_config_selectorIjN6thrust23THRUST_200600_302600_NS5tupleIffNS6_9null_typeES8_S8_S8_S8_S8_S8_S8_EEEEZZNS1_27merge_sort_block_merge_implIS3_NS6_6detail15normal_iteratorINS6_10device_ptrIjEEEENSD_INSE_IS9_EEEEjNS1_19radix_merge_compareILb0ELb1EjNS0_19identity_decomposerEEEEE10hipError_tT0_T1_T2_jT3_P12ihipStream_tbPNSt15iterator_traitsISN_E10value_typeEPNST_ISO_E10value_typeEPSP_NS1_7vsmem_tEENKUlT_SN_SO_SP_E_clIPjSG_PS9_SI_EESM_S12_SN_SO_SP_EUlS12_E0_NS1_11comp_targetILNS1_3genE0ELNS1_11target_archE4294967295ELNS1_3gpuE0ELNS1_3repE0EEENS1_38merge_mergepath_config_static_selectorELNS0_4arch9wavefront6targetE0EEEvSO_.uses_flat_scratch, 0
	.set _ZN7rocprim17ROCPRIM_400000_NS6detail17trampoline_kernelINS0_14default_configENS1_38merge_sort_block_merge_config_selectorIjN6thrust23THRUST_200600_302600_NS5tupleIffNS6_9null_typeES8_S8_S8_S8_S8_S8_S8_EEEEZZNS1_27merge_sort_block_merge_implIS3_NS6_6detail15normal_iteratorINS6_10device_ptrIjEEEENSD_INSE_IS9_EEEEjNS1_19radix_merge_compareILb0ELb1EjNS0_19identity_decomposerEEEEE10hipError_tT0_T1_T2_jT3_P12ihipStream_tbPNSt15iterator_traitsISN_E10value_typeEPNST_ISO_E10value_typeEPSP_NS1_7vsmem_tEENKUlT_SN_SO_SP_E_clIPjSG_PS9_SI_EESM_S12_SN_SO_SP_EUlS12_E0_NS1_11comp_targetILNS1_3genE0ELNS1_11target_archE4294967295ELNS1_3gpuE0ELNS1_3repE0EEENS1_38merge_mergepath_config_static_selectorELNS0_4arch9wavefront6targetE0EEEvSO_.has_dyn_sized_stack, 0
	.set _ZN7rocprim17ROCPRIM_400000_NS6detail17trampoline_kernelINS0_14default_configENS1_38merge_sort_block_merge_config_selectorIjN6thrust23THRUST_200600_302600_NS5tupleIffNS6_9null_typeES8_S8_S8_S8_S8_S8_S8_EEEEZZNS1_27merge_sort_block_merge_implIS3_NS6_6detail15normal_iteratorINS6_10device_ptrIjEEEENSD_INSE_IS9_EEEEjNS1_19radix_merge_compareILb0ELb1EjNS0_19identity_decomposerEEEEE10hipError_tT0_T1_T2_jT3_P12ihipStream_tbPNSt15iterator_traitsISN_E10value_typeEPNST_ISO_E10value_typeEPSP_NS1_7vsmem_tEENKUlT_SN_SO_SP_E_clIPjSG_PS9_SI_EESM_S12_SN_SO_SP_EUlS12_E0_NS1_11comp_targetILNS1_3genE0ELNS1_11target_archE4294967295ELNS1_3gpuE0ELNS1_3repE0EEENS1_38merge_mergepath_config_static_selectorELNS0_4arch9wavefront6targetE0EEEvSO_.has_recursion, 0
	.set _ZN7rocprim17ROCPRIM_400000_NS6detail17trampoline_kernelINS0_14default_configENS1_38merge_sort_block_merge_config_selectorIjN6thrust23THRUST_200600_302600_NS5tupleIffNS6_9null_typeES8_S8_S8_S8_S8_S8_S8_EEEEZZNS1_27merge_sort_block_merge_implIS3_NS6_6detail15normal_iteratorINS6_10device_ptrIjEEEENSD_INSE_IS9_EEEEjNS1_19radix_merge_compareILb0ELb1EjNS0_19identity_decomposerEEEEE10hipError_tT0_T1_T2_jT3_P12ihipStream_tbPNSt15iterator_traitsISN_E10value_typeEPNST_ISO_E10value_typeEPSP_NS1_7vsmem_tEENKUlT_SN_SO_SP_E_clIPjSG_PS9_SI_EESM_S12_SN_SO_SP_EUlS12_E0_NS1_11comp_targetILNS1_3genE0ELNS1_11target_archE4294967295ELNS1_3gpuE0ELNS1_3repE0EEENS1_38merge_mergepath_config_static_selectorELNS0_4arch9wavefront6targetE0EEEvSO_.has_indirect_call, 0
	.section	.AMDGPU.csdata,"",@progbits
; Kernel info:
; codeLenInByte = 0
; TotalNumSgprs: 0
; NumVgprs: 0
; ScratchSize: 0
; MemoryBound: 0
; FloatMode: 240
; IeeeMode: 1
; LDSByteSize: 0 bytes/workgroup (compile time only)
; SGPRBlocks: 0
; VGPRBlocks: 0
; NumSGPRsForWavesPerEU: 1
; NumVGPRsForWavesPerEU: 1
; Occupancy: 16
; WaveLimiterHint : 0
; COMPUTE_PGM_RSRC2:SCRATCH_EN: 0
; COMPUTE_PGM_RSRC2:USER_SGPR: 6
; COMPUTE_PGM_RSRC2:TRAP_HANDLER: 0
; COMPUTE_PGM_RSRC2:TGID_X_EN: 1
; COMPUTE_PGM_RSRC2:TGID_Y_EN: 0
; COMPUTE_PGM_RSRC2:TGID_Z_EN: 0
; COMPUTE_PGM_RSRC2:TIDIG_COMP_CNT: 0
	.section	.text._ZN7rocprim17ROCPRIM_400000_NS6detail17trampoline_kernelINS0_14default_configENS1_38merge_sort_block_merge_config_selectorIjN6thrust23THRUST_200600_302600_NS5tupleIffNS6_9null_typeES8_S8_S8_S8_S8_S8_S8_EEEEZZNS1_27merge_sort_block_merge_implIS3_NS6_6detail15normal_iteratorINS6_10device_ptrIjEEEENSD_INSE_IS9_EEEEjNS1_19radix_merge_compareILb0ELb1EjNS0_19identity_decomposerEEEEE10hipError_tT0_T1_T2_jT3_P12ihipStream_tbPNSt15iterator_traitsISN_E10value_typeEPNST_ISO_E10value_typeEPSP_NS1_7vsmem_tEENKUlT_SN_SO_SP_E_clIPjSG_PS9_SI_EESM_S12_SN_SO_SP_EUlS12_E0_NS1_11comp_targetILNS1_3genE10ELNS1_11target_archE1201ELNS1_3gpuE5ELNS1_3repE0EEENS1_38merge_mergepath_config_static_selectorELNS0_4arch9wavefront6targetE0EEEvSO_,"axG",@progbits,_ZN7rocprim17ROCPRIM_400000_NS6detail17trampoline_kernelINS0_14default_configENS1_38merge_sort_block_merge_config_selectorIjN6thrust23THRUST_200600_302600_NS5tupleIffNS6_9null_typeES8_S8_S8_S8_S8_S8_S8_EEEEZZNS1_27merge_sort_block_merge_implIS3_NS6_6detail15normal_iteratorINS6_10device_ptrIjEEEENSD_INSE_IS9_EEEEjNS1_19radix_merge_compareILb0ELb1EjNS0_19identity_decomposerEEEEE10hipError_tT0_T1_T2_jT3_P12ihipStream_tbPNSt15iterator_traitsISN_E10value_typeEPNST_ISO_E10value_typeEPSP_NS1_7vsmem_tEENKUlT_SN_SO_SP_E_clIPjSG_PS9_SI_EESM_S12_SN_SO_SP_EUlS12_E0_NS1_11comp_targetILNS1_3genE10ELNS1_11target_archE1201ELNS1_3gpuE5ELNS1_3repE0EEENS1_38merge_mergepath_config_static_selectorELNS0_4arch9wavefront6targetE0EEEvSO_,comdat
	.protected	_ZN7rocprim17ROCPRIM_400000_NS6detail17trampoline_kernelINS0_14default_configENS1_38merge_sort_block_merge_config_selectorIjN6thrust23THRUST_200600_302600_NS5tupleIffNS6_9null_typeES8_S8_S8_S8_S8_S8_S8_EEEEZZNS1_27merge_sort_block_merge_implIS3_NS6_6detail15normal_iteratorINS6_10device_ptrIjEEEENSD_INSE_IS9_EEEEjNS1_19radix_merge_compareILb0ELb1EjNS0_19identity_decomposerEEEEE10hipError_tT0_T1_T2_jT3_P12ihipStream_tbPNSt15iterator_traitsISN_E10value_typeEPNST_ISO_E10value_typeEPSP_NS1_7vsmem_tEENKUlT_SN_SO_SP_E_clIPjSG_PS9_SI_EESM_S12_SN_SO_SP_EUlS12_E0_NS1_11comp_targetILNS1_3genE10ELNS1_11target_archE1201ELNS1_3gpuE5ELNS1_3repE0EEENS1_38merge_mergepath_config_static_selectorELNS0_4arch9wavefront6targetE0EEEvSO_ ; -- Begin function _ZN7rocprim17ROCPRIM_400000_NS6detail17trampoline_kernelINS0_14default_configENS1_38merge_sort_block_merge_config_selectorIjN6thrust23THRUST_200600_302600_NS5tupleIffNS6_9null_typeES8_S8_S8_S8_S8_S8_S8_EEEEZZNS1_27merge_sort_block_merge_implIS3_NS6_6detail15normal_iteratorINS6_10device_ptrIjEEEENSD_INSE_IS9_EEEEjNS1_19radix_merge_compareILb0ELb1EjNS0_19identity_decomposerEEEEE10hipError_tT0_T1_T2_jT3_P12ihipStream_tbPNSt15iterator_traitsISN_E10value_typeEPNST_ISO_E10value_typeEPSP_NS1_7vsmem_tEENKUlT_SN_SO_SP_E_clIPjSG_PS9_SI_EESM_S12_SN_SO_SP_EUlS12_E0_NS1_11comp_targetILNS1_3genE10ELNS1_11target_archE1201ELNS1_3gpuE5ELNS1_3repE0EEENS1_38merge_mergepath_config_static_selectorELNS0_4arch9wavefront6targetE0EEEvSO_
	.globl	_ZN7rocprim17ROCPRIM_400000_NS6detail17trampoline_kernelINS0_14default_configENS1_38merge_sort_block_merge_config_selectorIjN6thrust23THRUST_200600_302600_NS5tupleIffNS6_9null_typeES8_S8_S8_S8_S8_S8_S8_EEEEZZNS1_27merge_sort_block_merge_implIS3_NS6_6detail15normal_iteratorINS6_10device_ptrIjEEEENSD_INSE_IS9_EEEEjNS1_19radix_merge_compareILb0ELb1EjNS0_19identity_decomposerEEEEE10hipError_tT0_T1_T2_jT3_P12ihipStream_tbPNSt15iterator_traitsISN_E10value_typeEPNST_ISO_E10value_typeEPSP_NS1_7vsmem_tEENKUlT_SN_SO_SP_E_clIPjSG_PS9_SI_EESM_S12_SN_SO_SP_EUlS12_E0_NS1_11comp_targetILNS1_3genE10ELNS1_11target_archE1201ELNS1_3gpuE5ELNS1_3repE0EEENS1_38merge_mergepath_config_static_selectorELNS0_4arch9wavefront6targetE0EEEvSO_
	.p2align	8
	.type	_ZN7rocprim17ROCPRIM_400000_NS6detail17trampoline_kernelINS0_14default_configENS1_38merge_sort_block_merge_config_selectorIjN6thrust23THRUST_200600_302600_NS5tupleIffNS6_9null_typeES8_S8_S8_S8_S8_S8_S8_EEEEZZNS1_27merge_sort_block_merge_implIS3_NS6_6detail15normal_iteratorINS6_10device_ptrIjEEEENSD_INSE_IS9_EEEEjNS1_19radix_merge_compareILb0ELb1EjNS0_19identity_decomposerEEEEE10hipError_tT0_T1_T2_jT3_P12ihipStream_tbPNSt15iterator_traitsISN_E10value_typeEPNST_ISO_E10value_typeEPSP_NS1_7vsmem_tEENKUlT_SN_SO_SP_E_clIPjSG_PS9_SI_EESM_S12_SN_SO_SP_EUlS12_E0_NS1_11comp_targetILNS1_3genE10ELNS1_11target_archE1201ELNS1_3gpuE5ELNS1_3repE0EEENS1_38merge_mergepath_config_static_selectorELNS0_4arch9wavefront6targetE0EEEvSO_,@function
_ZN7rocprim17ROCPRIM_400000_NS6detail17trampoline_kernelINS0_14default_configENS1_38merge_sort_block_merge_config_selectorIjN6thrust23THRUST_200600_302600_NS5tupleIffNS6_9null_typeES8_S8_S8_S8_S8_S8_S8_EEEEZZNS1_27merge_sort_block_merge_implIS3_NS6_6detail15normal_iteratorINS6_10device_ptrIjEEEENSD_INSE_IS9_EEEEjNS1_19radix_merge_compareILb0ELb1EjNS0_19identity_decomposerEEEEE10hipError_tT0_T1_T2_jT3_P12ihipStream_tbPNSt15iterator_traitsISN_E10value_typeEPNST_ISO_E10value_typeEPSP_NS1_7vsmem_tEENKUlT_SN_SO_SP_E_clIPjSG_PS9_SI_EESM_S12_SN_SO_SP_EUlS12_E0_NS1_11comp_targetILNS1_3genE10ELNS1_11target_archE1201ELNS1_3gpuE5ELNS1_3repE0EEENS1_38merge_mergepath_config_static_selectorELNS0_4arch9wavefront6targetE0EEEvSO_: ; @_ZN7rocprim17ROCPRIM_400000_NS6detail17trampoline_kernelINS0_14default_configENS1_38merge_sort_block_merge_config_selectorIjN6thrust23THRUST_200600_302600_NS5tupleIffNS6_9null_typeES8_S8_S8_S8_S8_S8_S8_EEEEZZNS1_27merge_sort_block_merge_implIS3_NS6_6detail15normal_iteratorINS6_10device_ptrIjEEEENSD_INSE_IS9_EEEEjNS1_19radix_merge_compareILb0ELb1EjNS0_19identity_decomposerEEEEE10hipError_tT0_T1_T2_jT3_P12ihipStream_tbPNSt15iterator_traitsISN_E10value_typeEPNST_ISO_E10value_typeEPSP_NS1_7vsmem_tEENKUlT_SN_SO_SP_E_clIPjSG_PS9_SI_EESM_S12_SN_SO_SP_EUlS12_E0_NS1_11comp_targetILNS1_3genE10ELNS1_11target_archE1201ELNS1_3gpuE5ELNS1_3repE0EEENS1_38merge_mergepath_config_static_selectorELNS0_4arch9wavefront6targetE0EEEvSO_
; %bb.0:
	.section	.rodata,"a",@progbits
	.p2align	6, 0x0
	.amdhsa_kernel _ZN7rocprim17ROCPRIM_400000_NS6detail17trampoline_kernelINS0_14default_configENS1_38merge_sort_block_merge_config_selectorIjN6thrust23THRUST_200600_302600_NS5tupleIffNS6_9null_typeES8_S8_S8_S8_S8_S8_S8_EEEEZZNS1_27merge_sort_block_merge_implIS3_NS6_6detail15normal_iteratorINS6_10device_ptrIjEEEENSD_INSE_IS9_EEEEjNS1_19radix_merge_compareILb0ELb1EjNS0_19identity_decomposerEEEEE10hipError_tT0_T1_T2_jT3_P12ihipStream_tbPNSt15iterator_traitsISN_E10value_typeEPNST_ISO_E10value_typeEPSP_NS1_7vsmem_tEENKUlT_SN_SO_SP_E_clIPjSG_PS9_SI_EESM_S12_SN_SO_SP_EUlS12_E0_NS1_11comp_targetILNS1_3genE10ELNS1_11target_archE1201ELNS1_3gpuE5ELNS1_3repE0EEENS1_38merge_mergepath_config_static_selectorELNS0_4arch9wavefront6targetE0EEEvSO_
		.amdhsa_group_segment_fixed_size 0
		.amdhsa_private_segment_fixed_size 0
		.amdhsa_kernarg_size 64
		.amdhsa_user_sgpr_count 6
		.amdhsa_user_sgpr_private_segment_buffer 1
		.amdhsa_user_sgpr_dispatch_ptr 0
		.amdhsa_user_sgpr_queue_ptr 0
		.amdhsa_user_sgpr_kernarg_segment_ptr 1
		.amdhsa_user_sgpr_dispatch_id 0
		.amdhsa_user_sgpr_flat_scratch_init 0
		.amdhsa_user_sgpr_private_segment_size 0
		.amdhsa_wavefront_size32 1
		.amdhsa_uses_dynamic_stack 0
		.amdhsa_system_sgpr_private_segment_wavefront_offset 0
		.amdhsa_system_sgpr_workgroup_id_x 1
		.amdhsa_system_sgpr_workgroup_id_y 0
		.amdhsa_system_sgpr_workgroup_id_z 0
		.amdhsa_system_sgpr_workgroup_info 0
		.amdhsa_system_vgpr_workitem_id 0
		.amdhsa_next_free_vgpr 1
		.amdhsa_next_free_sgpr 1
		.amdhsa_reserve_vcc 0
		.amdhsa_reserve_flat_scratch 0
		.amdhsa_float_round_mode_32 0
		.amdhsa_float_round_mode_16_64 0
		.amdhsa_float_denorm_mode_32 3
		.amdhsa_float_denorm_mode_16_64 3
		.amdhsa_dx10_clamp 1
		.amdhsa_ieee_mode 1
		.amdhsa_fp16_overflow 0
		.amdhsa_workgroup_processor_mode 1
		.amdhsa_memory_ordered 1
		.amdhsa_forward_progress 1
		.amdhsa_shared_vgpr_count 0
		.amdhsa_exception_fp_ieee_invalid_op 0
		.amdhsa_exception_fp_denorm_src 0
		.amdhsa_exception_fp_ieee_div_zero 0
		.amdhsa_exception_fp_ieee_overflow 0
		.amdhsa_exception_fp_ieee_underflow 0
		.amdhsa_exception_fp_ieee_inexact 0
		.amdhsa_exception_int_div_zero 0
	.end_amdhsa_kernel
	.section	.text._ZN7rocprim17ROCPRIM_400000_NS6detail17trampoline_kernelINS0_14default_configENS1_38merge_sort_block_merge_config_selectorIjN6thrust23THRUST_200600_302600_NS5tupleIffNS6_9null_typeES8_S8_S8_S8_S8_S8_S8_EEEEZZNS1_27merge_sort_block_merge_implIS3_NS6_6detail15normal_iteratorINS6_10device_ptrIjEEEENSD_INSE_IS9_EEEEjNS1_19radix_merge_compareILb0ELb1EjNS0_19identity_decomposerEEEEE10hipError_tT0_T1_T2_jT3_P12ihipStream_tbPNSt15iterator_traitsISN_E10value_typeEPNST_ISO_E10value_typeEPSP_NS1_7vsmem_tEENKUlT_SN_SO_SP_E_clIPjSG_PS9_SI_EESM_S12_SN_SO_SP_EUlS12_E0_NS1_11comp_targetILNS1_3genE10ELNS1_11target_archE1201ELNS1_3gpuE5ELNS1_3repE0EEENS1_38merge_mergepath_config_static_selectorELNS0_4arch9wavefront6targetE0EEEvSO_,"axG",@progbits,_ZN7rocprim17ROCPRIM_400000_NS6detail17trampoline_kernelINS0_14default_configENS1_38merge_sort_block_merge_config_selectorIjN6thrust23THRUST_200600_302600_NS5tupleIffNS6_9null_typeES8_S8_S8_S8_S8_S8_S8_EEEEZZNS1_27merge_sort_block_merge_implIS3_NS6_6detail15normal_iteratorINS6_10device_ptrIjEEEENSD_INSE_IS9_EEEEjNS1_19radix_merge_compareILb0ELb1EjNS0_19identity_decomposerEEEEE10hipError_tT0_T1_T2_jT3_P12ihipStream_tbPNSt15iterator_traitsISN_E10value_typeEPNST_ISO_E10value_typeEPSP_NS1_7vsmem_tEENKUlT_SN_SO_SP_E_clIPjSG_PS9_SI_EESM_S12_SN_SO_SP_EUlS12_E0_NS1_11comp_targetILNS1_3genE10ELNS1_11target_archE1201ELNS1_3gpuE5ELNS1_3repE0EEENS1_38merge_mergepath_config_static_selectorELNS0_4arch9wavefront6targetE0EEEvSO_,comdat
.Lfunc_end100:
	.size	_ZN7rocprim17ROCPRIM_400000_NS6detail17trampoline_kernelINS0_14default_configENS1_38merge_sort_block_merge_config_selectorIjN6thrust23THRUST_200600_302600_NS5tupleIffNS6_9null_typeES8_S8_S8_S8_S8_S8_S8_EEEEZZNS1_27merge_sort_block_merge_implIS3_NS6_6detail15normal_iteratorINS6_10device_ptrIjEEEENSD_INSE_IS9_EEEEjNS1_19radix_merge_compareILb0ELb1EjNS0_19identity_decomposerEEEEE10hipError_tT0_T1_T2_jT3_P12ihipStream_tbPNSt15iterator_traitsISN_E10value_typeEPNST_ISO_E10value_typeEPSP_NS1_7vsmem_tEENKUlT_SN_SO_SP_E_clIPjSG_PS9_SI_EESM_S12_SN_SO_SP_EUlS12_E0_NS1_11comp_targetILNS1_3genE10ELNS1_11target_archE1201ELNS1_3gpuE5ELNS1_3repE0EEENS1_38merge_mergepath_config_static_selectorELNS0_4arch9wavefront6targetE0EEEvSO_, .Lfunc_end100-_ZN7rocprim17ROCPRIM_400000_NS6detail17trampoline_kernelINS0_14default_configENS1_38merge_sort_block_merge_config_selectorIjN6thrust23THRUST_200600_302600_NS5tupleIffNS6_9null_typeES8_S8_S8_S8_S8_S8_S8_EEEEZZNS1_27merge_sort_block_merge_implIS3_NS6_6detail15normal_iteratorINS6_10device_ptrIjEEEENSD_INSE_IS9_EEEEjNS1_19radix_merge_compareILb0ELb1EjNS0_19identity_decomposerEEEEE10hipError_tT0_T1_T2_jT3_P12ihipStream_tbPNSt15iterator_traitsISN_E10value_typeEPNST_ISO_E10value_typeEPSP_NS1_7vsmem_tEENKUlT_SN_SO_SP_E_clIPjSG_PS9_SI_EESM_S12_SN_SO_SP_EUlS12_E0_NS1_11comp_targetILNS1_3genE10ELNS1_11target_archE1201ELNS1_3gpuE5ELNS1_3repE0EEENS1_38merge_mergepath_config_static_selectorELNS0_4arch9wavefront6targetE0EEEvSO_
                                        ; -- End function
	.set _ZN7rocprim17ROCPRIM_400000_NS6detail17trampoline_kernelINS0_14default_configENS1_38merge_sort_block_merge_config_selectorIjN6thrust23THRUST_200600_302600_NS5tupleIffNS6_9null_typeES8_S8_S8_S8_S8_S8_S8_EEEEZZNS1_27merge_sort_block_merge_implIS3_NS6_6detail15normal_iteratorINS6_10device_ptrIjEEEENSD_INSE_IS9_EEEEjNS1_19radix_merge_compareILb0ELb1EjNS0_19identity_decomposerEEEEE10hipError_tT0_T1_T2_jT3_P12ihipStream_tbPNSt15iterator_traitsISN_E10value_typeEPNST_ISO_E10value_typeEPSP_NS1_7vsmem_tEENKUlT_SN_SO_SP_E_clIPjSG_PS9_SI_EESM_S12_SN_SO_SP_EUlS12_E0_NS1_11comp_targetILNS1_3genE10ELNS1_11target_archE1201ELNS1_3gpuE5ELNS1_3repE0EEENS1_38merge_mergepath_config_static_selectorELNS0_4arch9wavefront6targetE0EEEvSO_.num_vgpr, 0
	.set _ZN7rocprim17ROCPRIM_400000_NS6detail17trampoline_kernelINS0_14default_configENS1_38merge_sort_block_merge_config_selectorIjN6thrust23THRUST_200600_302600_NS5tupleIffNS6_9null_typeES8_S8_S8_S8_S8_S8_S8_EEEEZZNS1_27merge_sort_block_merge_implIS3_NS6_6detail15normal_iteratorINS6_10device_ptrIjEEEENSD_INSE_IS9_EEEEjNS1_19radix_merge_compareILb0ELb1EjNS0_19identity_decomposerEEEEE10hipError_tT0_T1_T2_jT3_P12ihipStream_tbPNSt15iterator_traitsISN_E10value_typeEPNST_ISO_E10value_typeEPSP_NS1_7vsmem_tEENKUlT_SN_SO_SP_E_clIPjSG_PS9_SI_EESM_S12_SN_SO_SP_EUlS12_E0_NS1_11comp_targetILNS1_3genE10ELNS1_11target_archE1201ELNS1_3gpuE5ELNS1_3repE0EEENS1_38merge_mergepath_config_static_selectorELNS0_4arch9wavefront6targetE0EEEvSO_.num_agpr, 0
	.set _ZN7rocprim17ROCPRIM_400000_NS6detail17trampoline_kernelINS0_14default_configENS1_38merge_sort_block_merge_config_selectorIjN6thrust23THRUST_200600_302600_NS5tupleIffNS6_9null_typeES8_S8_S8_S8_S8_S8_S8_EEEEZZNS1_27merge_sort_block_merge_implIS3_NS6_6detail15normal_iteratorINS6_10device_ptrIjEEEENSD_INSE_IS9_EEEEjNS1_19radix_merge_compareILb0ELb1EjNS0_19identity_decomposerEEEEE10hipError_tT0_T1_T2_jT3_P12ihipStream_tbPNSt15iterator_traitsISN_E10value_typeEPNST_ISO_E10value_typeEPSP_NS1_7vsmem_tEENKUlT_SN_SO_SP_E_clIPjSG_PS9_SI_EESM_S12_SN_SO_SP_EUlS12_E0_NS1_11comp_targetILNS1_3genE10ELNS1_11target_archE1201ELNS1_3gpuE5ELNS1_3repE0EEENS1_38merge_mergepath_config_static_selectorELNS0_4arch9wavefront6targetE0EEEvSO_.numbered_sgpr, 0
	.set _ZN7rocprim17ROCPRIM_400000_NS6detail17trampoline_kernelINS0_14default_configENS1_38merge_sort_block_merge_config_selectorIjN6thrust23THRUST_200600_302600_NS5tupleIffNS6_9null_typeES8_S8_S8_S8_S8_S8_S8_EEEEZZNS1_27merge_sort_block_merge_implIS3_NS6_6detail15normal_iteratorINS6_10device_ptrIjEEEENSD_INSE_IS9_EEEEjNS1_19radix_merge_compareILb0ELb1EjNS0_19identity_decomposerEEEEE10hipError_tT0_T1_T2_jT3_P12ihipStream_tbPNSt15iterator_traitsISN_E10value_typeEPNST_ISO_E10value_typeEPSP_NS1_7vsmem_tEENKUlT_SN_SO_SP_E_clIPjSG_PS9_SI_EESM_S12_SN_SO_SP_EUlS12_E0_NS1_11comp_targetILNS1_3genE10ELNS1_11target_archE1201ELNS1_3gpuE5ELNS1_3repE0EEENS1_38merge_mergepath_config_static_selectorELNS0_4arch9wavefront6targetE0EEEvSO_.num_named_barrier, 0
	.set _ZN7rocprim17ROCPRIM_400000_NS6detail17trampoline_kernelINS0_14default_configENS1_38merge_sort_block_merge_config_selectorIjN6thrust23THRUST_200600_302600_NS5tupleIffNS6_9null_typeES8_S8_S8_S8_S8_S8_S8_EEEEZZNS1_27merge_sort_block_merge_implIS3_NS6_6detail15normal_iteratorINS6_10device_ptrIjEEEENSD_INSE_IS9_EEEEjNS1_19radix_merge_compareILb0ELb1EjNS0_19identity_decomposerEEEEE10hipError_tT0_T1_T2_jT3_P12ihipStream_tbPNSt15iterator_traitsISN_E10value_typeEPNST_ISO_E10value_typeEPSP_NS1_7vsmem_tEENKUlT_SN_SO_SP_E_clIPjSG_PS9_SI_EESM_S12_SN_SO_SP_EUlS12_E0_NS1_11comp_targetILNS1_3genE10ELNS1_11target_archE1201ELNS1_3gpuE5ELNS1_3repE0EEENS1_38merge_mergepath_config_static_selectorELNS0_4arch9wavefront6targetE0EEEvSO_.private_seg_size, 0
	.set _ZN7rocprim17ROCPRIM_400000_NS6detail17trampoline_kernelINS0_14default_configENS1_38merge_sort_block_merge_config_selectorIjN6thrust23THRUST_200600_302600_NS5tupleIffNS6_9null_typeES8_S8_S8_S8_S8_S8_S8_EEEEZZNS1_27merge_sort_block_merge_implIS3_NS6_6detail15normal_iteratorINS6_10device_ptrIjEEEENSD_INSE_IS9_EEEEjNS1_19radix_merge_compareILb0ELb1EjNS0_19identity_decomposerEEEEE10hipError_tT0_T1_T2_jT3_P12ihipStream_tbPNSt15iterator_traitsISN_E10value_typeEPNST_ISO_E10value_typeEPSP_NS1_7vsmem_tEENKUlT_SN_SO_SP_E_clIPjSG_PS9_SI_EESM_S12_SN_SO_SP_EUlS12_E0_NS1_11comp_targetILNS1_3genE10ELNS1_11target_archE1201ELNS1_3gpuE5ELNS1_3repE0EEENS1_38merge_mergepath_config_static_selectorELNS0_4arch9wavefront6targetE0EEEvSO_.uses_vcc, 0
	.set _ZN7rocprim17ROCPRIM_400000_NS6detail17trampoline_kernelINS0_14default_configENS1_38merge_sort_block_merge_config_selectorIjN6thrust23THRUST_200600_302600_NS5tupleIffNS6_9null_typeES8_S8_S8_S8_S8_S8_S8_EEEEZZNS1_27merge_sort_block_merge_implIS3_NS6_6detail15normal_iteratorINS6_10device_ptrIjEEEENSD_INSE_IS9_EEEEjNS1_19radix_merge_compareILb0ELb1EjNS0_19identity_decomposerEEEEE10hipError_tT0_T1_T2_jT3_P12ihipStream_tbPNSt15iterator_traitsISN_E10value_typeEPNST_ISO_E10value_typeEPSP_NS1_7vsmem_tEENKUlT_SN_SO_SP_E_clIPjSG_PS9_SI_EESM_S12_SN_SO_SP_EUlS12_E0_NS1_11comp_targetILNS1_3genE10ELNS1_11target_archE1201ELNS1_3gpuE5ELNS1_3repE0EEENS1_38merge_mergepath_config_static_selectorELNS0_4arch9wavefront6targetE0EEEvSO_.uses_flat_scratch, 0
	.set _ZN7rocprim17ROCPRIM_400000_NS6detail17trampoline_kernelINS0_14default_configENS1_38merge_sort_block_merge_config_selectorIjN6thrust23THRUST_200600_302600_NS5tupleIffNS6_9null_typeES8_S8_S8_S8_S8_S8_S8_EEEEZZNS1_27merge_sort_block_merge_implIS3_NS6_6detail15normal_iteratorINS6_10device_ptrIjEEEENSD_INSE_IS9_EEEEjNS1_19radix_merge_compareILb0ELb1EjNS0_19identity_decomposerEEEEE10hipError_tT0_T1_T2_jT3_P12ihipStream_tbPNSt15iterator_traitsISN_E10value_typeEPNST_ISO_E10value_typeEPSP_NS1_7vsmem_tEENKUlT_SN_SO_SP_E_clIPjSG_PS9_SI_EESM_S12_SN_SO_SP_EUlS12_E0_NS1_11comp_targetILNS1_3genE10ELNS1_11target_archE1201ELNS1_3gpuE5ELNS1_3repE0EEENS1_38merge_mergepath_config_static_selectorELNS0_4arch9wavefront6targetE0EEEvSO_.has_dyn_sized_stack, 0
	.set _ZN7rocprim17ROCPRIM_400000_NS6detail17trampoline_kernelINS0_14default_configENS1_38merge_sort_block_merge_config_selectorIjN6thrust23THRUST_200600_302600_NS5tupleIffNS6_9null_typeES8_S8_S8_S8_S8_S8_S8_EEEEZZNS1_27merge_sort_block_merge_implIS3_NS6_6detail15normal_iteratorINS6_10device_ptrIjEEEENSD_INSE_IS9_EEEEjNS1_19radix_merge_compareILb0ELb1EjNS0_19identity_decomposerEEEEE10hipError_tT0_T1_T2_jT3_P12ihipStream_tbPNSt15iterator_traitsISN_E10value_typeEPNST_ISO_E10value_typeEPSP_NS1_7vsmem_tEENKUlT_SN_SO_SP_E_clIPjSG_PS9_SI_EESM_S12_SN_SO_SP_EUlS12_E0_NS1_11comp_targetILNS1_3genE10ELNS1_11target_archE1201ELNS1_3gpuE5ELNS1_3repE0EEENS1_38merge_mergepath_config_static_selectorELNS0_4arch9wavefront6targetE0EEEvSO_.has_recursion, 0
	.set _ZN7rocprim17ROCPRIM_400000_NS6detail17trampoline_kernelINS0_14default_configENS1_38merge_sort_block_merge_config_selectorIjN6thrust23THRUST_200600_302600_NS5tupleIffNS6_9null_typeES8_S8_S8_S8_S8_S8_S8_EEEEZZNS1_27merge_sort_block_merge_implIS3_NS6_6detail15normal_iteratorINS6_10device_ptrIjEEEENSD_INSE_IS9_EEEEjNS1_19radix_merge_compareILb0ELb1EjNS0_19identity_decomposerEEEEE10hipError_tT0_T1_T2_jT3_P12ihipStream_tbPNSt15iterator_traitsISN_E10value_typeEPNST_ISO_E10value_typeEPSP_NS1_7vsmem_tEENKUlT_SN_SO_SP_E_clIPjSG_PS9_SI_EESM_S12_SN_SO_SP_EUlS12_E0_NS1_11comp_targetILNS1_3genE10ELNS1_11target_archE1201ELNS1_3gpuE5ELNS1_3repE0EEENS1_38merge_mergepath_config_static_selectorELNS0_4arch9wavefront6targetE0EEEvSO_.has_indirect_call, 0
	.section	.AMDGPU.csdata,"",@progbits
; Kernel info:
; codeLenInByte = 0
; TotalNumSgprs: 0
; NumVgprs: 0
; ScratchSize: 0
; MemoryBound: 0
; FloatMode: 240
; IeeeMode: 1
; LDSByteSize: 0 bytes/workgroup (compile time only)
; SGPRBlocks: 0
; VGPRBlocks: 0
; NumSGPRsForWavesPerEU: 1
; NumVGPRsForWavesPerEU: 1
; Occupancy: 16
; WaveLimiterHint : 0
; COMPUTE_PGM_RSRC2:SCRATCH_EN: 0
; COMPUTE_PGM_RSRC2:USER_SGPR: 6
; COMPUTE_PGM_RSRC2:TRAP_HANDLER: 0
; COMPUTE_PGM_RSRC2:TGID_X_EN: 1
; COMPUTE_PGM_RSRC2:TGID_Y_EN: 0
; COMPUTE_PGM_RSRC2:TGID_Z_EN: 0
; COMPUTE_PGM_RSRC2:TIDIG_COMP_CNT: 0
	.section	.text._ZN7rocprim17ROCPRIM_400000_NS6detail17trampoline_kernelINS0_14default_configENS1_38merge_sort_block_merge_config_selectorIjN6thrust23THRUST_200600_302600_NS5tupleIffNS6_9null_typeES8_S8_S8_S8_S8_S8_S8_EEEEZZNS1_27merge_sort_block_merge_implIS3_NS6_6detail15normal_iteratorINS6_10device_ptrIjEEEENSD_INSE_IS9_EEEEjNS1_19radix_merge_compareILb0ELb1EjNS0_19identity_decomposerEEEEE10hipError_tT0_T1_T2_jT3_P12ihipStream_tbPNSt15iterator_traitsISN_E10value_typeEPNST_ISO_E10value_typeEPSP_NS1_7vsmem_tEENKUlT_SN_SO_SP_E_clIPjSG_PS9_SI_EESM_S12_SN_SO_SP_EUlS12_E0_NS1_11comp_targetILNS1_3genE5ELNS1_11target_archE942ELNS1_3gpuE9ELNS1_3repE0EEENS1_38merge_mergepath_config_static_selectorELNS0_4arch9wavefront6targetE0EEEvSO_,"axG",@progbits,_ZN7rocprim17ROCPRIM_400000_NS6detail17trampoline_kernelINS0_14default_configENS1_38merge_sort_block_merge_config_selectorIjN6thrust23THRUST_200600_302600_NS5tupleIffNS6_9null_typeES8_S8_S8_S8_S8_S8_S8_EEEEZZNS1_27merge_sort_block_merge_implIS3_NS6_6detail15normal_iteratorINS6_10device_ptrIjEEEENSD_INSE_IS9_EEEEjNS1_19radix_merge_compareILb0ELb1EjNS0_19identity_decomposerEEEEE10hipError_tT0_T1_T2_jT3_P12ihipStream_tbPNSt15iterator_traitsISN_E10value_typeEPNST_ISO_E10value_typeEPSP_NS1_7vsmem_tEENKUlT_SN_SO_SP_E_clIPjSG_PS9_SI_EESM_S12_SN_SO_SP_EUlS12_E0_NS1_11comp_targetILNS1_3genE5ELNS1_11target_archE942ELNS1_3gpuE9ELNS1_3repE0EEENS1_38merge_mergepath_config_static_selectorELNS0_4arch9wavefront6targetE0EEEvSO_,comdat
	.protected	_ZN7rocprim17ROCPRIM_400000_NS6detail17trampoline_kernelINS0_14default_configENS1_38merge_sort_block_merge_config_selectorIjN6thrust23THRUST_200600_302600_NS5tupleIffNS6_9null_typeES8_S8_S8_S8_S8_S8_S8_EEEEZZNS1_27merge_sort_block_merge_implIS3_NS6_6detail15normal_iteratorINS6_10device_ptrIjEEEENSD_INSE_IS9_EEEEjNS1_19radix_merge_compareILb0ELb1EjNS0_19identity_decomposerEEEEE10hipError_tT0_T1_T2_jT3_P12ihipStream_tbPNSt15iterator_traitsISN_E10value_typeEPNST_ISO_E10value_typeEPSP_NS1_7vsmem_tEENKUlT_SN_SO_SP_E_clIPjSG_PS9_SI_EESM_S12_SN_SO_SP_EUlS12_E0_NS1_11comp_targetILNS1_3genE5ELNS1_11target_archE942ELNS1_3gpuE9ELNS1_3repE0EEENS1_38merge_mergepath_config_static_selectorELNS0_4arch9wavefront6targetE0EEEvSO_ ; -- Begin function _ZN7rocprim17ROCPRIM_400000_NS6detail17trampoline_kernelINS0_14default_configENS1_38merge_sort_block_merge_config_selectorIjN6thrust23THRUST_200600_302600_NS5tupleIffNS6_9null_typeES8_S8_S8_S8_S8_S8_S8_EEEEZZNS1_27merge_sort_block_merge_implIS3_NS6_6detail15normal_iteratorINS6_10device_ptrIjEEEENSD_INSE_IS9_EEEEjNS1_19radix_merge_compareILb0ELb1EjNS0_19identity_decomposerEEEEE10hipError_tT0_T1_T2_jT3_P12ihipStream_tbPNSt15iterator_traitsISN_E10value_typeEPNST_ISO_E10value_typeEPSP_NS1_7vsmem_tEENKUlT_SN_SO_SP_E_clIPjSG_PS9_SI_EESM_S12_SN_SO_SP_EUlS12_E0_NS1_11comp_targetILNS1_3genE5ELNS1_11target_archE942ELNS1_3gpuE9ELNS1_3repE0EEENS1_38merge_mergepath_config_static_selectorELNS0_4arch9wavefront6targetE0EEEvSO_
	.globl	_ZN7rocprim17ROCPRIM_400000_NS6detail17trampoline_kernelINS0_14default_configENS1_38merge_sort_block_merge_config_selectorIjN6thrust23THRUST_200600_302600_NS5tupleIffNS6_9null_typeES8_S8_S8_S8_S8_S8_S8_EEEEZZNS1_27merge_sort_block_merge_implIS3_NS6_6detail15normal_iteratorINS6_10device_ptrIjEEEENSD_INSE_IS9_EEEEjNS1_19radix_merge_compareILb0ELb1EjNS0_19identity_decomposerEEEEE10hipError_tT0_T1_T2_jT3_P12ihipStream_tbPNSt15iterator_traitsISN_E10value_typeEPNST_ISO_E10value_typeEPSP_NS1_7vsmem_tEENKUlT_SN_SO_SP_E_clIPjSG_PS9_SI_EESM_S12_SN_SO_SP_EUlS12_E0_NS1_11comp_targetILNS1_3genE5ELNS1_11target_archE942ELNS1_3gpuE9ELNS1_3repE0EEENS1_38merge_mergepath_config_static_selectorELNS0_4arch9wavefront6targetE0EEEvSO_
	.p2align	8
	.type	_ZN7rocprim17ROCPRIM_400000_NS6detail17trampoline_kernelINS0_14default_configENS1_38merge_sort_block_merge_config_selectorIjN6thrust23THRUST_200600_302600_NS5tupleIffNS6_9null_typeES8_S8_S8_S8_S8_S8_S8_EEEEZZNS1_27merge_sort_block_merge_implIS3_NS6_6detail15normal_iteratorINS6_10device_ptrIjEEEENSD_INSE_IS9_EEEEjNS1_19radix_merge_compareILb0ELb1EjNS0_19identity_decomposerEEEEE10hipError_tT0_T1_T2_jT3_P12ihipStream_tbPNSt15iterator_traitsISN_E10value_typeEPNST_ISO_E10value_typeEPSP_NS1_7vsmem_tEENKUlT_SN_SO_SP_E_clIPjSG_PS9_SI_EESM_S12_SN_SO_SP_EUlS12_E0_NS1_11comp_targetILNS1_3genE5ELNS1_11target_archE942ELNS1_3gpuE9ELNS1_3repE0EEENS1_38merge_mergepath_config_static_selectorELNS0_4arch9wavefront6targetE0EEEvSO_,@function
_ZN7rocprim17ROCPRIM_400000_NS6detail17trampoline_kernelINS0_14default_configENS1_38merge_sort_block_merge_config_selectorIjN6thrust23THRUST_200600_302600_NS5tupleIffNS6_9null_typeES8_S8_S8_S8_S8_S8_S8_EEEEZZNS1_27merge_sort_block_merge_implIS3_NS6_6detail15normal_iteratorINS6_10device_ptrIjEEEENSD_INSE_IS9_EEEEjNS1_19radix_merge_compareILb0ELb1EjNS0_19identity_decomposerEEEEE10hipError_tT0_T1_T2_jT3_P12ihipStream_tbPNSt15iterator_traitsISN_E10value_typeEPNST_ISO_E10value_typeEPSP_NS1_7vsmem_tEENKUlT_SN_SO_SP_E_clIPjSG_PS9_SI_EESM_S12_SN_SO_SP_EUlS12_E0_NS1_11comp_targetILNS1_3genE5ELNS1_11target_archE942ELNS1_3gpuE9ELNS1_3repE0EEENS1_38merge_mergepath_config_static_selectorELNS0_4arch9wavefront6targetE0EEEvSO_: ; @_ZN7rocprim17ROCPRIM_400000_NS6detail17trampoline_kernelINS0_14default_configENS1_38merge_sort_block_merge_config_selectorIjN6thrust23THRUST_200600_302600_NS5tupleIffNS6_9null_typeES8_S8_S8_S8_S8_S8_S8_EEEEZZNS1_27merge_sort_block_merge_implIS3_NS6_6detail15normal_iteratorINS6_10device_ptrIjEEEENSD_INSE_IS9_EEEEjNS1_19radix_merge_compareILb0ELb1EjNS0_19identity_decomposerEEEEE10hipError_tT0_T1_T2_jT3_P12ihipStream_tbPNSt15iterator_traitsISN_E10value_typeEPNST_ISO_E10value_typeEPSP_NS1_7vsmem_tEENKUlT_SN_SO_SP_E_clIPjSG_PS9_SI_EESM_S12_SN_SO_SP_EUlS12_E0_NS1_11comp_targetILNS1_3genE5ELNS1_11target_archE942ELNS1_3gpuE9ELNS1_3repE0EEENS1_38merge_mergepath_config_static_selectorELNS0_4arch9wavefront6targetE0EEEvSO_
; %bb.0:
	.section	.rodata,"a",@progbits
	.p2align	6, 0x0
	.amdhsa_kernel _ZN7rocprim17ROCPRIM_400000_NS6detail17trampoline_kernelINS0_14default_configENS1_38merge_sort_block_merge_config_selectorIjN6thrust23THRUST_200600_302600_NS5tupleIffNS6_9null_typeES8_S8_S8_S8_S8_S8_S8_EEEEZZNS1_27merge_sort_block_merge_implIS3_NS6_6detail15normal_iteratorINS6_10device_ptrIjEEEENSD_INSE_IS9_EEEEjNS1_19radix_merge_compareILb0ELb1EjNS0_19identity_decomposerEEEEE10hipError_tT0_T1_T2_jT3_P12ihipStream_tbPNSt15iterator_traitsISN_E10value_typeEPNST_ISO_E10value_typeEPSP_NS1_7vsmem_tEENKUlT_SN_SO_SP_E_clIPjSG_PS9_SI_EESM_S12_SN_SO_SP_EUlS12_E0_NS1_11comp_targetILNS1_3genE5ELNS1_11target_archE942ELNS1_3gpuE9ELNS1_3repE0EEENS1_38merge_mergepath_config_static_selectorELNS0_4arch9wavefront6targetE0EEEvSO_
		.amdhsa_group_segment_fixed_size 0
		.amdhsa_private_segment_fixed_size 0
		.amdhsa_kernarg_size 64
		.amdhsa_user_sgpr_count 6
		.amdhsa_user_sgpr_private_segment_buffer 1
		.amdhsa_user_sgpr_dispatch_ptr 0
		.amdhsa_user_sgpr_queue_ptr 0
		.amdhsa_user_sgpr_kernarg_segment_ptr 1
		.amdhsa_user_sgpr_dispatch_id 0
		.amdhsa_user_sgpr_flat_scratch_init 0
		.amdhsa_user_sgpr_private_segment_size 0
		.amdhsa_wavefront_size32 1
		.amdhsa_uses_dynamic_stack 0
		.amdhsa_system_sgpr_private_segment_wavefront_offset 0
		.amdhsa_system_sgpr_workgroup_id_x 1
		.amdhsa_system_sgpr_workgroup_id_y 0
		.amdhsa_system_sgpr_workgroup_id_z 0
		.amdhsa_system_sgpr_workgroup_info 0
		.amdhsa_system_vgpr_workitem_id 0
		.amdhsa_next_free_vgpr 1
		.amdhsa_next_free_sgpr 1
		.amdhsa_reserve_vcc 0
		.amdhsa_reserve_flat_scratch 0
		.amdhsa_float_round_mode_32 0
		.amdhsa_float_round_mode_16_64 0
		.amdhsa_float_denorm_mode_32 3
		.amdhsa_float_denorm_mode_16_64 3
		.amdhsa_dx10_clamp 1
		.amdhsa_ieee_mode 1
		.amdhsa_fp16_overflow 0
		.amdhsa_workgroup_processor_mode 1
		.amdhsa_memory_ordered 1
		.amdhsa_forward_progress 1
		.amdhsa_shared_vgpr_count 0
		.amdhsa_exception_fp_ieee_invalid_op 0
		.amdhsa_exception_fp_denorm_src 0
		.amdhsa_exception_fp_ieee_div_zero 0
		.amdhsa_exception_fp_ieee_overflow 0
		.amdhsa_exception_fp_ieee_underflow 0
		.amdhsa_exception_fp_ieee_inexact 0
		.amdhsa_exception_int_div_zero 0
	.end_amdhsa_kernel
	.section	.text._ZN7rocprim17ROCPRIM_400000_NS6detail17trampoline_kernelINS0_14default_configENS1_38merge_sort_block_merge_config_selectorIjN6thrust23THRUST_200600_302600_NS5tupleIffNS6_9null_typeES8_S8_S8_S8_S8_S8_S8_EEEEZZNS1_27merge_sort_block_merge_implIS3_NS6_6detail15normal_iteratorINS6_10device_ptrIjEEEENSD_INSE_IS9_EEEEjNS1_19radix_merge_compareILb0ELb1EjNS0_19identity_decomposerEEEEE10hipError_tT0_T1_T2_jT3_P12ihipStream_tbPNSt15iterator_traitsISN_E10value_typeEPNST_ISO_E10value_typeEPSP_NS1_7vsmem_tEENKUlT_SN_SO_SP_E_clIPjSG_PS9_SI_EESM_S12_SN_SO_SP_EUlS12_E0_NS1_11comp_targetILNS1_3genE5ELNS1_11target_archE942ELNS1_3gpuE9ELNS1_3repE0EEENS1_38merge_mergepath_config_static_selectorELNS0_4arch9wavefront6targetE0EEEvSO_,"axG",@progbits,_ZN7rocprim17ROCPRIM_400000_NS6detail17trampoline_kernelINS0_14default_configENS1_38merge_sort_block_merge_config_selectorIjN6thrust23THRUST_200600_302600_NS5tupleIffNS6_9null_typeES8_S8_S8_S8_S8_S8_S8_EEEEZZNS1_27merge_sort_block_merge_implIS3_NS6_6detail15normal_iteratorINS6_10device_ptrIjEEEENSD_INSE_IS9_EEEEjNS1_19radix_merge_compareILb0ELb1EjNS0_19identity_decomposerEEEEE10hipError_tT0_T1_T2_jT3_P12ihipStream_tbPNSt15iterator_traitsISN_E10value_typeEPNST_ISO_E10value_typeEPSP_NS1_7vsmem_tEENKUlT_SN_SO_SP_E_clIPjSG_PS9_SI_EESM_S12_SN_SO_SP_EUlS12_E0_NS1_11comp_targetILNS1_3genE5ELNS1_11target_archE942ELNS1_3gpuE9ELNS1_3repE0EEENS1_38merge_mergepath_config_static_selectorELNS0_4arch9wavefront6targetE0EEEvSO_,comdat
.Lfunc_end101:
	.size	_ZN7rocprim17ROCPRIM_400000_NS6detail17trampoline_kernelINS0_14default_configENS1_38merge_sort_block_merge_config_selectorIjN6thrust23THRUST_200600_302600_NS5tupleIffNS6_9null_typeES8_S8_S8_S8_S8_S8_S8_EEEEZZNS1_27merge_sort_block_merge_implIS3_NS6_6detail15normal_iteratorINS6_10device_ptrIjEEEENSD_INSE_IS9_EEEEjNS1_19radix_merge_compareILb0ELb1EjNS0_19identity_decomposerEEEEE10hipError_tT0_T1_T2_jT3_P12ihipStream_tbPNSt15iterator_traitsISN_E10value_typeEPNST_ISO_E10value_typeEPSP_NS1_7vsmem_tEENKUlT_SN_SO_SP_E_clIPjSG_PS9_SI_EESM_S12_SN_SO_SP_EUlS12_E0_NS1_11comp_targetILNS1_3genE5ELNS1_11target_archE942ELNS1_3gpuE9ELNS1_3repE0EEENS1_38merge_mergepath_config_static_selectorELNS0_4arch9wavefront6targetE0EEEvSO_, .Lfunc_end101-_ZN7rocprim17ROCPRIM_400000_NS6detail17trampoline_kernelINS0_14default_configENS1_38merge_sort_block_merge_config_selectorIjN6thrust23THRUST_200600_302600_NS5tupleIffNS6_9null_typeES8_S8_S8_S8_S8_S8_S8_EEEEZZNS1_27merge_sort_block_merge_implIS3_NS6_6detail15normal_iteratorINS6_10device_ptrIjEEEENSD_INSE_IS9_EEEEjNS1_19radix_merge_compareILb0ELb1EjNS0_19identity_decomposerEEEEE10hipError_tT0_T1_T2_jT3_P12ihipStream_tbPNSt15iterator_traitsISN_E10value_typeEPNST_ISO_E10value_typeEPSP_NS1_7vsmem_tEENKUlT_SN_SO_SP_E_clIPjSG_PS9_SI_EESM_S12_SN_SO_SP_EUlS12_E0_NS1_11comp_targetILNS1_3genE5ELNS1_11target_archE942ELNS1_3gpuE9ELNS1_3repE0EEENS1_38merge_mergepath_config_static_selectorELNS0_4arch9wavefront6targetE0EEEvSO_
                                        ; -- End function
	.set _ZN7rocprim17ROCPRIM_400000_NS6detail17trampoline_kernelINS0_14default_configENS1_38merge_sort_block_merge_config_selectorIjN6thrust23THRUST_200600_302600_NS5tupleIffNS6_9null_typeES8_S8_S8_S8_S8_S8_S8_EEEEZZNS1_27merge_sort_block_merge_implIS3_NS6_6detail15normal_iteratorINS6_10device_ptrIjEEEENSD_INSE_IS9_EEEEjNS1_19radix_merge_compareILb0ELb1EjNS0_19identity_decomposerEEEEE10hipError_tT0_T1_T2_jT3_P12ihipStream_tbPNSt15iterator_traitsISN_E10value_typeEPNST_ISO_E10value_typeEPSP_NS1_7vsmem_tEENKUlT_SN_SO_SP_E_clIPjSG_PS9_SI_EESM_S12_SN_SO_SP_EUlS12_E0_NS1_11comp_targetILNS1_3genE5ELNS1_11target_archE942ELNS1_3gpuE9ELNS1_3repE0EEENS1_38merge_mergepath_config_static_selectorELNS0_4arch9wavefront6targetE0EEEvSO_.num_vgpr, 0
	.set _ZN7rocprim17ROCPRIM_400000_NS6detail17trampoline_kernelINS0_14default_configENS1_38merge_sort_block_merge_config_selectorIjN6thrust23THRUST_200600_302600_NS5tupleIffNS6_9null_typeES8_S8_S8_S8_S8_S8_S8_EEEEZZNS1_27merge_sort_block_merge_implIS3_NS6_6detail15normal_iteratorINS6_10device_ptrIjEEEENSD_INSE_IS9_EEEEjNS1_19radix_merge_compareILb0ELb1EjNS0_19identity_decomposerEEEEE10hipError_tT0_T1_T2_jT3_P12ihipStream_tbPNSt15iterator_traitsISN_E10value_typeEPNST_ISO_E10value_typeEPSP_NS1_7vsmem_tEENKUlT_SN_SO_SP_E_clIPjSG_PS9_SI_EESM_S12_SN_SO_SP_EUlS12_E0_NS1_11comp_targetILNS1_3genE5ELNS1_11target_archE942ELNS1_3gpuE9ELNS1_3repE0EEENS1_38merge_mergepath_config_static_selectorELNS0_4arch9wavefront6targetE0EEEvSO_.num_agpr, 0
	.set _ZN7rocprim17ROCPRIM_400000_NS6detail17trampoline_kernelINS0_14default_configENS1_38merge_sort_block_merge_config_selectorIjN6thrust23THRUST_200600_302600_NS5tupleIffNS6_9null_typeES8_S8_S8_S8_S8_S8_S8_EEEEZZNS1_27merge_sort_block_merge_implIS3_NS6_6detail15normal_iteratorINS6_10device_ptrIjEEEENSD_INSE_IS9_EEEEjNS1_19radix_merge_compareILb0ELb1EjNS0_19identity_decomposerEEEEE10hipError_tT0_T1_T2_jT3_P12ihipStream_tbPNSt15iterator_traitsISN_E10value_typeEPNST_ISO_E10value_typeEPSP_NS1_7vsmem_tEENKUlT_SN_SO_SP_E_clIPjSG_PS9_SI_EESM_S12_SN_SO_SP_EUlS12_E0_NS1_11comp_targetILNS1_3genE5ELNS1_11target_archE942ELNS1_3gpuE9ELNS1_3repE0EEENS1_38merge_mergepath_config_static_selectorELNS0_4arch9wavefront6targetE0EEEvSO_.numbered_sgpr, 0
	.set _ZN7rocprim17ROCPRIM_400000_NS6detail17trampoline_kernelINS0_14default_configENS1_38merge_sort_block_merge_config_selectorIjN6thrust23THRUST_200600_302600_NS5tupleIffNS6_9null_typeES8_S8_S8_S8_S8_S8_S8_EEEEZZNS1_27merge_sort_block_merge_implIS3_NS6_6detail15normal_iteratorINS6_10device_ptrIjEEEENSD_INSE_IS9_EEEEjNS1_19radix_merge_compareILb0ELb1EjNS0_19identity_decomposerEEEEE10hipError_tT0_T1_T2_jT3_P12ihipStream_tbPNSt15iterator_traitsISN_E10value_typeEPNST_ISO_E10value_typeEPSP_NS1_7vsmem_tEENKUlT_SN_SO_SP_E_clIPjSG_PS9_SI_EESM_S12_SN_SO_SP_EUlS12_E0_NS1_11comp_targetILNS1_3genE5ELNS1_11target_archE942ELNS1_3gpuE9ELNS1_3repE0EEENS1_38merge_mergepath_config_static_selectorELNS0_4arch9wavefront6targetE0EEEvSO_.num_named_barrier, 0
	.set _ZN7rocprim17ROCPRIM_400000_NS6detail17trampoline_kernelINS0_14default_configENS1_38merge_sort_block_merge_config_selectorIjN6thrust23THRUST_200600_302600_NS5tupleIffNS6_9null_typeES8_S8_S8_S8_S8_S8_S8_EEEEZZNS1_27merge_sort_block_merge_implIS3_NS6_6detail15normal_iteratorINS6_10device_ptrIjEEEENSD_INSE_IS9_EEEEjNS1_19radix_merge_compareILb0ELb1EjNS0_19identity_decomposerEEEEE10hipError_tT0_T1_T2_jT3_P12ihipStream_tbPNSt15iterator_traitsISN_E10value_typeEPNST_ISO_E10value_typeEPSP_NS1_7vsmem_tEENKUlT_SN_SO_SP_E_clIPjSG_PS9_SI_EESM_S12_SN_SO_SP_EUlS12_E0_NS1_11comp_targetILNS1_3genE5ELNS1_11target_archE942ELNS1_3gpuE9ELNS1_3repE0EEENS1_38merge_mergepath_config_static_selectorELNS0_4arch9wavefront6targetE0EEEvSO_.private_seg_size, 0
	.set _ZN7rocprim17ROCPRIM_400000_NS6detail17trampoline_kernelINS0_14default_configENS1_38merge_sort_block_merge_config_selectorIjN6thrust23THRUST_200600_302600_NS5tupleIffNS6_9null_typeES8_S8_S8_S8_S8_S8_S8_EEEEZZNS1_27merge_sort_block_merge_implIS3_NS6_6detail15normal_iteratorINS6_10device_ptrIjEEEENSD_INSE_IS9_EEEEjNS1_19radix_merge_compareILb0ELb1EjNS0_19identity_decomposerEEEEE10hipError_tT0_T1_T2_jT3_P12ihipStream_tbPNSt15iterator_traitsISN_E10value_typeEPNST_ISO_E10value_typeEPSP_NS1_7vsmem_tEENKUlT_SN_SO_SP_E_clIPjSG_PS9_SI_EESM_S12_SN_SO_SP_EUlS12_E0_NS1_11comp_targetILNS1_3genE5ELNS1_11target_archE942ELNS1_3gpuE9ELNS1_3repE0EEENS1_38merge_mergepath_config_static_selectorELNS0_4arch9wavefront6targetE0EEEvSO_.uses_vcc, 0
	.set _ZN7rocprim17ROCPRIM_400000_NS6detail17trampoline_kernelINS0_14default_configENS1_38merge_sort_block_merge_config_selectorIjN6thrust23THRUST_200600_302600_NS5tupleIffNS6_9null_typeES8_S8_S8_S8_S8_S8_S8_EEEEZZNS1_27merge_sort_block_merge_implIS3_NS6_6detail15normal_iteratorINS6_10device_ptrIjEEEENSD_INSE_IS9_EEEEjNS1_19radix_merge_compareILb0ELb1EjNS0_19identity_decomposerEEEEE10hipError_tT0_T1_T2_jT3_P12ihipStream_tbPNSt15iterator_traitsISN_E10value_typeEPNST_ISO_E10value_typeEPSP_NS1_7vsmem_tEENKUlT_SN_SO_SP_E_clIPjSG_PS9_SI_EESM_S12_SN_SO_SP_EUlS12_E0_NS1_11comp_targetILNS1_3genE5ELNS1_11target_archE942ELNS1_3gpuE9ELNS1_3repE0EEENS1_38merge_mergepath_config_static_selectorELNS0_4arch9wavefront6targetE0EEEvSO_.uses_flat_scratch, 0
	.set _ZN7rocprim17ROCPRIM_400000_NS6detail17trampoline_kernelINS0_14default_configENS1_38merge_sort_block_merge_config_selectorIjN6thrust23THRUST_200600_302600_NS5tupleIffNS6_9null_typeES8_S8_S8_S8_S8_S8_S8_EEEEZZNS1_27merge_sort_block_merge_implIS3_NS6_6detail15normal_iteratorINS6_10device_ptrIjEEEENSD_INSE_IS9_EEEEjNS1_19radix_merge_compareILb0ELb1EjNS0_19identity_decomposerEEEEE10hipError_tT0_T1_T2_jT3_P12ihipStream_tbPNSt15iterator_traitsISN_E10value_typeEPNST_ISO_E10value_typeEPSP_NS1_7vsmem_tEENKUlT_SN_SO_SP_E_clIPjSG_PS9_SI_EESM_S12_SN_SO_SP_EUlS12_E0_NS1_11comp_targetILNS1_3genE5ELNS1_11target_archE942ELNS1_3gpuE9ELNS1_3repE0EEENS1_38merge_mergepath_config_static_selectorELNS0_4arch9wavefront6targetE0EEEvSO_.has_dyn_sized_stack, 0
	.set _ZN7rocprim17ROCPRIM_400000_NS6detail17trampoline_kernelINS0_14default_configENS1_38merge_sort_block_merge_config_selectorIjN6thrust23THRUST_200600_302600_NS5tupleIffNS6_9null_typeES8_S8_S8_S8_S8_S8_S8_EEEEZZNS1_27merge_sort_block_merge_implIS3_NS6_6detail15normal_iteratorINS6_10device_ptrIjEEEENSD_INSE_IS9_EEEEjNS1_19radix_merge_compareILb0ELb1EjNS0_19identity_decomposerEEEEE10hipError_tT0_T1_T2_jT3_P12ihipStream_tbPNSt15iterator_traitsISN_E10value_typeEPNST_ISO_E10value_typeEPSP_NS1_7vsmem_tEENKUlT_SN_SO_SP_E_clIPjSG_PS9_SI_EESM_S12_SN_SO_SP_EUlS12_E0_NS1_11comp_targetILNS1_3genE5ELNS1_11target_archE942ELNS1_3gpuE9ELNS1_3repE0EEENS1_38merge_mergepath_config_static_selectorELNS0_4arch9wavefront6targetE0EEEvSO_.has_recursion, 0
	.set _ZN7rocprim17ROCPRIM_400000_NS6detail17trampoline_kernelINS0_14default_configENS1_38merge_sort_block_merge_config_selectorIjN6thrust23THRUST_200600_302600_NS5tupleIffNS6_9null_typeES8_S8_S8_S8_S8_S8_S8_EEEEZZNS1_27merge_sort_block_merge_implIS3_NS6_6detail15normal_iteratorINS6_10device_ptrIjEEEENSD_INSE_IS9_EEEEjNS1_19radix_merge_compareILb0ELb1EjNS0_19identity_decomposerEEEEE10hipError_tT0_T1_T2_jT3_P12ihipStream_tbPNSt15iterator_traitsISN_E10value_typeEPNST_ISO_E10value_typeEPSP_NS1_7vsmem_tEENKUlT_SN_SO_SP_E_clIPjSG_PS9_SI_EESM_S12_SN_SO_SP_EUlS12_E0_NS1_11comp_targetILNS1_3genE5ELNS1_11target_archE942ELNS1_3gpuE9ELNS1_3repE0EEENS1_38merge_mergepath_config_static_selectorELNS0_4arch9wavefront6targetE0EEEvSO_.has_indirect_call, 0
	.section	.AMDGPU.csdata,"",@progbits
; Kernel info:
; codeLenInByte = 0
; TotalNumSgprs: 0
; NumVgprs: 0
; ScratchSize: 0
; MemoryBound: 0
; FloatMode: 240
; IeeeMode: 1
; LDSByteSize: 0 bytes/workgroup (compile time only)
; SGPRBlocks: 0
; VGPRBlocks: 0
; NumSGPRsForWavesPerEU: 1
; NumVGPRsForWavesPerEU: 1
; Occupancy: 16
; WaveLimiterHint : 0
; COMPUTE_PGM_RSRC2:SCRATCH_EN: 0
; COMPUTE_PGM_RSRC2:USER_SGPR: 6
; COMPUTE_PGM_RSRC2:TRAP_HANDLER: 0
; COMPUTE_PGM_RSRC2:TGID_X_EN: 1
; COMPUTE_PGM_RSRC2:TGID_Y_EN: 0
; COMPUTE_PGM_RSRC2:TGID_Z_EN: 0
; COMPUTE_PGM_RSRC2:TIDIG_COMP_CNT: 0
	.section	.text._ZN7rocprim17ROCPRIM_400000_NS6detail17trampoline_kernelINS0_14default_configENS1_38merge_sort_block_merge_config_selectorIjN6thrust23THRUST_200600_302600_NS5tupleIffNS6_9null_typeES8_S8_S8_S8_S8_S8_S8_EEEEZZNS1_27merge_sort_block_merge_implIS3_NS6_6detail15normal_iteratorINS6_10device_ptrIjEEEENSD_INSE_IS9_EEEEjNS1_19radix_merge_compareILb0ELb1EjNS0_19identity_decomposerEEEEE10hipError_tT0_T1_T2_jT3_P12ihipStream_tbPNSt15iterator_traitsISN_E10value_typeEPNST_ISO_E10value_typeEPSP_NS1_7vsmem_tEENKUlT_SN_SO_SP_E_clIPjSG_PS9_SI_EESM_S12_SN_SO_SP_EUlS12_E0_NS1_11comp_targetILNS1_3genE4ELNS1_11target_archE910ELNS1_3gpuE8ELNS1_3repE0EEENS1_38merge_mergepath_config_static_selectorELNS0_4arch9wavefront6targetE0EEEvSO_,"axG",@progbits,_ZN7rocprim17ROCPRIM_400000_NS6detail17trampoline_kernelINS0_14default_configENS1_38merge_sort_block_merge_config_selectorIjN6thrust23THRUST_200600_302600_NS5tupleIffNS6_9null_typeES8_S8_S8_S8_S8_S8_S8_EEEEZZNS1_27merge_sort_block_merge_implIS3_NS6_6detail15normal_iteratorINS6_10device_ptrIjEEEENSD_INSE_IS9_EEEEjNS1_19radix_merge_compareILb0ELb1EjNS0_19identity_decomposerEEEEE10hipError_tT0_T1_T2_jT3_P12ihipStream_tbPNSt15iterator_traitsISN_E10value_typeEPNST_ISO_E10value_typeEPSP_NS1_7vsmem_tEENKUlT_SN_SO_SP_E_clIPjSG_PS9_SI_EESM_S12_SN_SO_SP_EUlS12_E0_NS1_11comp_targetILNS1_3genE4ELNS1_11target_archE910ELNS1_3gpuE8ELNS1_3repE0EEENS1_38merge_mergepath_config_static_selectorELNS0_4arch9wavefront6targetE0EEEvSO_,comdat
	.protected	_ZN7rocprim17ROCPRIM_400000_NS6detail17trampoline_kernelINS0_14default_configENS1_38merge_sort_block_merge_config_selectorIjN6thrust23THRUST_200600_302600_NS5tupleIffNS6_9null_typeES8_S8_S8_S8_S8_S8_S8_EEEEZZNS1_27merge_sort_block_merge_implIS3_NS6_6detail15normal_iteratorINS6_10device_ptrIjEEEENSD_INSE_IS9_EEEEjNS1_19radix_merge_compareILb0ELb1EjNS0_19identity_decomposerEEEEE10hipError_tT0_T1_T2_jT3_P12ihipStream_tbPNSt15iterator_traitsISN_E10value_typeEPNST_ISO_E10value_typeEPSP_NS1_7vsmem_tEENKUlT_SN_SO_SP_E_clIPjSG_PS9_SI_EESM_S12_SN_SO_SP_EUlS12_E0_NS1_11comp_targetILNS1_3genE4ELNS1_11target_archE910ELNS1_3gpuE8ELNS1_3repE0EEENS1_38merge_mergepath_config_static_selectorELNS0_4arch9wavefront6targetE0EEEvSO_ ; -- Begin function _ZN7rocprim17ROCPRIM_400000_NS6detail17trampoline_kernelINS0_14default_configENS1_38merge_sort_block_merge_config_selectorIjN6thrust23THRUST_200600_302600_NS5tupleIffNS6_9null_typeES8_S8_S8_S8_S8_S8_S8_EEEEZZNS1_27merge_sort_block_merge_implIS3_NS6_6detail15normal_iteratorINS6_10device_ptrIjEEEENSD_INSE_IS9_EEEEjNS1_19radix_merge_compareILb0ELb1EjNS0_19identity_decomposerEEEEE10hipError_tT0_T1_T2_jT3_P12ihipStream_tbPNSt15iterator_traitsISN_E10value_typeEPNST_ISO_E10value_typeEPSP_NS1_7vsmem_tEENKUlT_SN_SO_SP_E_clIPjSG_PS9_SI_EESM_S12_SN_SO_SP_EUlS12_E0_NS1_11comp_targetILNS1_3genE4ELNS1_11target_archE910ELNS1_3gpuE8ELNS1_3repE0EEENS1_38merge_mergepath_config_static_selectorELNS0_4arch9wavefront6targetE0EEEvSO_
	.globl	_ZN7rocprim17ROCPRIM_400000_NS6detail17trampoline_kernelINS0_14default_configENS1_38merge_sort_block_merge_config_selectorIjN6thrust23THRUST_200600_302600_NS5tupleIffNS6_9null_typeES8_S8_S8_S8_S8_S8_S8_EEEEZZNS1_27merge_sort_block_merge_implIS3_NS6_6detail15normal_iteratorINS6_10device_ptrIjEEEENSD_INSE_IS9_EEEEjNS1_19radix_merge_compareILb0ELb1EjNS0_19identity_decomposerEEEEE10hipError_tT0_T1_T2_jT3_P12ihipStream_tbPNSt15iterator_traitsISN_E10value_typeEPNST_ISO_E10value_typeEPSP_NS1_7vsmem_tEENKUlT_SN_SO_SP_E_clIPjSG_PS9_SI_EESM_S12_SN_SO_SP_EUlS12_E0_NS1_11comp_targetILNS1_3genE4ELNS1_11target_archE910ELNS1_3gpuE8ELNS1_3repE0EEENS1_38merge_mergepath_config_static_selectorELNS0_4arch9wavefront6targetE0EEEvSO_
	.p2align	8
	.type	_ZN7rocprim17ROCPRIM_400000_NS6detail17trampoline_kernelINS0_14default_configENS1_38merge_sort_block_merge_config_selectorIjN6thrust23THRUST_200600_302600_NS5tupleIffNS6_9null_typeES8_S8_S8_S8_S8_S8_S8_EEEEZZNS1_27merge_sort_block_merge_implIS3_NS6_6detail15normal_iteratorINS6_10device_ptrIjEEEENSD_INSE_IS9_EEEEjNS1_19radix_merge_compareILb0ELb1EjNS0_19identity_decomposerEEEEE10hipError_tT0_T1_T2_jT3_P12ihipStream_tbPNSt15iterator_traitsISN_E10value_typeEPNST_ISO_E10value_typeEPSP_NS1_7vsmem_tEENKUlT_SN_SO_SP_E_clIPjSG_PS9_SI_EESM_S12_SN_SO_SP_EUlS12_E0_NS1_11comp_targetILNS1_3genE4ELNS1_11target_archE910ELNS1_3gpuE8ELNS1_3repE0EEENS1_38merge_mergepath_config_static_selectorELNS0_4arch9wavefront6targetE0EEEvSO_,@function
_ZN7rocprim17ROCPRIM_400000_NS6detail17trampoline_kernelINS0_14default_configENS1_38merge_sort_block_merge_config_selectorIjN6thrust23THRUST_200600_302600_NS5tupleIffNS6_9null_typeES8_S8_S8_S8_S8_S8_S8_EEEEZZNS1_27merge_sort_block_merge_implIS3_NS6_6detail15normal_iteratorINS6_10device_ptrIjEEEENSD_INSE_IS9_EEEEjNS1_19radix_merge_compareILb0ELb1EjNS0_19identity_decomposerEEEEE10hipError_tT0_T1_T2_jT3_P12ihipStream_tbPNSt15iterator_traitsISN_E10value_typeEPNST_ISO_E10value_typeEPSP_NS1_7vsmem_tEENKUlT_SN_SO_SP_E_clIPjSG_PS9_SI_EESM_S12_SN_SO_SP_EUlS12_E0_NS1_11comp_targetILNS1_3genE4ELNS1_11target_archE910ELNS1_3gpuE8ELNS1_3repE0EEENS1_38merge_mergepath_config_static_selectorELNS0_4arch9wavefront6targetE0EEEvSO_: ; @_ZN7rocprim17ROCPRIM_400000_NS6detail17trampoline_kernelINS0_14default_configENS1_38merge_sort_block_merge_config_selectorIjN6thrust23THRUST_200600_302600_NS5tupleIffNS6_9null_typeES8_S8_S8_S8_S8_S8_S8_EEEEZZNS1_27merge_sort_block_merge_implIS3_NS6_6detail15normal_iteratorINS6_10device_ptrIjEEEENSD_INSE_IS9_EEEEjNS1_19radix_merge_compareILb0ELb1EjNS0_19identity_decomposerEEEEE10hipError_tT0_T1_T2_jT3_P12ihipStream_tbPNSt15iterator_traitsISN_E10value_typeEPNST_ISO_E10value_typeEPSP_NS1_7vsmem_tEENKUlT_SN_SO_SP_E_clIPjSG_PS9_SI_EESM_S12_SN_SO_SP_EUlS12_E0_NS1_11comp_targetILNS1_3genE4ELNS1_11target_archE910ELNS1_3gpuE8ELNS1_3repE0EEENS1_38merge_mergepath_config_static_selectorELNS0_4arch9wavefront6targetE0EEEvSO_
; %bb.0:
	.section	.rodata,"a",@progbits
	.p2align	6, 0x0
	.amdhsa_kernel _ZN7rocprim17ROCPRIM_400000_NS6detail17trampoline_kernelINS0_14default_configENS1_38merge_sort_block_merge_config_selectorIjN6thrust23THRUST_200600_302600_NS5tupleIffNS6_9null_typeES8_S8_S8_S8_S8_S8_S8_EEEEZZNS1_27merge_sort_block_merge_implIS3_NS6_6detail15normal_iteratorINS6_10device_ptrIjEEEENSD_INSE_IS9_EEEEjNS1_19radix_merge_compareILb0ELb1EjNS0_19identity_decomposerEEEEE10hipError_tT0_T1_T2_jT3_P12ihipStream_tbPNSt15iterator_traitsISN_E10value_typeEPNST_ISO_E10value_typeEPSP_NS1_7vsmem_tEENKUlT_SN_SO_SP_E_clIPjSG_PS9_SI_EESM_S12_SN_SO_SP_EUlS12_E0_NS1_11comp_targetILNS1_3genE4ELNS1_11target_archE910ELNS1_3gpuE8ELNS1_3repE0EEENS1_38merge_mergepath_config_static_selectorELNS0_4arch9wavefront6targetE0EEEvSO_
		.amdhsa_group_segment_fixed_size 0
		.amdhsa_private_segment_fixed_size 0
		.amdhsa_kernarg_size 64
		.amdhsa_user_sgpr_count 6
		.amdhsa_user_sgpr_private_segment_buffer 1
		.amdhsa_user_sgpr_dispatch_ptr 0
		.amdhsa_user_sgpr_queue_ptr 0
		.amdhsa_user_sgpr_kernarg_segment_ptr 1
		.amdhsa_user_sgpr_dispatch_id 0
		.amdhsa_user_sgpr_flat_scratch_init 0
		.amdhsa_user_sgpr_private_segment_size 0
		.amdhsa_wavefront_size32 1
		.amdhsa_uses_dynamic_stack 0
		.amdhsa_system_sgpr_private_segment_wavefront_offset 0
		.amdhsa_system_sgpr_workgroup_id_x 1
		.amdhsa_system_sgpr_workgroup_id_y 0
		.amdhsa_system_sgpr_workgroup_id_z 0
		.amdhsa_system_sgpr_workgroup_info 0
		.amdhsa_system_vgpr_workitem_id 0
		.amdhsa_next_free_vgpr 1
		.amdhsa_next_free_sgpr 1
		.amdhsa_reserve_vcc 0
		.amdhsa_reserve_flat_scratch 0
		.amdhsa_float_round_mode_32 0
		.amdhsa_float_round_mode_16_64 0
		.amdhsa_float_denorm_mode_32 3
		.amdhsa_float_denorm_mode_16_64 3
		.amdhsa_dx10_clamp 1
		.amdhsa_ieee_mode 1
		.amdhsa_fp16_overflow 0
		.amdhsa_workgroup_processor_mode 1
		.amdhsa_memory_ordered 1
		.amdhsa_forward_progress 1
		.amdhsa_shared_vgpr_count 0
		.amdhsa_exception_fp_ieee_invalid_op 0
		.amdhsa_exception_fp_denorm_src 0
		.amdhsa_exception_fp_ieee_div_zero 0
		.amdhsa_exception_fp_ieee_overflow 0
		.amdhsa_exception_fp_ieee_underflow 0
		.amdhsa_exception_fp_ieee_inexact 0
		.amdhsa_exception_int_div_zero 0
	.end_amdhsa_kernel
	.section	.text._ZN7rocprim17ROCPRIM_400000_NS6detail17trampoline_kernelINS0_14default_configENS1_38merge_sort_block_merge_config_selectorIjN6thrust23THRUST_200600_302600_NS5tupleIffNS6_9null_typeES8_S8_S8_S8_S8_S8_S8_EEEEZZNS1_27merge_sort_block_merge_implIS3_NS6_6detail15normal_iteratorINS6_10device_ptrIjEEEENSD_INSE_IS9_EEEEjNS1_19radix_merge_compareILb0ELb1EjNS0_19identity_decomposerEEEEE10hipError_tT0_T1_T2_jT3_P12ihipStream_tbPNSt15iterator_traitsISN_E10value_typeEPNST_ISO_E10value_typeEPSP_NS1_7vsmem_tEENKUlT_SN_SO_SP_E_clIPjSG_PS9_SI_EESM_S12_SN_SO_SP_EUlS12_E0_NS1_11comp_targetILNS1_3genE4ELNS1_11target_archE910ELNS1_3gpuE8ELNS1_3repE0EEENS1_38merge_mergepath_config_static_selectorELNS0_4arch9wavefront6targetE0EEEvSO_,"axG",@progbits,_ZN7rocprim17ROCPRIM_400000_NS6detail17trampoline_kernelINS0_14default_configENS1_38merge_sort_block_merge_config_selectorIjN6thrust23THRUST_200600_302600_NS5tupleIffNS6_9null_typeES8_S8_S8_S8_S8_S8_S8_EEEEZZNS1_27merge_sort_block_merge_implIS3_NS6_6detail15normal_iteratorINS6_10device_ptrIjEEEENSD_INSE_IS9_EEEEjNS1_19radix_merge_compareILb0ELb1EjNS0_19identity_decomposerEEEEE10hipError_tT0_T1_T2_jT3_P12ihipStream_tbPNSt15iterator_traitsISN_E10value_typeEPNST_ISO_E10value_typeEPSP_NS1_7vsmem_tEENKUlT_SN_SO_SP_E_clIPjSG_PS9_SI_EESM_S12_SN_SO_SP_EUlS12_E0_NS1_11comp_targetILNS1_3genE4ELNS1_11target_archE910ELNS1_3gpuE8ELNS1_3repE0EEENS1_38merge_mergepath_config_static_selectorELNS0_4arch9wavefront6targetE0EEEvSO_,comdat
.Lfunc_end102:
	.size	_ZN7rocprim17ROCPRIM_400000_NS6detail17trampoline_kernelINS0_14default_configENS1_38merge_sort_block_merge_config_selectorIjN6thrust23THRUST_200600_302600_NS5tupleIffNS6_9null_typeES8_S8_S8_S8_S8_S8_S8_EEEEZZNS1_27merge_sort_block_merge_implIS3_NS6_6detail15normal_iteratorINS6_10device_ptrIjEEEENSD_INSE_IS9_EEEEjNS1_19radix_merge_compareILb0ELb1EjNS0_19identity_decomposerEEEEE10hipError_tT0_T1_T2_jT3_P12ihipStream_tbPNSt15iterator_traitsISN_E10value_typeEPNST_ISO_E10value_typeEPSP_NS1_7vsmem_tEENKUlT_SN_SO_SP_E_clIPjSG_PS9_SI_EESM_S12_SN_SO_SP_EUlS12_E0_NS1_11comp_targetILNS1_3genE4ELNS1_11target_archE910ELNS1_3gpuE8ELNS1_3repE0EEENS1_38merge_mergepath_config_static_selectorELNS0_4arch9wavefront6targetE0EEEvSO_, .Lfunc_end102-_ZN7rocprim17ROCPRIM_400000_NS6detail17trampoline_kernelINS0_14default_configENS1_38merge_sort_block_merge_config_selectorIjN6thrust23THRUST_200600_302600_NS5tupleIffNS6_9null_typeES8_S8_S8_S8_S8_S8_S8_EEEEZZNS1_27merge_sort_block_merge_implIS3_NS6_6detail15normal_iteratorINS6_10device_ptrIjEEEENSD_INSE_IS9_EEEEjNS1_19radix_merge_compareILb0ELb1EjNS0_19identity_decomposerEEEEE10hipError_tT0_T1_T2_jT3_P12ihipStream_tbPNSt15iterator_traitsISN_E10value_typeEPNST_ISO_E10value_typeEPSP_NS1_7vsmem_tEENKUlT_SN_SO_SP_E_clIPjSG_PS9_SI_EESM_S12_SN_SO_SP_EUlS12_E0_NS1_11comp_targetILNS1_3genE4ELNS1_11target_archE910ELNS1_3gpuE8ELNS1_3repE0EEENS1_38merge_mergepath_config_static_selectorELNS0_4arch9wavefront6targetE0EEEvSO_
                                        ; -- End function
	.set _ZN7rocprim17ROCPRIM_400000_NS6detail17trampoline_kernelINS0_14default_configENS1_38merge_sort_block_merge_config_selectorIjN6thrust23THRUST_200600_302600_NS5tupleIffNS6_9null_typeES8_S8_S8_S8_S8_S8_S8_EEEEZZNS1_27merge_sort_block_merge_implIS3_NS6_6detail15normal_iteratorINS6_10device_ptrIjEEEENSD_INSE_IS9_EEEEjNS1_19radix_merge_compareILb0ELb1EjNS0_19identity_decomposerEEEEE10hipError_tT0_T1_T2_jT3_P12ihipStream_tbPNSt15iterator_traitsISN_E10value_typeEPNST_ISO_E10value_typeEPSP_NS1_7vsmem_tEENKUlT_SN_SO_SP_E_clIPjSG_PS9_SI_EESM_S12_SN_SO_SP_EUlS12_E0_NS1_11comp_targetILNS1_3genE4ELNS1_11target_archE910ELNS1_3gpuE8ELNS1_3repE0EEENS1_38merge_mergepath_config_static_selectorELNS0_4arch9wavefront6targetE0EEEvSO_.num_vgpr, 0
	.set _ZN7rocprim17ROCPRIM_400000_NS6detail17trampoline_kernelINS0_14default_configENS1_38merge_sort_block_merge_config_selectorIjN6thrust23THRUST_200600_302600_NS5tupleIffNS6_9null_typeES8_S8_S8_S8_S8_S8_S8_EEEEZZNS1_27merge_sort_block_merge_implIS3_NS6_6detail15normal_iteratorINS6_10device_ptrIjEEEENSD_INSE_IS9_EEEEjNS1_19radix_merge_compareILb0ELb1EjNS0_19identity_decomposerEEEEE10hipError_tT0_T1_T2_jT3_P12ihipStream_tbPNSt15iterator_traitsISN_E10value_typeEPNST_ISO_E10value_typeEPSP_NS1_7vsmem_tEENKUlT_SN_SO_SP_E_clIPjSG_PS9_SI_EESM_S12_SN_SO_SP_EUlS12_E0_NS1_11comp_targetILNS1_3genE4ELNS1_11target_archE910ELNS1_3gpuE8ELNS1_3repE0EEENS1_38merge_mergepath_config_static_selectorELNS0_4arch9wavefront6targetE0EEEvSO_.num_agpr, 0
	.set _ZN7rocprim17ROCPRIM_400000_NS6detail17trampoline_kernelINS0_14default_configENS1_38merge_sort_block_merge_config_selectorIjN6thrust23THRUST_200600_302600_NS5tupleIffNS6_9null_typeES8_S8_S8_S8_S8_S8_S8_EEEEZZNS1_27merge_sort_block_merge_implIS3_NS6_6detail15normal_iteratorINS6_10device_ptrIjEEEENSD_INSE_IS9_EEEEjNS1_19radix_merge_compareILb0ELb1EjNS0_19identity_decomposerEEEEE10hipError_tT0_T1_T2_jT3_P12ihipStream_tbPNSt15iterator_traitsISN_E10value_typeEPNST_ISO_E10value_typeEPSP_NS1_7vsmem_tEENKUlT_SN_SO_SP_E_clIPjSG_PS9_SI_EESM_S12_SN_SO_SP_EUlS12_E0_NS1_11comp_targetILNS1_3genE4ELNS1_11target_archE910ELNS1_3gpuE8ELNS1_3repE0EEENS1_38merge_mergepath_config_static_selectorELNS0_4arch9wavefront6targetE0EEEvSO_.numbered_sgpr, 0
	.set _ZN7rocprim17ROCPRIM_400000_NS6detail17trampoline_kernelINS0_14default_configENS1_38merge_sort_block_merge_config_selectorIjN6thrust23THRUST_200600_302600_NS5tupleIffNS6_9null_typeES8_S8_S8_S8_S8_S8_S8_EEEEZZNS1_27merge_sort_block_merge_implIS3_NS6_6detail15normal_iteratorINS6_10device_ptrIjEEEENSD_INSE_IS9_EEEEjNS1_19radix_merge_compareILb0ELb1EjNS0_19identity_decomposerEEEEE10hipError_tT0_T1_T2_jT3_P12ihipStream_tbPNSt15iterator_traitsISN_E10value_typeEPNST_ISO_E10value_typeEPSP_NS1_7vsmem_tEENKUlT_SN_SO_SP_E_clIPjSG_PS9_SI_EESM_S12_SN_SO_SP_EUlS12_E0_NS1_11comp_targetILNS1_3genE4ELNS1_11target_archE910ELNS1_3gpuE8ELNS1_3repE0EEENS1_38merge_mergepath_config_static_selectorELNS0_4arch9wavefront6targetE0EEEvSO_.num_named_barrier, 0
	.set _ZN7rocprim17ROCPRIM_400000_NS6detail17trampoline_kernelINS0_14default_configENS1_38merge_sort_block_merge_config_selectorIjN6thrust23THRUST_200600_302600_NS5tupleIffNS6_9null_typeES8_S8_S8_S8_S8_S8_S8_EEEEZZNS1_27merge_sort_block_merge_implIS3_NS6_6detail15normal_iteratorINS6_10device_ptrIjEEEENSD_INSE_IS9_EEEEjNS1_19radix_merge_compareILb0ELb1EjNS0_19identity_decomposerEEEEE10hipError_tT0_T1_T2_jT3_P12ihipStream_tbPNSt15iterator_traitsISN_E10value_typeEPNST_ISO_E10value_typeEPSP_NS1_7vsmem_tEENKUlT_SN_SO_SP_E_clIPjSG_PS9_SI_EESM_S12_SN_SO_SP_EUlS12_E0_NS1_11comp_targetILNS1_3genE4ELNS1_11target_archE910ELNS1_3gpuE8ELNS1_3repE0EEENS1_38merge_mergepath_config_static_selectorELNS0_4arch9wavefront6targetE0EEEvSO_.private_seg_size, 0
	.set _ZN7rocprim17ROCPRIM_400000_NS6detail17trampoline_kernelINS0_14default_configENS1_38merge_sort_block_merge_config_selectorIjN6thrust23THRUST_200600_302600_NS5tupleIffNS6_9null_typeES8_S8_S8_S8_S8_S8_S8_EEEEZZNS1_27merge_sort_block_merge_implIS3_NS6_6detail15normal_iteratorINS6_10device_ptrIjEEEENSD_INSE_IS9_EEEEjNS1_19radix_merge_compareILb0ELb1EjNS0_19identity_decomposerEEEEE10hipError_tT0_T1_T2_jT3_P12ihipStream_tbPNSt15iterator_traitsISN_E10value_typeEPNST_ISO_E10value_typeEPSP_NS1_7vsmem_tEENKUlT_SN_SO_SP_E_clIPjSG_PS9_SI_EESM_S12_SN_SO_SP_EUlS12_E0_NS1_11comp_targetILNS1_3genE4ELNS1_11target_archE910ELNS1_3gpuE8ELNS1_3repE0EEENS1_38merge_mergepath_config_static_selectorELNS0_4arch9wavefront6targetE0EEEvSO_.uses_vcc, 0
	.set _ZN7rocprim17ROCPRIM_400000_NS6detail17trampoline_kernelINS0_14default_configENS1_38merge_sort_block_merge_config_selectorIjN6thrust23THRUST_200600_302600_NS5tupleIffNS6_9null_typeES8_S8_S8_S8_S8_S8_S8_EEEEZZNS1_27merge_sort_block_merge_implIS3_NS6_6detail15normal_iteratorINS6_10device_ptrIjEEEENSD_INSE_IS9_EEEEjNS1_19radix_merge_compareILb0ELb1EjNS0_19identity_decomposerEEEEE10hipError_tT0_T1_T2_jT3_P12ihipStream_tbPNSt15iterator_traitsISN_E10value_typeEPNST_ISO_E10value_typeEPSP_NS1_7vsmem_tEENKUlT_SN_SO_SP_E_clIPjSG_PS9_SI_EESM_S12_SN_SO_SP_EUlS12_E0_NS1_11comp_targetILNS1_3genE4ELNS1_11target_archE910ELNS1_3gpuE8ELNS1_3repE0EEENS1_38merge_mergepath_config_static_selectorELNS0_4arch9wavefront6targetE0EEEvSO_.uses_flat_scratch, 0
	.set _ZN7rocprim17ROCPRIM_400000_NS6detail17trampoline_kernelINS0_14default_configENS1_38merge_sort_block_merge_config_selectorIjN6thrust23THRUST_200600_302600_NS5tupleIffNS6_9null_typeES8_S8_S8_S8_S8_S8_S8_EEEEZZNS1_27merge_sort_block_merge_implIS3_NS6_6detail15normal_iteratorINS6_10device_ptrIjEEEENSD_INSE_IS9_EEEEjNS1_19radix_merge_compareILb0ELb1EjNS0_19identity_decomposerEEEEE10hipError_tT0_T1_T2_jT3_P12ihipStream_tbPNSt15iterator_traitsISN_E10value_typeEPNST_ISO_E10value_typeEPSP_NS1_7vsmem_tEENKUlT_SN_SO_SP_E_clIPjSG_PS9_SI_EESM_S12_SN_SO_SP_EUlS12_E0_NS1_11comp_targetILNS1_3genE4ELNS1_11target_archE910ELNS1_3gpuE8ELNS1_3repE0EEENS1_38merge_mergepath_config_static_selectorELNS0_4arch9wavefront6targetE0EEEvSO_.has_dyn_sized_stack, 0
	.set _ZN7rocprim17ROCPRIM_400000_NS6detail17trampoline_kernelINS0_14default_configENS1_38merge_sort_block_merge_config_selectorIjN6thrust23THRUST_200600_302600_NS5tupleIffNS6_9null_typeES8_S8_S8_S8_S8_S8_S8_EEEEZZNS1_27merge_sort_block_merge_implIS3_NS6_6detail15normal_iteratorINS6_10device_ptrIjEEEENSD_INSE_IS9_EEEEjNS1_19radix_merge_compareILb0ELb1EjNS0_19identity_decomposerEEEEE10hipError_tT0_T1_T2_jT3_P12ihipStream_tbPNSt15iterator_traitsISN_E10value_typeEPNST_ISO_E10value_typeEPSP_NS1_7vsmem_tEENKUlT_SN_SO_SP_E_clIPjSG_PS9_SI_EESM_S12_SN_SO_SP_EUlS12_E0_NS1_11comp_targetILNS1_3genE4ELNS1_11target_archE910ELNS1_3gpuE8ELNS1_3repE0EEENS1_38merge_mergepath_config_static_selectorELNS0_4arch9wavefront6targetE0EEEvSO_.has_recursion, 0
	.set _ZN7rocprim17ROCPRIM_400000_NS6detail17trampoline_kernelINS0_14default_configENS1_38merge_sort_block_merge_config_selectorIjN6thrust23THRUST_200600_302600_NS5tupleIffNS6_9null_typeES8_S8_S8_S8_S8_S8_S8_EEEEZZNS1_27merge_sort_block_merge_implIS3_NS6_6detail15normal_iteratorINS6_10device_ptrIjEEEENSD_INSE_IS9_EEEEjNS1_19radix_merge_compareILb0ELb1EjNS0_19identity_decomposerEEEEE10hipError_tT0_T1_T2_jT3_P12ihipStream_tbPNSt15iterator_traitsISN_E10value_typeEPNST_ISO_E10value_typeEPSP_NS1_7vsmem_tEENKUlT_SN_SO_SP_E_clIPjSG_PS9_SI_EESM_S12_SN_SO_SP_EUlS12_E0_NS1_11comp_targetILNS1_3genE4ELNS1_11target_archE910ELNS1_3gpuE8ELNS1_3repE0EEENS1_38merge_mergepath_config_static_selectorELNS0_4arch9wavefront6targetE0EEEvSO_.has_indirect_call, 0
	.section	.AMDGPU.csdata,"",@progbits
; Kernel info:
; codeLenInByte = 0
; TotalNumSgprs: 0
; NumVgprs: 0
; ScratchSize: 0
; MemoryBound: 0
; FloatMode: 240
; IeeeMode: 1
; LDSByteSize: 0 bytes/workgroup (compile time only)
; SGPRBlocks: 0
; VGPRBlocks: 0
; NumSGPRsForWavesPerEU: 1
; NumVGPRsForWavesPerEU: 1
; Occupancy: 16
; WaveLimiterHint : 0
; COMPUTE_PGM_RSRC2:SCRATCH_EN: 0
; COMPUTE_PGM_RSRC2:USER_SGPR: 6
; COMPUTE_PGM_RSRC2:TRAP_HANDLER: 0
; COMPUTE_PGM_RSRC2:TGID_X_EN: 1
; COMPUTE_PGM_RSRC2:TGID_Y_EN: 0
; COMPUTE_PGM_RSRC2:TGID_Z_EN: 0
; COMPUTE_PGM_RSRC2:TIDIG_COMP_CNT: 0
	.section	.text._ZN7rocprim17ROCPRIM_400000_NS6detail17trampoline_kernelINS0_14default_configENS1_38merge_sort_block_merge_config_selectorIjN6thrust23THRUST_200600_302600_NS5tupleIffNS6_9null_typeES8_S8_S8_S8_S8_S8_S8_EEEEZZNS1_27merge_sort_block_merge_implIS3_NS6_6detail15normal_iteratorINS6_10device_ptrIjEEEENSD_INSE_IS9_EEEEjNS1_19radix_merge_compareILb0ELb1EjNS0_19identity_decomposerEEEEE10hipError_tT0_T1_T2_jT3_P12ihipStream_tbPNSt15iterator_traitsISN_E10value_typeEPNST_ISO_E10value_typeEPSP_NS1_7vsmem_tEENKUlT_SN_SO_SP_E_clIPjSG_PS9_SI_EESM_S12_SN_SO_SP_EUlS12_E0_NS1_11comp_targetILNS1_3genE3ELNS1_11target_archE908ELNS1_3gpuE7ELNS1_3repE0EEENS1_38merge_mergepath_config_static_selectorELNS0_4arch9wavefront6targetE0EEEvSO_,"axG",@progbits,_ZN7rocprim17ROCPRIM_400000_NS6detail17trampoline_kernelINS0_14default_configENS1_38merge_sort_block_merge_config_selectorIjN6thrust23THRUST_200600_302600_NS5tupleIffNS6_9null_typeES8_S8_S8_S8_S8_S8_S8_EEEEZZNS1_27merge_sort_block_merge_implIS3_NS6_6detail15normal_iteratorINS6_10device_ptrIjEEEENSD_INSE_IS9_EEEEjNS1_19radix_merge_compareILb0ELb1EjNS0_19identity_decomposerEEEEE10hipError_tT0_T1_T2_jT3_P12ihipStream_tbPNSt15iterator_traitsISN_E10value_typeEPNST_ISO_E10value_typeEPSP_NS1_7vsmem_tEENKUlT_SN_SO_SP_E_clIPjSG_PS9_SI_EESM_S12_SN_SO_SP_EUlS12_E0_NS1_11comp_targetILNS1_3genE3ELNS1_11target_archE908ELNS1_3gpuE7ELNS1_3repE0EEENS1_38merge_mergepath_config_static_selectorELNS0_4arch9wavefront6targetE0EEEvSO_,comdat
	.protected	_ZN7rocprim17ROCPRIM_400000_NS6detail17trampoline_kernelINS0_14default_configENS1_38merge_sort_block_merge_config_selectorIjN6thrust23THRUST_200600_302600_NS5tupleIffNS6_9null_typeES8_S8_S8_S8_S8_S8_S8_EEEEZZNS1_27merge_sort_block_merge_implIS3_NS6_6detail15normal_iteratorINS6_10device_ptrIjEEEENSD_INSE_IS9_EEEEjNS1_19radix_merge_compareILb0ELb1EjNS0_19identity_decomposerEEEEE10hipError_tT0_T1_T2_jT3_P12ihipStream_tbPNSt15iterator_traitsISN_E10value_typeEPNST_ISO_E10value_typeEPSP_NS1_7vsmem_tEENKUlT_SN_SO_SP_E_clIPjSG_PS9_SI_EESM_S12_SN_SO_SP_EUlS12_E0_NS1_11comp_targetILNS1_3genE3ELNS1_11target_archE908ELNS1_3gpuE7ELNS1_3repE0EEENS1_38merge_mergepath_config_static_selectorELNS0_4arch9wavefront6targetE0EEEvSO_ ; -- Begin function _ZN7rocprim17ROCPRIM_400000_NS6detail17trampoline_kernelINS0_14default_configENS1_38merge_sort_block_merge_config_selectorIjN6thrust23THRUST_200600_302600_NS5tupleIffNS6_9null_typeES8_S8_S8_S8_S8_S8_S8_EEEEZZNS1_27merge_sort_block_merge_implIS3_NS6_6detail15normal_iteratorINS6_10device_ptrIjEEEENSD_INSE_IS9_EEEEjNS1_19radix_merge_compareILb0ELb1EjNS0_19identity_decomposerEEEEE10hipError_tT0_T1_T2_jT3_P12ihipStream_tbPNSt15iterator_traitsISN_E10value_typeEPNST_ISO_E10value_typeEPSP_NS1_7vsmem_tEENKUlT_SN_SO_SP_E_clIPjSG_PS9_SI_EESM_S12_SN_SO_SP_EUlS12_E0_NS1_11comp_targetILNS1_3genE3ELNS1_11target_archE908ELNS1_3gpuE7ELNS1_3repE0EEENS1_38merge_mergepath_config_static_selectorELNS0_4arch9wavefront6targetE0EEEvSO_
	.globl	_ZN7rocprim17ROCPRIM_400000_NS6detail17trampoline_kernelINS0_14default_configENS1_38merge_sort_block_merge_config_selectorIjN6thrust23THRUST_200600_302600_NS5tupleIffNS6_9null_typeES8_S8_S8_S8_S8_S8_S8_EEEEZZNS1_27merge_sort_block_merge_implIS3_NS6_6detail15normal_iteratorINS6_10device_ptrIjEEEENSD_INSE_IS9_EEEEjNS1_19radix_merge_compareILb0ELb1EjNS0_19identity_decomposerEEEEE10hipError_tT0_T1_T2_jT3_P12ihipStream_tbPNSt15iterator_traitsISN_E10value_typeEPNST_ISO_E10value_typeEPSP_NS1_7vsmem_tEENKUlT_SN_SO_SP_E_clIPjSG_PS9_SI_EESM_S12_SN_SO_SP_EUlS12_E0_NS1_11comp_targetILNS1_3genE3ELNS1_11target_archE908ELNS1_3gpuE7ELNS1_3repE0EEENS1_38merge_mergepath_config_static_selectorELNS0_4arch9wavefront6targetE0EEEvSO_
	.p2align	8
	.type	_ZN7rocprim17ROCPRIM_400000_NS6detail17trampoline_kernelINS0_14default_configENS1_38merge_sort_block_merge_config_selectorIjN6thrust23THRUST_200600_302600_NS5tupleIffNS6_9null_typeES8_S8_S8_S8_S8_S8_S8_EEEEZZNS1_27merge_sort_block_merge_implIS3_NS6_6detail15normal_iteratorINS6_10device_ptrIjEEEENSD_INSE_IS9_EEEEjNS1_19radix_merge_compareILb0ELb1EjNS0_19identity_decomposerEEEEE10hipError_tT0_T1_T2_jT3_P12ihipStream_tbPNSt15iterator_traitsISN_E10value_typeEPNST_ISO_E10value_typeEPSP_NS1_7vsmem_tEENKUlT_SN_SO_SP_E_clIPjSG_PS9_SI_EESM_S12_SN_SO_SP_EUlS12_E0_NS1_11comp_targetILNS1_3genE3ELNS1_11target_archE908ELNS1_3gpuE7ELNS1_3repE0EEENS1_38merge_mergepath_config_static_selectorELNS0_4arch9wavefront6targetE0EEEvSO_,@function
_ZN7rocprim17ROCPRIM_400000_NS6detail17trampoline_kernelINS0_14default_configENS1_38merge_sort_block_merge_config_selectorIjN6thrust23THRUST_200600_302600_NS5tupleIffNS6_9null_typeES8_S8_S8_S8_S8_S8_S8_EEEEZZNS1_27merge_sort_block_merge_implIS3_NS6_6detail15normal_iteratorINS6_10device_ptrIjEEEENSD_INSE_IS9_EEEEjNS1_19radix_merge_compareILb0ELb1EjNS0_19identity_decomposerEEEEE10hipError_tT0_T1_T2_jT3_P12ihipStream_tbPNSt15iterator_traitsISN_E10value_typeEPNST_ISO_E10value_typeEPSP_NS1_7vsmem_tEENKUlT_SN_SO_SP_E_clIPjSG_PS9_SI_EESM_S12_SN_SO_SP_EUlS12_E0_NS1_11comp_targetILNS1_3genE3ELNS1_11target_archE908ELNS1_3gpuE7ELNS1_3repE0EEENS1_38merge_mergepath_config_static_selectorELNS0_4arch9wavefront6targetE0EEEvSO_: ; @_ZN7rocprim17ROCPRIM_400000_NS6detail17trampoline_kernelINS0_14default_configENS1_38merge_sort_block_merge_config_selectorIjN6thrust23THRUST_200600_302600_NS5tupleIffNS6_9null_typeES8_S8_S8_S8_S8_S8_S8_EEEEZZNS1_27merge_sort_block_merge_implIS3_NS6_6detail15normal_iteratorINS6_10device_ptrIjEEEENSD_INSE_IS9_EEEEjNS1_19radix_merge_compareILb0ELb1EjNS0_19identity_decomposerEEEEE10hipError_tT0_T1_T2_jT3_P12ihipStream_tbPNSt15iterator_traitsISN_E10value_typeEPNST_ISO_E10value_typeEPSP_NS1_7vsmem_tEENKUlT_SN_SO_SP_E_clIPjSG_PS9_SI_EESM_S12_SN_SO_SP_EUlS12_E0_NS1_11comp_targetILNS1_3genE3ELNS1_11target_archE908ELNS1_3gpuE7ELNS1_3repE0EEENS1_38merge_mergepath_config_static_selectorELNS0_4arch9wavefront6targetE0EEEvSO_
; %bb.0:
	.section	.rodata,"a",@progbits
	.p2align	6, 0x0
	.amdhsa_kernel _ZN7rocprim17ROCPRIM_400000_NS6detail17trampoline_kernelINS0_14default_configENS1_38merge_sort_block_merge_config_selectorIjN6thrust23THRUST_200600_302600_NS5tupleIffNS6_9null_typeES8_S8_S8_S8_S8_S8_S8_EEEEZZNS1_27merge_sort_block_merge_implIS3_NS6_6detail15normal_iteratorINS6_10device_ptrIjEEEENSD_INSE_IS9_EEEEjNS1_19radix_merge_compareILb0ELb1EjNS0_19identity_decomposerEEEEE10hipError_tT0_T1_T2_jT3_P12ihipStream_tbPNSt15iterator_traitsISN_E10value_typeEPNST_ISO_E10value_typeEPSP_NS1_7vsmem_tEENKUlT_SN_SO_SP_E_clIPjSG_PS9_SI_EESM_S12_SN_SO_SP_EUlS12_E0_NS1_11comp_targetILNS1_3genE3ELNS1_11target_archE908ELNS1_3gpuE7ELNS1_3repE0EEENS1_38merge_mergepath_config_static_selectorELNS0_4arch9wavefront6targetE0EEEvSO_
		.amdhsa_group_segment_fixed_size 0
		.amdhsa_private_segment_fixed_size 0
		.amdhsa_kernarg_size 64
		.amdhsa_user_sgpr_count 6
		.amdhsa_user_sgpr_private_segment_buffer 1
		.amdhsa_user_sgpr_dispatch_ptr 0
		.amdhsa_user_sgpr_queue_ptr 0
		.amdhsa_user_sgpr_kernarg_segment_ptr 1
		.amdhsa_user_sgpr_dispatch_id 0
		.amdhsa_user_sgpr_flat_scratch_init 0
		.amdhsa_user_sgpr_private_segment_size 0
		.amdhsa_wavefront_size32 1
		.amdhsa_uses_dynamic_stack 0
		.amdhsa_system_sgpr_private_segment_wavefront_offset 0
		.amdhsa_system_sgpr_workgroup_id_x 1
		.amdhsa_system_sgpr_workgroup_id_y 0
		.amdhsa_system_sgpr_workgroup_id_z 0
		.amdhsa_system_sgpr_workgroup_info 0
		.amdhsa_system_vgpr_workitem_id 0
		.amdhsa_next_free_vgpr 1
		.amdhsa_next_free_sgpr 1
		.amdhsa_reserve_vcc 0
		.amdhsa_reserve_flat_scratch 0
		.amdhsa_float_round_mode_32 0
		.amdhsa_float_round_mode_16_64 0
		.amdhsa_float_denorm_mode_32 3
		.amdhsa_float_denorm_mode_16_64 3
		.amdhsa_dx10_clamp 1
		.amdhsa_ieee_mode 1
		.amdhsa_fp16_overflow 0
		.amdhsa_workgroup_processor_mode 1
		.amdhsa_memory_ordered 1
		.amdhsa_forward_progress 1
		.amdhsa_shared_vgpr_count 0
		.amdhsa_exception_fp_ieee_invalid_op 0
		.amdhsa_exception_fp_denorm_src 0
		.amdhsa_exception_fp_ieee_div_zero 0
		.amdhsa_exception_fp_ieee_overflow 0
		.amdhsa_exception_fp_ieee_underflow 0
		.amdhsa_exception_fp_ieee_inexact 0
		.amdhsa_exception_int_div_zero 0
	.end_amdhsa_kernel
	.section	.text._ZN7rocprim17ROCPRIM_400000_NS6detail17trampoline_kernelINS0_14default_configENS1_38merge_sort_block_merge_config_selectorIjN6thrust23THRUST_200600_302600_NS5tupleIffNS6_9null_typeES8_S8_S8_S8_S8_S8_S8_EEEEZZNS1_27merge_sort_block_merge_implIS3_NS6_6detail15normal_iteratorINS6_10device_ptrIjEEEENSD_INSE_IS9_EEEEjNS1_19radix_merge_compareILb0ELb1EjNS0_19identity_decomposerEEEEE10hipError_tT0_T1_T2_jT3_P12ihipStream_tbPNSt15iterator_traitsISN_E10value_typeEPNST_ISO_E10value_typeEPSP_NS1_7vsmem_tEENKUlT_SN_SO_SP_E_clIPjSG_PS9_SI_EESM_S12_SN_SO_SP_EUlS12_E0_NS1_11comp_targetILNS1_3genE3ELNS1_11target_archE908ELNS1_3gpuE7ELNS1_3repE0EEENS1_38merge_mergepath_config_static_selectorELNS0_4arch9wavefront6targetE0EEEvSO_,"axG",@progbits,_ZN7rocprim17ROCPRIM_400000_NS6detail17trampoline_kernelINS0_14default_configENS1_38merge_sort_block_merge_config_selectorIjN6thrust23THRUST_200600_302600_NS5tupleIffNS6_9null_typeES8_S8_S8_S8_S8_S8_S8_EEEEZZNS1_27merge_sort_block_merge_implIS3_NS6_6detail15normal_iteratorINS6_10device_ptrIjEEEENSD_INSE_IS9_EEEEjNS1_19radix_merge_compareILb0ELb1EjNS0_19identity_decomposerEEEEE10hipError_tT0_T1_T2_jT3_P12ihipStream_tbPNSt15iterator_traitsISN_E10value_typeEPNST_ISO_E10value_typeEPSP_NS1_7vsmem_tEENKUlT_SN_SO_SP_E_clIPjSG_PS9_SI_EESM_S12_SN_SO_SP_EUlS12_E0_NS1_11comp_targetILNS1_3genE3ELNS1_11target_archE908ELNS1_3gpuE7ELNS1_3repE0EEENS1_38merge_mergepath_config_static_selectorELNS0_4arch9wavefront6targetE0EEEvSO_,comdat
.Lfunc_end103:
	.size	_ZN7rocprim17ROCPRIM_400000_NS6detail17trampoline_kernelINS0_14default_configENS1_38merge_sort_block_merge_config_selectorIjN6thrust23THRUST_200600_302600_NS5tupleIffNS6_9null_typeES8_S8_S8_S8_S8_S8_S8_EEEEZZNS1_27merge_sort_block_merge_implIS3_NS6_6detail15normal_iteratorINS6_10device_ptrIjEEEENSD_INSE_IS9_EEEEjNS1_19radix_merge_compareILb0ELb1EjNS0_19identity_decomposerEEEEE10hipError_tT0_T1_T2_jT3_P12ihipStream_tbPNSt15iterator_traitsISN_E10value_typeEPNST_ISO_E10value_typeEPSP_NS1_7vsmem_tEENKUlT_SN_SO_SP_E_clIPjSG_PS9_SI_EESM_S12_SN_SO_SP_EUlS12_E0_NS1_11comp_targetILNS1_3genE3ELNS1_11target_archE908ELNS1_3gpuE7ELNS1_3repE0EEENS1_38merge_mergepath_config_static_selectorELNS0_4arch9wavefront6targetE0EEEvSO_, .Lfunc_end103-_ZN7rocprim17ROCPRIM_400000_NS6detail17trampoline_kernelINS0_14default_configENS1_38merge_sort_block_merge_config_selectorIjN6thrust23THRUST_200600_302600_NS5tupleIffNS6_9null_typeES8_S8_S8_S8_S8_S8_S8_EEEEZZNS1_27merge_sort_block_merge_implIS3_NS6_6detail15normal_iteratorINS6_10device_ptrIjEEEENSD_INSE_IS9_EEEEjNS1_19radix_merge_compareILb0ELb1EjNS0_19identity_decomposerEEEEE10hipError_tT0_T1_T2_jT3_P12ihipStream_tbPNSt15iterator_traitsISN_E10value_typeEPNST_ISO_E10value_typeEPSP_NS1_7vsmem_tEENKUlT_SN_SO_SP_E_clIPjSG_PS9_SI_EESM_S12_SN_SO_SP_EUlS12_E0_NS1_11comp_targetILNS1_3genE3ELNS1_11target_archE908ELNS1_3gpuE7ELNS1_3repE0EEENS1_38merge_mergepath_config_static_selectorELNS0_4arch9wavefront6targetE0EEEvSO_
                                        ; -- End function
	.set _ZN7rocprim17ROCPRIM_400000_NS6detail17trampoline_kernelINS0_14default_configENS1_38merge_sort_block_merge_config_selectorIjN6thrust23THRUST_200600_302600_NS5tupleIffNS6_9null_typeES8_S8_S8_S8_S8_S8_S8_EEEEZZNS1_27merge_sort_block_merge_implIS3_NS6_6detail15normal_iteratorINS6_10device_ptrIjEEEENSD_INSE_IS9_EEEEjNS1_19radix_merge_compareILb0ELb1EjNS0_19identity_decomposerEEEEE10hipError_tT0_T1_T2_jT3_P12ihipStream_tbPNSt15iterator_traitsISN_E10value_typeEPNST_ISO_E10value_typeEPSP_NS1_7vsmem_tEENKUlT_SN_SO_SP_E_clIPjSG_PS9_SI_EESM_S12_SN_SO_SP_EUlS12_E0_NS1_11comp_targetILNS1_3genE3ELNS1_11target_archE908ELNS1_3gpuE7ELNS1_3repE0EEENS1_38merge_mergepath_config_static_selectorELNS0_4arch9wavefront6targetE0EEEvSO_.num_vgpr, 0
	.set _ZN7rocprim17ROCPRIM_400000_NS6detail17trampoline_kernelINS0_14default_configENS1_38merge_sort_block_merge_config_selectorIjN6thrust23THRUST_200600_302600_NS5tupleIffNS6_9null_typeES8_S8_S8_S8_S8_S8_S8_EEEEZZNS1_27merge_sort_block_merge_implIS3_NS6_6detail15normal_iteratorINS6_10device_ptrIjEEEENSD_INSE_IS9_EEEEjNS1_19radix_merge_compareILb0ELb1EjNS0_19identity_decomposerEEEEE10hipError_tT0_T1_T2_jT3_P12ihipStream_tbPNSt15iterator_traitsISN_E10value_typeEPNST_ISO_E10value_typeEPSP_NS1_7vsmem_tEENKUlT_SN_SO_SP_E_clIPjSG_PS9_SI_EESM_S12_SN_SO_SP_EUlS12_E0_NS1_11comp_targetILNS1_3genE3ELNS1_11target_archE908ELNS1_3gpuE7ELNS1_3repE0EEENS1_38merge_mergepath_config_static_selectorELNS0_4arch9wavefront6targetE0EEEvSO_.num_agpr, 0
	.set _ZN7rocprim17ROCPRIM_400000_NS6detail17trampoline_kernelINS0_14default_configENS1_38merge_sort_block_merge_config_selectorIjN6thrust23THRUST_200600_302600_NS5tupleIffNS6_9null_typeES8_S8_S8_S8_S8_S8_S8_EEEEZZNS1_27merge_sort_block_merge_implIS3_NS6_6detail15normal_iteratorINS6_10device_ptrIjEEEENSD_INSE_IS9_EEEEjNS1_19radix_merge_compareILb0ELb1EjNS0_19identity_decomposerEEEEE10hipError_tT0_T1_T2_jT3_P12ihipStream_tbPNSt15iterator_traitsISN_E10value_typeEPNST_ISO_E10value_typeEPSP_NS1_7vsmem_tEENKUlT_SN_SO_SP_E_clIPjSG_PS9_SI_EESM_S12_SN_SO_SP_EUlS12_E0_NS1_11comp_targetILNS1_3genE3ELNS1_11target_archE908ELNS1_3gpuE7ELNS1_3repE0EEENS1_38merge_mergepath_config_static_selectorELNS0_4arch9wavefront6targetE0EEEvSO_.numbered_sgpr, 0
	.set _ZN7rocprim17ROCPRIM_400000_NS6detail17trampoline_kernelINS0_14default_configENS1_38merge_sort_block_merge_config_selectorIjN6thrust23THRUST_200600_302600_NS5tupleIffNS6_9null_typeES8_S8_S8_S8_S8_S8_S8_EEEEZZNS1_27merge_sort_block_merge_implIS3_NS6_6detail15normal_iteratorINS6_10device_ptrIjEEEENSD_INSE_IS9_EEEEjNS1_19radix_merge_compareILb0ELb1EjNS0_19identity_decomposerEEEEE10hipError_tT0_T1_T2_jT3_P12ihipStream_tbPNSt15iterator_traitsISN_E10value_typeEPNST_ISO_E10value_typeEPSP_NS1_7vsmem_tEENKUlT_SN_SO_SP_E_clIPjSG_PS9_SI_EESM_S12_SN_SO_SP_EUlS12_E0_NS1_11comp_targetILNS1_3genE3ELNS1_11target_archE908ELNS1_3gpuE7ELNS1_3repE0EEENS1_38merge_mergepath_config_static_selectorELNS0_4arch9wavefront6targetE0EEEvSO_.num_named_barrier, 0
	.set _ZN7rocprim17ROCPRIM_400000_NS6detail17trampoline_kernelINS0_14default_configENS1_38merge_sort_block_merge_config_selectorIjN6thrust23THRUST_200600_302600_NS5tupleIffNS6_9null_typeES8_S8_S8_S8_S8_S8_S8_EEEEZZNS1_27merge_sort_block_merge_implIS3_NS6_6detail15normal_iteratorINS6_10device_ptrIjEEEENSD_INSE_IS9_EEEEjNS1_19radix_merge_compareILb0ELb1EjNS0_19identity_decomposerEEEEE10hipError_tT0_T1_T2_jT3_P12ihipStream_tbPNSt15iterator_traitsISN_E10value_typeEPNST_ISO_E10value_typeEPSP_NS1_7vsmem_tEENKUlT_SN_SO_SP_E_clIPjSG_PS9_SI_EESM_S12_SN_SO_SP_EUlS12_E0_NS1_11comp_targetILNS1_3genE3ELNS1_11target_archE908ELNS1_3gpuE7ELNS1_3repE0EEENS1_38merge_mergepath_config_static_selectorELNS0_4arch9wavefront6targetE0EEEvSO_.private_seg_size, 0
	.set _ZN7rocprim17ROCPRIM_400000_NS6detail17trampoline_kernelINS0_14default_configENS1_38merge_sort_block_merge_config_selectorIjN6thrust23THRUST_200600_302600_NS5tupleIffNS6_9null_typeES8_S8_S8_S8_S8_S8_S8_EEEEZZNS1_27merge_sort_block_merge_implIS3_NS6_6detail15normal_iteratorINS6_10device_ptrIjEEEENSD_INSE_IS9_EEEEjNS1_19radix_merge_compareILb0ELb1EjNS0_19identity_decomposerEEEEE10hipError_tT0_T1_T2_jT3_P12ihipStream_tbPNSt15iterator_traitsISN_E10value_typeEPNST_ISO_E10value_typeEPSP_NS1_7vsmem_tEENKUlT_SN_SO_SP_E_clIPjSG_PS9_SI_EESM_S12_SN_SO_SP_EUlS12_E0_NS1_11comp_targetILNS1_3genE3ELNS1_11target_archE908ELNS1_3gpuE7ELNS1_3repE0EEENS1_38merge_mergepath_config_static_selectorELNS0_4arch9wavefront6targetE0EEEvSO_.uses_vcc, 0
	.set _ZN7rocprim17ROCPRIM_400000_NS6detail17trampoline_kernelINS0_14default_configENS1_38merge_sort_block_merge_config_selectorIjN6thrust23THRUST_200600_302600_NS5tupleIffNS6_9null_typeES8_S8_S8_S8_S8_S8_S8_EEEEZZNS1_27merge_sort_block_merge_implIS3_NS6_6detail15normal_iteratorINS6_10device_ptrIjEEEENSD_INSE_IS9_EEEEjNS1_19radix_merge_compareILb0ELb1EjNS0_19identity_decomposerEEEEE10hipError_tT0_T1_T2_jT3_P12ihipStream_tbPNSt15iterator_traitsISN_E10value_typeEPNST_ISO_E10value_typeEPSP_NS1_7vsmem_tEENKUlT_SN_SO_SP_E_clIPjSG_PS9_SI_EESM_S12_SN_SO_SP_EUlS12_E0_NS1_11comp_targetILNS1_3genE3ELNS1_11target_archE908ELNS1_3gpuE7ELNS1_3repE0EEENS1_38merge_mergepath_config_static_selectorELNS0_4arch9wavefront6targetE0EEEvSO_.uses_flat_scratch, 0
	.set _ZN7rocprim17ROCPRIM_400000_NS6detail17trampoline_kernelINS0_14default_configENS1_38merge_sort_block_merge_config_selectorIjN6thrust23THRUST_200600_302600_NS5tupleIffNS6_9null_typeES8_S8_S8_S8_S8_S8_S8_EEEEZZNS1_27merge_sort_block_merge_implIS3_NS6_6detail15normal_iteratorINS6_10device_ptrIjEEEENSD_INSE_IS9_EEEEjNS1_19radix_merge_compareILb0ELb1EjNS0_19identity_decomposerEEEEE10hipError_tT0_T1_T2_jT3_P12ihipStream_tbPNSt15iterator_traitsISN_E10value_typeEPNST_ISO_E10value_typeEPSP_NS1_7vsmem_tEENKUlT_SN_SO_SP_E_clIPjSG_PS9_SI_EESM_S12_SN_SO_SP_EUlS12_E0_NS1_11comp_targetILNS1_3genE3ELNS1_11target_archE908ELNS1_3gpuE7ELNS1_3repE0EEENS1_38merge_mergepath_config_static_selectorELNS0_4arch9wavefront6targetE0EEEvSO_.has_dyn_sized_stack, 0
	.set _ZN7rocprim17ROCPRIM_400000_NS6detail17trampoline_kernelINS0_14default_configENS1_38merge_sort_block_merge_config_selectorIjN6thrust23THRUST_200600_302600_NS5tupleIffNS6_9null_typeES8_S8_S8_S8_S8_S8_S8_EEEEZZNS1_27merge_sort_block_merge_implIS3_NS6_6detail15normal_iteratorINS6_10device_ptrIjEEEENSD_INSE_IS9_EEEEjNS1_19radix_merge_compareILb0ELb1EjNS0_19identity_decomposerEEEEE10hipError_tT0_T1_T2_jT3_P12ihipStream_tbPNSt15iterator_traitsISN_E10value_typeEPNST_ISO_E10value_typeEPSP_NS1_7vsmem_tEENKUlT_SN_SO_SP_E_clIPjSG_PS9_SI_EESM_S12_SN_SO_SP_EUlS12_E0_NS1_11comp_targetILNS1_3genE3ELNS1_11target_archE908ELNS1_3gpuE7ELNS1_3repE0EEENS1_38merge_mergepath_config_static_selectorELNS0_4arch9wavefront6targetE0EEEvSO_.has_recursion, 0
	.set _ZN7rocprim17ROCPRIM_400000_NS6detail17trampoline_kernelINS0_14default_configENS1_38merge_sort_block_merge_config_selectorIjN6thrust23THRUST_200600_302600_NS5tupleIffNS6_9null_typeES8_S8_S8_S8_S8_S8_S8_EEEEZZNS1_27merge_sort_block_merge_implIS3_NS6_6detail15normal_iteratorINS6_10device_ptrIjEEEENSD_INSE_IS9_EEEEjNS1_19radix_merge_compareILb0ELb1EjNS0_19identity_decomposerEEEEE10hipError_tT0_T1_T2_jT3_P12ihipStream_tbPNSt15iterator_traitsISN_E10value_typeEPNST_ISO_E10value_typeEPSP_NS1_7vsmem_tEENKUlT_SN_SO_SP_E_clIPjSG_PS9_SI_EESM_S12_SN_SO_SP_EUlS12_E0_NS1_11comp_targetILNS1_3genE3ELNS1_11target_archE908ELNS1_3gpuE7ELNS1_3repE0EEENS1_38merge_mergepath_config_static_selectorELNS0_4arch9wavefront6targetE0EEEvSO_.has_indirect_call, 0
	.section	.AMDGPU.csdata,"",@progbits
; Kernel info:
; codeLenInByte = 0
; TotalNumSgprs: 0
; NumVgprs: 0
; ScratchSize: 0
; MemoryBound: 0
; FloatMode: 240
; IeeeMode: 1
; LDSByteSize: 0 bytes/workgroup (compile time only)
; SGPRBlocks: 0
; VGPRBlocks: 0
; NumSGPRsForWavesPerEU: 1
; NumVGPRsForWavesPerEU: 1
; Occupancy: 16
; WaveLimiterHint : 0
; COMPUTE_PGM_RSRC2:SCRATCH_EN: 0
; COMPUTE_PGM_RSRC2:USER_SGPR: 6
; COMPUTE_PGM_RSRC2:TRAP_HANDLER: 0
; COMPUTE_PGM_RSRC2:TGID_X_EN: 1
; COMPUTE_PGM_RSRC2:TGID_Y_EN: 0
; COMPUTE_PGM_RSRC2:TGID_Z_EN: 0
; COMPUTE_PGM_RSRC2:TIDIG_COMP_CNT: 0
	.section	.text._ZN7rocprim17ROCPRIM_400000_NS6detail17trampoline_kernelINS0_14default_configENS1_38merge_sort_block_merge_config_selectorIjN6thrust23THRUST_200600_302600_NS5tupleIffNS6_9null_typeES8_S8_S8_S8_S8_S8_S8_EEEEZZNS1_27merge_sort_block_merge_implIS3_NS6_6detail15normal_iteratorINS6_10device_ptrIjEEEENSD_INSE_IS9_EEEEjNS1_19radix_merge_compareILb0ELb1EjNS0_19identity_decomposerEEEEE10hipError_tT0_T1_T2_jT3_P12ihipStream_tbPNSt15iterator_traitsISN_E10value_typeEPNST_ISO_E10value_typeEPSP_NS1_7vsmem_tEENKUlT_SN_SO_SP_E_clIPjSG_PS9_SI_EESM_S12_SN_SO_SP_EUlS12_E0_NS1_11comp_targetILNS1_3genE2ELNS1_11target_archE906ELNS1_3gpuE6ELNS1_3repE0EEENS1_38merge_mergepath_config_static_selectorELNS0_4arch9wavefront6targetE0EEEvSO_,"axG",@progbits,_ZN7rocprim17ROCPRIM_400000_NS6detail17trampoline_kernelINS0_14default_configENS1_38merge_sort_block_merge_config_selectorIjN6thrust23THRUST_200600_302600_NS5tupleIffNS6_9null_typeES8_S8_S8_S8_S8_S8_S8_EEEEZZNS1_27merge_sort_block_merge_implIS3_NS6_6detail15normal_iteratorINS6_10device_ptrIjEEEENSD_INSE_IS9_EEEEjNS1_19radix_merge_compareILb0ELb1EjNS0_19identity_decomposerEEEEE10hipError_tT0_T1_T2_jT3_P12ihipStream_tbPNSt15iterator_traitsISN_E10value_typeEPNST_ISO_E10value_typeEPSP_NS1_7vsmem_tEENKUlT_SN_SO_SP_E_clIPjSG_PS9_SI_EESM_S12_SN_SO_SP_EUlS12_E0_NS1_11comp_targetILNS1_3genE2ELNS1_11target_archE906ELNS1_3gpuE6ELNS1_3repE0EEENS1_38merge_mergepath_config_static_selectorELNS0_4arch9wavefront6targetE0EEEvSO_,comdat
	.protected	_ZN7rocprim17ROCPRIM_400000_NS6detail17trampoline_kernelINS0_14default_configENS1_38merge_sort_block_merge_config_selectorIjN6thrust23THRUST_200600_302600_NS5tupleIffNS6_9null_typeES8_S8_S8_S8_S8_S8_S8_EEEEZZNS1_27merge_sort_block_merge_implIS3_NS6_6detail15normal_iteratorINS6_10device_ptrIjEEEENSD_INSE_IS9_EEEEjNS1_19radix_merge_compareILb0ELb1EjNS0_19identity_decomposerEEEEE10hipError_tT0_T1_T2_jT3_P12ihipStream_tbPNSt15iterator_traitsISN_E10value_typeEPNST_ISO_E10value_typeEPSP_NS1_7vsmem_tEENKUlT_SN_SO_SP_E_clIPjSG_PS9_SI_EESM_S12_SN_SO_SP_EUlS12_E0_NS1_11comp_targetILNS1_3genE2ELNS1_11target_archE906ELNS1_3gpuE6ELNS1_3repE0EEENS1_38merge_mergepath_config_static_selectorELNS0_4arch9wavefront6targetE0EEEvSO_ ; -- Begin function _ZN7rocprim17ROCPRIM_400000_NS6detail17trampoline_kernelINS0_14default_configENS1_38merge_sort_block_merge_config_selectorIjN6thrust23THRUST_200600_302600_NS5tupleIffNS6_9null_typeES8_S8_S8_S8_S8_S8_S8_EEEEZZNS1_27merge_sort_block_merge_implIS3_NS6_6detail15normal_iteratorINS6_10device_ptrIjEEEENSD_INSE_IS9_EEEEjNS1_19radix_merge_compareILb0ELb1EjNS0_19identity_decomposerEEEEE10hipError_tT0_T1_T2_jT3_P12ihipStream_tbPNSt15iterator_traitsISN_E10value_typeEPNST_ISO_E10value_typeEPSP_NS1_7vsmem_tEENKUlT_SN_SO_SP_E_clIPjSG_PS9_SI_EESM_S12_SN_SO_SP_EUlS12_E0_NS1_11comp_targetILNS1_3genE2ELNS1_11target_archE906ELNS1_3gpuE6ELNS1_3repE0EEENS1_38merge_mergepath_config_static_selectorELNS0_4arch9wavefront6targetE0EEEvSO_
	.globl	_ZN7rocprim17ROCPRIM_400000_NS6detail17trampoline_kernelINS0_14default_configENS1_38merge_sort_block_merge_config_selectorIjN6thrust23THRUST_200600_302600_NS5tupleIffNS6_9null_typeES8_S8_S8_S8_S8_S8_S8_EEEEZZNS1_27merge_sort_block_merge_implIS3_NS6_6detail15normal_iteratorINS6_10device_ptrIjEEEENSD_INSE_IS9_EEEEjNS1_19radix_merge_compareILb0ELb1EjNS0_19identity_decomposerEEEEE10hipError_tT0_T1_T2_jT3_P12ihipStream_tbPNSt15iterator_traitsISN_E10value_typeEPNST_ISO_E10value_typeEPSP_NS1_7vsmem_tEENKUlT_SN_SO_SP_E_clIPjSG_PS9_SI_EESM_S12_SN_SO_SP_EUlS12_E0_NS1_11comp_targetILNS1_3genE2ELNS1_11target_archE906ELNS1_3gpuE6ELNS1_3repE0EEENS1_38merge_mergepath_config_static_selectorELNS0_4arch9wavefront6targetE0EEEvSO_
	.p2align	8
	.type	_ZN7rocprim17ROCPRIM_400000_NS6detail17trampoline_kernelINS0_14default_configENS1_38merge_sort_block_merge_config_selectorIjN6thrust23THRUST_200600_302600_NS5tupleIffNS6_9null_typeES8_S8_S8_S8_S8_S8_S8_EEEEZZNS1_27merge_sort_block_merge_implIS3_NS6_6detail15normal_iteratorINS6_10device_ptrIjEEEENSD_INSE_IS9_EEEEjNS1_19radix_merge_compareILb0ELb1EjNS0_19identity_decomposerEEEEE10hipError_tT0_T1_T2_jT3_P12ihipStream_tbPNSt15iterator_traitsISN_E10value_typeEPNST_ISO_E10value_typeEPSP_NS1_7vsmem_tEENKUlT_SN_SO_SP_E_clIPjSG_PS9_SI_EESM_S12_SN_SO_SP_EUlS12_E0_NS1_11comp_targetILNS1_3genE2ELNS1_11target_archE906ELNS1_3gpuE6ELNS1_3repE0EEENS1_38merge_mergepath_config_static_selectorELNS0_4arch9wavefront6targetE0EEEvSO_,@function
_ZN7rocprim17ROCPRIM_400000_NS6detail17trampoline_kernelINS0_14default_configENS1_38merge_sort_block_merge_config_selectorIjN6thrust23THRUST_200600_302600_NS5tupleIffNS6_9null_typeES8_S8_S8_S8_S8_S8_S8_EEEEZZNS1_27merge_sort_block_merge_implIS3_NS6_6detail15normal_iteratorINS6_10device_ptrIjEEEENSD_INSE_IS9_EEEEjNS1_19radix_merge_compareILb0ELb1EjNS0_19identity_decomposerEEEEE10hipError_tT0_T1_T2_jT3_P12ihipStream_tbPNSt15iterator_traitsISN_E10value_typeEPNST_ISO_E10value_typeEPSP_NS1_7vsmem_tEENKUlT_SN_SO_SP_E_clIPjSG_PS9_SI_EESM_S12_SN_SO_SP_EUlS12_E0_NS1_11comp_targetILNS1_3genE2ELNS1_11target_archE906ELNS1_3gpuE6ELNS1_3repE0EEENS1_38merge_mergepath_config_static_selectorELNS0_4arch9wavefront6targetE0EEEvSO_: ; @_ZN7rocprim17ROCPRIM_400000_NS6detail17trampoline_kernelINS0_14default_configENS1_38merge_sort_block_merge_config_selectorIjN6thrust23THRUST_200600_302600_NS5tupleIffNS6_9null_typeES8_S8_S8_S8_S8_S8_S8_EEEEZZNS1_27merge_sort_block_merge_implIS3_NS6_6detail15normal_iteratorINS6_10device_ptrIjEEEENSD_INSE_IS9_EEEEjNS1_19radix_merge_compareILb0ELb1EjNS0_19identity_decomposerEEEEE10hipError_tT0_T1_T2_jT3_P12ihipStream_tbPNSt15iterator_traitsISN_E10value_typeEPNST_ISO_E10value_typeEPSP_NS1_7vsmem_tEENKUlT_SN_SO_SP_E_clIPjSG_PS9_SI_EESM_S12_SN_SO_SP_EUlS12_E0_NS1_11comp_targetILNS1_3genE2ELNS1_11target_archE906ELNS1_3gpuE6ELNS1_3repE0EEENS1_38merge_mergepath_config_static_selectorELNS0_4arch9wavefront6targetE0EEEvSO_
; %bb.0:
	.section	.rodata,"a",@progbits
	.p2align	6, 0x0
	.amdhsa_kernel _ZN7rocprim17ROCPRIM_400000_NS6detail17trampoline_kernelINS0_14default_configENS1_38merge_sort_block_merge_config_selectorIjN6thrust23THRUST_200600_302600_NS5tupleIffNS6_9null_typeES8_S8_S8_S8_S8_S8_S8_EEEEZZNS1_27merge_sort_block_merge_implIS3_NS6_6detail15normal_iteratorINS6_10device_ptrIjEEEENSD_INSE_IS9_EEEEjNS1_19radix_merge_compareILb0ELb1EjNS0_19identity_decomposerEEEEE10hipError_tT0_T1_T2_jT3_P12ihipStream_tbPNSt15iterator_traitsISN_E10value_typeEPNST_ISO_E10value_typeEPSP_NS1_7vsmem_tEENKUlT_SN_SO_SP_E_clIPjSG_PS9_SI_EESM_S12_SN_SO_SP_EUlS12_E0_NS1_11comp_targetILNS1_3genE2ELNS1_11target_archE906ELNS1_3gpuE6ELNS1_3repE0EEENS1_38merge_mergepath_config_static_selectorELNS0_4arch9wavefront6targetE0EEEvSO_
		.amdhsa_group_segment_fixed_size 0
		.amdhsa_private_segment_fixed_size 0
		.amdhsa_kernarg_size 64
		.amdhsa_user_sgpr_count 6
		.amdhsa_user_sgpr_private_segment_buffer 1
		.amdhsa_user_sgpr_dispatch_ptr 0
		.amdhsa_user_sgpr_queue_ptr 0
		.amdhsa_user_sgpr_kernarg_segment_ptr 1
		.amdhsa_user_sgpr_dispatch_id 0
		.amdhsa_user_sgpr_flat_scratch_init 0
		.amdhsa_user_sgpr_private_segment_size 0
		.amdhsa_wavefront_size32 1
		.amdhsa_uses_dynamic_stack 0
		.amdhsa_system_sgpr_private_segment_wavefront_offset 0
		.amdhsa_system_sgpr_workgroup_id_x 1
		.amdhsa_system_sgpr_workgroup_id_y 0
		.amdhsa_system_sgpr_workgroup_id_z 0
		.amdhsa_system_sgpr_workgroup_info 0
		.amdhsa_system_vgpr_workitem_id 0
		.amdhsa_next_free_vgpr 1
		.amdhsa_next_free_sgpr 1
		.amdhsa_reserve_vcc 0
		.amdhsa_reserve_flat_scratch 0
		.amdhsa_float_round_mode_32 0
		.amdhsa_float_round_mode_16_64 0
		.amdhsa_float_denorm_mode_32 3
		.amdhsa_float_denorm_mode_16_64 3
		.amdhsa_dx10_clamp 1
		.amdhsa_ieee_mode 1
		.amdhsa_fp16_overflow 0
		.amdhsa_workgroup_processor_mode 1
		.amdhsa_memory_ordered 1
		.amdhsa_forward_progress 1
		.amdhsa_shared_vgpr_count 0
		.amdhsa_exception_fp_ieee_invalid_op 0
		.amdhsa_exception_fp_denorm_src 0
		.amdhsa_exception_fp_ieee_div_zero 0
		.amdhsa_exception_fp_ieee_overflow 0
		.amdhsa_exception_fp_ieee_underflow 0
		.amdhsa_exception_fp_ieee_inexact 0
		.amdhsa_exception_int_div_zero 0
	.end_amdhsa_kernel
	.section	.text._ZN7rocprim17ROCPRIM_400000_NS6detail17trampoline_kernelINS0_14default_configENS1_38merge_sort_block_merge_config_selectorIjN6thrust23THRUST_200600_302600_NS5tupleIffNS6_9null_typeES8_S8_S8_S8_S8_S8_S8_EEEEZZNS1_27merge_sort_block_merge_implIS3_NS6_6detail15normal_iteratorINS6_10device_ptrIjEEEENSD_INSE_IS9_EEEEjNS1_19radix_merge_compareILb0ELb1EjNS0_19identity_decomposerEEEEE10hipError_tT0_T1_T2_jT3_P12ihipStream_tbPNSt15iterator_traitsISN_E10value_typeEPNST_ISO_E10value_typeEPSP_NS1_7vsmem_tEENKUlT_SN_SO_SP_E_clIPjSG_PS9_SI_EESM_S12_SN_SO_SP_EUlS12_E0_NS1_11comp_targetILNS1_3genE2ELNS1_11target_archE906ELNS1_3gpuE6ELNS1_3repE0EEENS1_38merge_mergepath_config_static_selectorELNS0_4arch9wavefront6targetE0EEEvSO_,"axG",@progbits,_ZN7rocprim17ROCPRIM_400000_NS6detail17trampoline_kernelINS0_14default_configENS1_38merge_sort_block_merge_config_selectorIjN6thrust23THRUST_200600_302600_NS5tupleIffNS6_9null_typeES8_S8_S8_S8_S8_S8_S8_EEEEZZNS1_27merge_sort_block_merge_implIS3_NS6_6detail15normal_iteratorINS6_10device_ptrIjEEEENSD_INSE_IS9_EEEEjNS1_19radix_merge_compareILb0ELb1EjNS0_19identity_decomposerEEEEE10hipError_tT0_T1_T2_jT3_P12ihipStream_tbPNSt15iterator_traitsISN_E10value_typeEPNST_ISO_E10value_typeEPSP_NS1_7vsmem_tEENKUlT_SN_SO_SP_E_clIPjSG_PS9_SI_EESM_S12_SN_SO_SP_EUlS12_E0_NS1_11comp_targetILNS1_3genE2ELNS1_11target_archE906ELNS1_3gpuE6ELNS1_3repE0EEENS1_38merge_mergepath_config_static_selectorELNS0_4arch9wavefront6targetE0EEEvSO_,comdat
.Lfunc_end104:
	.size	_ZN7rocprim17ROCPRIM_400000_NS6detail17trampoline_kernelINS0_14default_configENS1_38merge_sort_block_merge_config_selectorIjN6thrust23THRUST_200600_302600_NS5tupleIffNS6_9null_typeES8_S8_S8_S8_S8_S8_S8_EEEEZZNS1_27merge_sort_block_merge_implIS3_NS6_6detail15normal_iteratorINS6_10device_ptrIjEEEENSD_INSE_IS9_EEEEjNS1_19radix_merge_compareILb0ELb1EjNS0_19identity_decomposerEEEEE10hipError_tT0_T1_T2_jT3_P12ihipStream_tbPNSt15iterator_traitsISN_E10value_typeEPNST_ISO_E10value_typeEPSP_NS1_7vsmem_tEENKUlT_SN_SO_SP_E_clIPjSG_PS9_SI_EESM_S12_SN_SO_SP_EUlS12_E0_NS1_11comp_targetILNS1_3genE2ELNS1_11target_archE906ELNS1_3gpuE6ELNS1_3repE0EEENS1_38merge_mergepath_config_static_selectorELNS0_4arch9wavefront6targetE0EEEvSO_, .Lfunc_end104-_ZN7rocprim17ROCPRIM_400000_NS6detail17trampoline_kernelINS0_14default_configENS1_38merge_sort_block_merge_config_selectorIjN6thrust23THRUST_200600_302600_NS5tupleIffNS6_9null_typeES8_S8_S8_S8_S8_S8_S8_EEEEZZNS1_27merge_sort_block_merge_implIS3_NS6_6detail15normal_iteratorINS6_10device_ptrIjEEEENSD_INSE_IS9_EEEEjNS1_19radix_merge_compareILb0ELb1EjNS0_19identity_decomposerEEEEE10hipError_tT0_T1_T2_jT3_P12ihipStream_tbPNSt15iterator_traitsISN_E10value_typeEPNST_ISO_E10value_typeEPSP_NS1_7vsmem_tEENKUlT_SN_SO_SP_E_clIPjSG_PS9_SI_EESM_S12_SN_SO_SP_EUlS12_E0_NS1_11comp_targetILNS1_3genE2ELNS1_11target_archE906ELNS1_3gpuE6ELNS1_3repE0EEENS1_38merge_mergepath_config_static_selectorELNS0_4arch9wavefront6targetE0EEEvSO_
                                        ; -- End function
	.set _ZN7rocprim17ROCPRIM_400000_NS6detail17trampoline_kernelINS0_14default_configENS1_38merge_sort_block_merge_config_selectorIjN6thrust23THRUST_200600_302600_NS5tupleIffNS6_9null_typeES8_S8_S8_S8_S8_S8_S8_EEEEZZNS1_27merge_sort_block_merge_implIS3_NS6_6detail15normal_iteratorINS6_10device_ptrIjEEEENSD_INSE_IS9_EEEEjNS1_19radix_merge_compareILb0ELb1EjNS0_19identity_decomposerEEEEE10hipError_tT0_T1_T2_jT3_P12ihipStream_tbPNSt15iterator_traitsISN_E10value_typeEPNST_ISO_E10value_typeEPSP_NS1_7vsmem_tEENKUlT_SN_SO_SP_E_clIPjSG_PS9_SI_EESM_S12_SN_SO_SP_EUlS12_E0_NS1_11comp_targetILNS1_3genE2ELNS1_11target_archE906ELNS1_3gpuE6ELNS1_3repE0EEENS1_38merge_mergepath_config_static_selectorELNS0_4arch9wavefront6targetE0EEEvSO_.num_vgpr, 0
	.set _ZN7rocprim17ROCPRIM_400000_NS6detail17trampoline_kernelINS0_14default_configENS1_38merge_sort_block_merge_config_selectorIjN6thrust23THRUST_200600_302600_NS5tupleIffNS6_9null_typeES8_S8_S8_S8_S8_S8_S8_EEEEZZNS1_27merge_sort_block_merge_implIS3_NS6_6detail15normal_iteratorINS6_10device_ptrIjEEEENSD_INSE_IS9_EEEEjNS1_19radix_merge_compareILb0ELb1EjNS0_19identity_decomposerEEEEE10hipError_tT0_T1_T2_jT3_P12ihipStream_tbPNSt15iterator_traitsISN_E10value_typeEPNST_ISO_E10value_typeEPSP_NS1_7vsmem_tEENKUlT_SN_SO_SP_E_clIPjSG_PS9_SI_EESM_S12_SN_SO_SP_EUlS12_E0_NS1_11comp_targetILNS1_3genE2ELNS1_11target_archE906ELNS1_3gpuE6ELNS1_3repE0EEENS1_38merge_mergepath_config_static_selectorELNS0_4arch9wavefront6targetE0EEEvSO_.num_agpr, 0
	.set _ZN7rocprim17ROCPRIM_400000_NS6detail17trampoline_kernelINS0_14default_configENS1_38merge_sort_block_merge_config_selectorIjN6thrust23THRUST_200600_302600_NS5tupleIffNS6_9null_typeES8_S8_S8_S8_S8_S8_S8_EEEEZZNS1_27merge_sort_block_merge_implIS3_NS6_6detail15normal_iteratorINS6_10device_ptrIjEEEENSD_INSE_IS9_EEEEjNS1_19radix_merge_compareILb0ELb1EjNS0_19identity_decomposerEEEEE10hipError_tT0_T1_T2_jT3_P12ihipStream_tbPNSt15iterator_traitsISN_E10value_typeEPNST_ISO_E10value_typeEPSP_NS1_7vsmem_tEENKUlT_SN_SO_SP_E_clIPjSG_PS9_SI_EESM_S12_SN_SO_SP_EUlS12_E0_NS1_11comp_targetILNS1_3genE2ELNS1_11target_archE906ELNS1_3gpuE6ELNS1_3repE0EEENS1_38merge_mergepath_config_static_selectorELNS0_4arch9wavefront6targetE0EEEvSO_.numbered_sgpr, 0
	.set _ZN7rocprim17ROCPRIM_400000_NS6detail17trampoline_kernelINS0_14default_configENS1_38merge_sort_block_merge_config_selectorIjN6thrust23THRUST_200600_302600_NS5tupleIffNS6_9null_typeES8_S8_S8_S8_S8_S8_S8_EEEEZZNS1_27merge_sort_block_merge_implIS3_NS6_6detail15normal_iteratorINS6_10device_ptrIjEEEENSD_INSE_IS9_EEEEjNS1_19radix_merge_compareILb0ELb1EjNS0_19identity_decomposerEEEEE10hipError_tT0_T1_T2_jT3_P12ihipStream_tbPNSt15iterator_traitsISN_E10value_typeEPNST_ISO_E10value_typeEPSP_NS1_7vsmem_tEENKUlT_SN_SO_SP_E_clIPjSG_PS9_SI_EESM_S12_SN_SO_SP_EUlS12_E0_NS1_11comp_targetILNS1_3genE2ELNS1_11target_archE906ELNS1_3gpuE6ELNS1_3repE0EEENS1_38merge_mergepath_config_static_selectorELNS0_4arch9wavefront6targetE0EEEvSO_.num_named_barrier, 0
	.set _ZN7rocprim17ROCPRIM_400000_NS6detail17trampoline_kernelINS0_14default_configENS1_38merge_sort_block_merge_config_selectorIjN6thrust23THRUST_200600_302600_NS5tupleIffNS6_9null_typeES8_S8_S8_S8_S8_S8_S8_EEEEZZNS1_27merge_sort_block_merge_implIS3_NS6_6detail15normal_iteratorINS6_10device_ptrIjEEEENSD_INSE_IS9_EEEEjNS1_19radix_merge_compareILb0ELb1EjNS0_19identity_decomposerEEEEE10hipError_tT0_T1_T2_jT3_P12ihipStream_tbPNSt15iterator_traitsISN_E10value_typeEPNST_ISO_E10value_typeEPSP_NS1_7vsmem_tEENKUlT_SN_SO_SP_E_clIPjSG_PS9_SI_EESM_S12_SN_SO_SP_EUlS12_E0_NS1_11comp_targetILNS1_3genE2ELNS1_11target_archE906ELNS1_3gpuE6ELNS1_3repE0EEENS1_38merge_mergepath_config_static_selectorELNS0_4arch9wavefront6targetE0EEEvSO_.private_seg_size, 0
	.set _ZN7rocprim17ROCPRIM_400000_NS6detail17trampoline_kernelINS0_14default_configENS1_38merge_sort_block_merge_config_selectorIjN6thrust23THRUST_200600_302600_NS5tupleIffNS6_9null_typeES8_S8_S8_S8_S8_S8_S8_EEEEZZNS1_27merge_sort_block_merge_implIS3_NS6_6detail15normal_iteratorINS6_10device_ptrIjEEEENSD_INSE_IS9_EEEEjNS1_19radix_merge_compareILb0ELb1EjNS0_19identity_decomposerEEEEE10hipError_tT0_T1_T2_jT3_P12ihipStream_tbPNSt15iterator_traitsISN_E10value_typeEPNST_ISO_E10value_typeEPSP_NS1_7vsmem_tEENKUlT_SN_SO_SP_E_clIPjSG_PS9_SI_EESM_S12_SN_SO_SP_EUlS12_E0_NS1_11comp_targetILNS1_3genE2ELNS1_11target_archE906ELNS1_3gpuE6ELNS1_3repE0EEENS1_38merge_mergepath_config_static_selectorELNS0_4arch9wavefront6targetE0EEEvSO_.uses_vcc, 0
	.set _ZN7rocprim17ROCPRIM_400000_NS6detail17trampoline_kernelINS0_14default_configENS1_38merge_sort_block_merge_config_selectorIjN6thrust23THRUST_200600_302600_NS5tupleIffNS6_9null_typeES8_S8_S8_S8_S8_S8_S8_EEEEZZNS1_27merge_sort_block_merge_implIS3_NS6_6detail15normal_iteratorINS6_10device_ptrIjEEEENSD_INSE_IS9_EEEEjNS1_19radix_merge_compareILb0ELb1EjNS0_19identity_decomposerEEEEE10hipError_tT0_T1_T2_jT3_P12ihipStream_tbPNSt15iterator_traitsISN_E10value_typeEPNST_ISO_E10value_typeEPSP_NS1_7vsmem_tEENKUlT_SN_SO_SP_E_clIPjSG_PS9_SI_EESM_S12_SN_SO_SP_EUlS12_E0_NS1_11comp_targetILNS1_3genE2ELNS1_11target_archE906ELNS1_3gpuE6ELNS1_3repE0EEENS1_38merge_mergepath_config_static_selectorELNS0_4arch9wavefront6targetE0EEEvSO_.uses_flat_scratch, 0
	.set _ZN7rocprim17ROCPRIM_400000_NS6detail17trampoline_kernelINS0_14default_configENS1_38merge_sort_block_merge_config_selectorIjN6thrust23THRUST_200600_302600_NS5tupleIffNS6_9null_typeES8_S8_S8_S8_S8_S8_S8_EEEEZZNS1_27merge_sort_block_merge_implIS3_NS6_6detail15normal_iteratorINS6_10device_ptrIjEEEENSD_INSE_IS9_EEEEjNS1_19radix_merge_compareILb0ELb1EjNS0_19identity_decomposerEEEEE10hipError_tT0_T1_T2_jT3_P12ihipStream_tbPNSt15iterator_traitsISN_E10value_typeEPNST_ISO_E10value_typeEPSP_NS1_7vsmem_tEENKUlT_SN_SO_SP_E_clIPjSG_PS9_SI_EESM_S12_SN_SO_SP_EUlS12_E0_NS1_11comp_targetILNS1_3genE2ELNS1_11target_archE906ELNS1_3gpuE6ELNS1_3repE0EEENS1_38merge_mergepath_config_static_selectorELNS0_4arch9wavefront6targetE0EEEvSO_.has_dyn_sized_stack, 0
	.set _ZN7rocprim17ROCPRIM_400000_NS6detail17trampoline_kernelINS0_14default_configENS1_38merge_sort_block_merge_config_selectorIjN6thrust23THRUST_200600_302600_NS5tupleIffNS6_9null_typeES8_S8_S8_S8_S8_S8_S8_EEEEZZNS1_27merge_sort_block_merge_implIS3_NS6_6detail15normal_iteratorINS6_10device_ptrIjEEEENSD_INSE_IS9_EEEEjNS1_19radix_merge_compareILb0ELb1EjNS0_19identity_decomposerEEEEE10hipError_tT0_T1_T2_jT3_P12ihipStream_tbPNSt15iterator_traitsISN_E10value_typeEPNST_ISO_E10value_typeEPSP_NS1_7vsmem_tEENKUlT_SN_SO_SP_E_clIPjSG_PS9_SI_EESM_S12_SN_SO_SP_EUlS12_E0_NS1_11comp_targetILNS1_3genE2ELNS1_11target_archE906ELNS1_3gpuE6ELNS1_3repE0EEENS1_38merge_mergepath_config_static_selectorELNS0_4arch9wavefront6targetE0EEEvSO_.has_recursion, 0
	.set _ZN7rocprim17ROCPRIM_400000_NS6detail17trampoline_kernelINS0_14default_configENS1_38merge_sort_block_merge_config_selectorIjN6thrust23THRUST_200600_302600_NS5tupleIffNS6_9null_typeES8_S8_S8_S8_S8_S8_S8_EEEEZZNS1_27merge_sort_block_merge_implIS3_NS6_6detail15normal_iteratorINS6_10device_ptrIjEEEENSD_INSE_IS9_EEEEjNS1_19radix_merge_compareILb0ELb1EjNS0_19identity_decomposerEEEEE10hipError_tT0_T1_T2_jT3_P12ihipStream_tbPNSt15iterator_traitsISN_E10value_typeEPNST_ISO_E10value_typeEPSP_NS1_7vsmem_tEENKUlT_SN_SO_SP_E_clIPjSG_PS9_SI_EESM_S12_SN_SO_SP_EUlS12_E0_NS1_11comp_targetILNS1_3genE2ELNS1_11target_archE906ELNS1_3gpuE6ELNS1_3repE0EEENS1_38merge_mergepath_config_static_selectorELNS0_4arch9wavefront6targetE0EEEvSO_.has_indirect_call, 0
	.section	.AMDGPU.csdata,"",@progbits
; Kernel info:
; codeLenInByte = 0
; TotalNumSgprs: 0
; NumVgprs: 0
; ScratchSize: 0
; MemoryBound: 0
; FloatMode: 240
; IeeeMode: 1
; LDSByteSize: 0 bytes/workgroup (compile time only)
; SGPRBlocks: 0
; VGPRBlocks: 0
; NumSGPRsForWavesPerEU: 1
; NumVGPRsForWavesPerEU: 1
; Occupancy: 16
; WaveLimiterHint : 0
; COMPUTE_PGM_RSRC2:SCRATCH_EN: 0
; COMPUTE_PGM_RSRC2:USER_SGPR: 6
; COMPUTE_PGM_RSRC2:TRAP_HANDLER: 0
; COMPUTE_PGM_RSRC2:TGID_X_EN: 1
; COMPUTE_PGM_RSRC2:TGID_Y_EN: 0
; COMPUTE_PGM_RSRC2:TGID_Z_EN: 0
; COMPUTE_PGM_RSRC2:TIDIG_COMP_CNT: 0
	.section	.text._ZN7rocprim17ROCPRIM_400000_NS6detail17trampoline_kernelINS0_14default_configENS1_38merge_sort_block_merge_config_selectorIjN6thrust23THRUST_200600_302600_NS5tupleIffNS6_9null_typeES8_S8_S8_S8_S8_S8_S8_EEEEZZNS1_27merge_sort_block_merge_implIS3_NS6_6detail15normal_iteratorINS6_10device_ptrIjEEEENSD_INSE_IS9_EEEEjNS1_19radix_merge_compareILb0ELb1EjNS0_19identity_decomposerEEEEE10hipError_tT0_T1_T2_jT3_P12ihipStream_tbPNSt15iterator_traitsISN_E10value_typeEPNST_ISO_E10value_typeEPSP_NS1_7vsmem_tEENKUlT_SN_SO_SP_E_clIPjSG_PS9_SI_EESM_S12_SN_SO_SP_EUlS12_E0_NS1_11comp_targetILNS1_3genE9ELNS1_11target_archE1100ELNS1_3gpuE3ELNS1_3repE0EEENS1_38merge_mergepath_config_static_selectorELNS0_4arch9wavefront6targetE0EEEvSO_,"axG",@progbits,_ZN7rocprim17ROCPRIM_400000_NS6detail17trampoline_kernelINS0_14default_configENS1_38merge_sort_block_merge_config_selectorIjN6thrust23THRUST_200600_302600_NS5tupleIffNS6_9null_typeES8_S8_S8_S8_S8_S8_S8_EEEEZZNS1_27merge_sort_block_merge_implIS3_NS6_6detail15normal_iteratorINS6_10device_ptrIjEEEENSD_INSE_IS9_EEEEjNS1_19radix_merge_compareILb0ELb1EjNS0_19identity_decomposerEEEEE10hipError_tT0_T1_T2_jT3_P12ihipStream_tbPNSt15iterator_traitsISN_E10value_typeEPNST_ISO_E10value_typeEPSP_NS1_7vsmem_tEENKUlT_SN_SO_SP_E_clIPjSG_PS9_SI_EESM_S12_SN_SO_SP_EUlS12_E0_NS1_11comp_targetILNS1_3genE9ELNS1_11target_archE1100ELNS1_3gpuE3ELNS1_3repE0EEENS1_38merge_mergepath_config_static_selectorELNS0_4arch9wavefront6targetE0EEEvSO_,comdat
	.protected	_ZN7rocprim17ROCPRIM_400000_NS6detail17trampoline_kernelINS0_14default_configENS1_38merge_sort_block_merge_config_selectorIjN6thrust23THRUST_200600_302600_NS5tupleIffNS6_9null_typeES8_S8_S8_S8_S8_S8_S8_EEEEZZNS1_27merge_sort_block_merge_implIS3_NS6_6detail15normal_iteratorINS6_10device_ptrIjEEEENSD_INSE_IS9_EEEEjNS1_19radix_merge_compareILb0ELb1EjNS0_19identity_decomposerEEEEE10hipError_tT0_T1_T2_jT3_P12ihipStream_tbPNSt15iterator_traitsISN_E10value_typeEPNST_ISO_E10value_typeEPSP_NS1_7vsmem_tEENKUlT_SN_SO_SP_E_clIPjSG_PS9_SI_EESM_S12_SN_SO_SP_EUlS12_E0_NS1_11comp_targetILNS1_3genE9ELNS1_11target_archE1100ELNS1_3gpuE3ELNS1_3repE0EEENS1_38merge_mergepath_config_static_selectorELNS0_4arch9wavefront6targetE0EEEvSO_ ; -- Begin function _ZN7rocprim17ROCPRIM_400000_NS6detail17trampoline_kernelINS0_14default_configENS1_38merge_sort_block_merge_config_selectorIjN6thrust23THRUST_200600_302600_NS5tupleIffNS6_9null_typeES8_S8_S8_S8_S8_S8_S8_EEEEZZNS1_27merge_sort_block_merge_implIS3_NS6_6detail15normal_iteratorINS6_10device_ptrIjEEEENSD_INSE_IS9_EEEEjNS1_19radix_merge_compareILb0ELb1EjNS0_19identity_decomposerEEEEE10hipError_tT0_T1_T2_jT3_P12ihipStream_tbPNSt15iterator_traitsISN_E10value_typeEPNST_ISO_E10value_typeEPSP_NS1_7vsmem_tEENKUlT_SN_SO_SP_E_clIPjSG_PS9_SI_EESM_S12_SN_SO_SP_EUlS12_E0_NS1_11comp_targetILNS1_3genE9ELNS1_11target_archE1100ELNS1_3gpuE3ELNS1_3repE0EEENS1_38merge_mergepath_config_static_selectorELNS0_4arch9wavefront6targetE0EEEvSO_
	.globl	_ZN7rocprim17ROCPRIM_400000_NS6detail17trampoline_kernelINS0_14default_configENS1_38merge_sort_block_merge_config_selectorIjN6thrust23THRUST_200600_302600_NS5tupleIffNS6_9null_typeES8_S8_S8_S8_S8_S8_S8_EEEEZZNS1_27merge_sort_block_merge_implIS3_NS6_6detail15normal_iteratorINS6_10device_ptrIjEEEENSD_INSE_IS9_EEEEjNS1_19radix_merge_compareILb0ELb1EjNS0_19identity_decomposerEEEEE10hipError_tT0_T1_T2_jT3_P12ihipStream_tbPNSt15iterator_traitsISN_E10value_typeEPNST_ISO_E10value_typeEPSP_NS1_7vsmem_tEENKUlT_SN_SO_SP_E_clIPjSG_PS9_SI_EESM_S12_SN_SO_SP_EUlS12_E0_NS1_11comp_targetILNS1_3genE9ELNS1_11target_archE1100ELNS1_3gpuE3ELNS1_3repE0EEENS1_38merge_mergepath_config_static_selectorELNS0_4arch9wavefront6targetE0EEEvSO_
	.p2align	8
	.type	_ZN7rocprim17ROCPRIM_400000_NS6detail17trampoline_kernelINS0_14default_configENS1_38merge_sort_block_merge_config_selectorIjN6thrust23THRUST_200600_302600_NS5tupleIffNS6_9null_typeES8_S8_S8_S8_S8_S8_S8_EEEEZZNS1_27merge_sort_block_merge_implIS3_NS6_6detail15normal_iteratorINS6_10device_ptrIjEEEENSD_INSE_IS9_EEEEjNS1_19radix_merge_compareILb0ELb1EjNS0_19identity_decomposerEEEEE10hipError_tT0_T1_T2_jT3_P12ihipStream_tbPNSt15iterator_traitsISN_E10value_typeEPNST_ISO_E10value_typeEPSP_NS1_7vsmem_tEENKUlT_SN_SO_SP_E_clIPjSG_PS9_SI_EESM_S12_SN_SO_SP_EUlS12_E0_NS1_11comp_targetILNS1_3genE9ELNS1_11target_archE1100ELNS1_3gpuE3ELNS1_3repE0EEENS1_38merge_mergepath_config_static_selectorELNS0_4arch9wavefront6targetE0EEEvSO_,@function
_ZN7rocprim17ROCPRIM_400000_NS6detail17trampoline_kernelINS0_14default_configENS1_38merge_sort_block_merge_config_selectorIjN6thrust23THRUST_200600_302600_NS5tupleIffNS6_9null_typeES8_S8_S8_S8_S8_S8_S8_EEEEZZNS1_27merge_sort_block_merge_implIS3_NS6_6detail15normal_iteratorINS6_10device_ptrIjEEEENSD_INSE_IS9_EEEEjNS1_19radix_merge_compareILb0ELb1EjNS0_19identity_decomposerEEEEE10hipError_tT0_T1_T2_jT3_P12ihipStream_tbPNSt15iterator_traitsISN_E10value_typeEPNST_ISO_E10value_typeEPSP_NS1_7vsmem_tEENKUlT_SN_SO_SP_E_clIPjSG_PS9_SI_EESM_S12_SN_SO_SP_EUlS12_E0_NS1_11comp_targetILNS1_3genE9ELNS1_11target_archE1100ELNS1_3gpuE3ELNS1_3repE0EEENS1_38merge_mergepath_config_static_selectorELNS0_4arch9wavefront6targetE0EEEvSO_: ; @_ZN7rocprim17ROCPRIM_400000_NS6detail17trampoline_kernelINS0_14default_configENS1_38merge_sort_block_merge_config_selectorIjN6thrust23THRUST_200600_302600_NS5tupleIffNS6_9null_typeES8_S8_S8_S8_S8_S8_S8_EEEEZZNS1_27merge_sort_block_merge_implIS3_NS6_6detail15normal_iteratorINS6_10device_ptrIjEEEENSD_INSE_IS9_EEEEjNS1_19radix_merge_compareILb0ELb1EjNS0_19identity_decomposerEEEEE10hipError_tT0_T1_T2_jT3_P12ihipStream_tbPNSt15iterator_traitsISN_E10value_typeEPNST_ISO_E10value_typeEPSP_NS1_7vsmem_tEENKUlT_SN_SO_SP_E_clIPjSG_PS9_SI_EESM_S12_SN_SO_SP_EUlS12_E0_NS1_11comp_targetILNS1_3genE9ELNS1_11target_archE1100ELNS1_3gpuE3ELNS1_3repE0EEENS1_38merge_mergepath_config_static_selectorELNS0_4arch9wavefront6targetE0EEEvSO_
; %bb.0:
	.section	.rodata,"a",@progbits
	.p2align	6, 0x0
	.amdhsa_kernel _ZN7rocprim17ROCPRIM_400000_NS6detail17trampoline_kernelINS0_14default_configENS1_38merge_sort_block_merge_config_selectorIjN6thrust23THRUST_200600_302600_NS5tupleIffNS6_9null_typeES8_S8_S8_S8_S8_S8_S8_EEEEZZNS1_27merge_sort_block_merge_implIS3_NS6_6detail15normal_iteratorINS6_10device_ptrIjEEEENSD_INSE_IS9_EEEEjNS1_19radix_merge_compareILb0ELb1EjNS0_19identity_decomposerEEEEE10hipError_tT0_T1_T2_jT3_P12ihipStream_tbPNSt15iterator_traitsISN_E10value_typeEPNST_ISO_E10value_typeEPSP_NS1_7vsmem_tEENKUlT_SN_SO_SP_E_clIPjSG_PS9_SI_EESM_S12_SN_SO_SP_EUlS12_E0_NS1_11comp_targetILNS1_3genE9ELNS1_11target_archE1100ELNS1_3gpuE3ELNS1_3repE0EEENS1_38merge_mergepath_config_static_selectorELNS0_4arch9wavefront6targetE0EEEvSO_
		.amdhsa_group_segment_fixed_size 0
		.amdhsa_private_segment_fixed_size 0
		.amdhsa_kernarg_size 64
		.amdhsa_user_sgpr_count 6
		.amdhsa_user_sgpr_private_segment_buffer 1
		.amdhsa_user_sgpr_dispatch_ptr 0
		.amdhsa_user_sgpr_queue_ptr 0
		.amdhsa_user_sgpr_kernarg_segment_ptr 1
		.amdhsa_user_sgpr_dispatch_id 0
		.amdhsa_user_sgpr_flat_scratch_init 0
		.amdhsa_user_sgpr_private_segment_size 0
		.amdhsa_wavefront_size32 1
		.amdhsa_uses_dynamic_stack 0
		.amdhsa_system_sgpr_private_segment_wavefront_offset 0
		.amdhsa_system_sgpr_workgroup_id_x 1
		.amdhsa_system_sgpr_workgroup_id_y 0
		.amdhsa_system_sgpr_workgroup_id_z 0
		.amdhsa_system_sgpr_workgroup_info 0
		.amdhsa_system_vgpr_workitem_id 0
		.amdhsa_next_free_vgpr 1
		.amdhsa_next_free_sgpr 1
		.amdhsa_reserve_vcc 0
		.amdhsa_reserve_flat_scratch 0
		.amdhsa_float_round_mode_32 0
		.amdhsa_float_round_mode_16_64 0
		.amdhsa_float_denorm_mode_32 3
		.amdhsa_float_denorm_mode_16_64 3
		.amdhsa_dx10_clamp 1
		.amdhsa_ieee_mode 1
		.amdhsa_fp16_overflow 0
		.amdhsa_workgroup_processor_mode 1
		.amdhsa_memory_ordered 1
		.amdhsa_forward_progress 1
		.amdhsa_shared_vgpr_count 0
		.amdhsa_exception_fp_ieee_invalid_op 0
		.amdhsa_exception_fp_denorm_src 0
		.amdhsa_exception_fp_ieee_div_zero 0
		.amdhsa_exception_fp_ieee_overflow 0
		.amdhsa_exception_fp_ieee_underflow 0
		.amdhsa_exception_fp_ieee_inexact 0
		.amdhsa_exception_int_div_zero 0
	.end_amdhsa_kernel
	.section	.text._ZN7rocprim17ROCPRIM_400000_NS6detail17trampoline_kernelINS0_14default_configENS1_38merge_sort_block_merge_config_selectorIjN6thrust23THRUST_200600_302600_NS5tupleIffNS6_9null_typeES8_S8_S8_S8_S8_S8_S8_EEEEZZNS1_27merge_sort_block_merge_implIS3_NS6_6detail15normal_iteratorINS6_10device_ptrIjEEEENSD_INSE_IS9_EEEEjNS1_19radix_merge_compareILb0ELb1EjNS0_19identity_decomposerEEEEE10hipError_tT0_T1_T2_jT3_P12ihipStream_tbPNSt15iterator_traitsISN_E10value_typeEPNST_ISO_E10value_typeEPSP_NS1_7vsmem_tEENKUlT_SN_SO_SP_E_clIPjSG_PS9_SI_EESM_S12_SN_SO_SP_EUlS12_E0_NS1_11comp_targetILNS1_3genE9ELNS1_11target_archE1100ELNS1_3gpuE3ELNS1_3repE0EEENS1_38merge_mergepath_config_static_selectorELNS0_4arch9wavefront6targetE0EEEvSO_,"axG",@progbits,_ZN7rocprim17ROCPRIM_400000_NS6detail17trampoline_kernelINS0_14default_configENS1_38merge_sort_block_merge_config_selectorIjN6thrust23THRUST_200600_302600_NS5tupleIffNS6_9null_typeES8_S8_S8_S8_S8_S8_S8_EEEEZZNS1_27merge_sort_block_merge_implIS3_NS6_6detail15normal_iteratorINS6_10device_ptrIjEEEENSD_INSE_IS9_EEEEjNS1_19radix_merge_compareILb0ELb1EjNS0_19identity_decomposerEEEEE10hipError_tT0_T1_T2_jT3_P12ihipStream_tbPNSt15iterator_traitsISN_E10value_typeEPNST_ISO_E10value_typeEPSP_NS1_7vsmem_tEENKUlT_SN_SO_SP_E_clIPjSG_PS9_SI_EESM_S12_SN_SO_SP_EUlS12_E0_NS1_11comp_targetILNS1_3genE9ELNS1_11target_archE1100ELNS1_3gpuE3ELNS1_3repE0EEENS1_38merge_mergepath_config_static_selectorELNS0_4arch9wavefront6targetE0EEEvSO_,comdat
.Lfunc_end105:
	.size	_ZN7rocprim17ROCPRIM_400000_NS6detail17trampoline_kernelINS0_14default_configENS1_38merge_sort_block_merge_config_selectorIjN6thrust23THRUST_200600_302600_NS5tupleIffNS6_9null_typeES8_S8_S8_S8_S8_S8_S8_EEEEZZNS1_27merge_sort_block_merge_implIS3_NS6_6detail15normal_iteratorINS6_10device_ptrIjEEEENSD_INSE_IS9_EEEEjNS1_19radix_merge_compareILb0ELb1EjNS0_19identity_decomposerEEEEE10hipError_tT0_T1_T2_jT3_P12ihipStream_tbPNSt15iterator_traitsISN_E10value_typeEPNST_ISO_E10value_typeEPSP_NS1_7vsmem_tEENKUlT_SN_SO_SP_E_clIPjSG_PS9_SI_EESM_S12_SN_SO_SP_EUlS12_E0_NS1_11comp_targetILNS1_3genE9ELNS1_11target_archE1100ELNS1_3gpuE3ELNS1_3repE0EEENS1_38merge_mergepath_config_static_selectorELNS0_4arch9wavefront6targetE0EEEvSO_, .Lfunc_end105-_ZN7rocprim17ROCPRIM_400000_NS6detail17trampoline_kernelINS0_14default_configENS1_38merge_sort_block_merge_config_selectorIjN6thrust23THRUST_200600_302600_NS5tupleIffNS6_9null_typeES8_S8_S8_S8_S8_S8_S8_EEEEZZNS1_27merge_sort_block_merge_implIS3_NS6_6detail15normal_iteratorINS6_10device_ptrIjEEEENSD_INSE_IS9_EEEEjNS1_19radix_merge_compareILb0ELb1EjNS0_19identity_decomposerEEEEE10hipError_tT0_T1_T2_jT3_P12ihipStream_tbPNSt15iterator_traitsISN_E10value_typeEPNST_ISO_E10value_typeEPSP_NS1_7vsmem_tEENKUlT_SN_SO_SP_E_clIPjSG_PS9_SI_EESM_S12_SN_SO_SP_EUlS12_E0_NS1_11comp_targetILNS1_3genE9ELNS1_11target_archE1100ELNS1_3gpuE3ELNS1_3repE0EEENS1_38merge_mergepath_config_static_selectorELNS0_4arch9wavefront6targetE0EEEvSO_
                                        ; -- End function
	.set _ZN7rocprim17ROCPRIM_400000_NS6detail17trampoline_kernelINS0_14default_configENS1_38merge_sort_block_merge_config_selectorIjN6thrust23THRUST_200600_302600_NS5tupleIffNS6_9null_typeES8_S8_S8_S8_S8_S8_S8_EEEEZZNS1_27merge_sort_block_merge_implIS3_NS6_6detail15normal_iteratorINS6_10device_ptrIjEEEENSD_INSE_IS9_EEEEjNS1_19radix_merge_compareILb0ELb1EjNS0_19identity_decomposerEEEEE10hipError_tT0_T1_T2_jT3_P12ihipStream_tbPNSt15iterator_traitsISN_E10value_typeEPNST_ISO_E10value_typeEPSP_NS1_7vsmem_tEENKUlT_SN_SO_SP_E_clIPjSG_PS9_SI_EESM_S12_SN_SO_SP_EUlS12_E0_NS1_11comp_targetILNS1_3genE9ELNS1_11target_archE1100ELNS1_3gpuE3ELNS1_3repE0EEENS1_38merge_mergepath_config_static_selectorELNS0_4arch9wavefront6targetE0EEEvSO_.num_vgpr, 0
	.set _ZN7rocprim17ROCPRIM_400000_NS6detail17trampoline_kernelINS0_14default_configENS1_38merge_sort_block_merge_config_selectorIjN6thrust23THRUST_200600_302600_NS5tupleIffNS6_9null_typeES8_S8_S8_S8_S8_S8_S8_EEEEZZNS1_27merge_sort_block_merge_implIS3_NS6_6detail15normal_iteratorINS6_10device_ptrIjEEEENSD_INSE_IS9_EEEEjNS1_19radix_merge_compareILb0ELb1EjNS0_19identity_decomposerEEEEE10hipError_tT0_T1_T2_jT3_P12ihipStream_tbPNSt15iterator_traitsISN_E10value_typeEPNST_ISO_E10value_typeEPSP_NS1_7vsmem_tEENKUlT_SN_SO_SP_E_clIPjSG_PS9_SI_EESM_S12_SN_SO_SP_EUlS12_E0_NS1_11comp_targetILNS1_3genE9ELNS1_11target_archE1100ELNS1_3gpuE3ELNS1_3repE0EEENS1_38merge_mergepath_config_static_selectorELNS0_4arch9wavefront6targetE0EEEvSO_.num_agpr, 0
	.set _ZN7rocprim17ROCPRIM_400000_NS6detail17trampoline_kernelINS0_14default_configENS1_38merge_sort_block_merge_config_selectorIjN6thrust23THRUST_200600_302600_NS5tupleIffNS6_9null_typeES8_S8_S8_S8_S8_S8_S8_EEEEZZNS1_27merge_sort_block_merge_implIS3_NS6_6detail15normal_iteratorINS6_10device_ptrIjEEEENSD_INSE_IS9_EEEEjNS1_19radix_merge_compareILb0ELb1EjNS0_19identity_decomposerEEEEE10hipError_tT0_T1_T2_jT3_P12ihipStream_tbPNSt15iterator_traitsISN_E10value_typeEPNST_ISO_E10value_typeEPSP_NS1_7vsmem_tEENKUlT_SN_SO_SP_E_clIPjSG_PS9_SI_EESM_S12_SN_SO_SP_EUlS12_E0_NS1_11comp_targetILNS1_3genE9ELNS1_11target_archE1100ELNS1_3gpuE3ELNS1_3repE0EEENS1_38merge_mergepath_config_static_selectorELNS0_4arch9wavefront6targetE0EEEvSO_.numbered_sgpr, 0
	.set _ZN7rocprim17ROCPRIM_400000_NS6detail17trampoline_kernelINS0_14default_configENS1_38merge_sort_block_merge_config_selectorIjN6thrust23THRUST_200600_302600_NS5tupleIffNS6_9null_typeES8_S8_S8_S8_S8_S8_S8_EEEEZZNS1_27merge_sort_block_merge_implIS3_NS6_6detail15normal_iteratorINS6_10device_ptrIjEEEENSD_INSE_IS9_EEEEjNS1_19radix_merge_compareILb0ELb1EjNS0_19identity_decomposerEEEEE10hipError_tT0_T1_T2_jT3_P12ihipStream_tbPNSt15iterator_traitsISN_E10value_typeEPNST_ISO_E10value_typeEPSP_NS1_7vsmem_tEENKUlT_SN_SO_SP_E_clIPjSG_PS9_SI_EESM_S12_SN_SO_SP_EUlS12_E0_NS1_11comp_targetILNS1_3genE9ELNS1_11target_archE1100ELNS1_3gpuE3ELNS1_3repE0EEENS1_38merge_mergepath_config_static_selectorELNS0_4arch9wavefront6targetE0EEEvSO_.num_named_barrier, 0
	.set _ZN7rocprim17ROCPRIM_400000_NS6detail17trampoline_kernelINS0_14default_configENS1_38merge_sort_block_merge_config_selectorIjN6thrust23THRUST_200600_302600_NS5tupleIffNS6_9null_typeES8_S8_S8_S8_S8_S8_S8_EEEEZZNS1_27merge_sort_block_merge_implIS3_NS6_6detail15normal_iteratorINS6_10device_ptrIjEEEENSD_INSE_IS9_EEEEjNS1_19radix_merge_compareILb0ELb1EjNS0_19identity_decomposerEEEEE10hipError_tT0_T1_T2_jT3_P12ihipStream_tbPNSt15iterator_traitsISN_E10value_typeEPNST_ISO_E10value_typeEPSP_NS1_7vsmem_tEENKUlT_SN_SO_SP_E_clIPjSG_PS9_SI_EESM_S12_SN_SO_SP_EUlS12_E0_NS1_11comp_targetILNS1_3genE9ELNS1_11target_archE1100ELNS1_3gpuE3ELNS1_3repE0EEENS1_38merge_mergepath_config_static_selectorELNS0_4arch9wavefront6targetE0EEEvSO_.private_seg_size, 0
	.set _ZN7rocprim17ROCPRIM_400000_NS6detail17trampoline_kernelINS0_14default_configENS1_38merge_sort_block_merge_config_selectorIjN6thrust23THRUST_200600_302600_NS5tupleIffNS6_9null_typeES8_S8_S8_S8_S8_S8_S8_EEEEZZNS1_27merge_sort_block_merge_implIS3_NS6_6detail15normal_iteratorINS6_10device_ptrIjEEEENSD_INSE_IS9_EEEEjNS1_19radix_merge_compareILb0ELb1EjNS0_19identity_decomposerEEEEE10hipError_tT0_T1_T2_jT3_P12ihipStream_tbPNSt15iterator_traitsISN_E10value_typeEPNST_ISO_E10value_typeEPSP_NS1_7vsmem_tEENKUlT_SN_SO_SP_E_clIPjSG_PS9_SI_EESM_S12_SN_SO_SP_EUlS12_E0_NS1_11comp_targetILNS1_3genE9ELNS1_11target_archE1100ELNS1_3gpuE3ELNS1_3repE0EEENS1_38merge_mergepath_config_static_selectorELNS0_4arch9wavefront6targetE0EEEvSO_.uses_vcc, 0
	.set _ZN7rocprim17ROCPRIM_400000_NS6detail17trampoline_kernelINS0_14default_configENS1_38merge_sort_block_merge_config_selectorIjN6thrust23THRUST_200600_302600_NS5tupleIffNS6_9null_typeES8_S8_S8_S8_S8_S8_S8_EEEEZZNS1_27merge_sort_block_merge_implIS3_NS6_6detail15normal_iteratorINS6_10device_ptrIjEEEENSD_INSE_IS9_EEEEjNS1_19radix_merge_compareILb0ELb1EjNS0_19identity_decomposerEEEEE10hipError_tT0_T1_T2_jT3_P12ihipStream_tbPNSt15iterator_traitsISN_E10value_typeEPNST_ISO_E10value_typeEPSP_NS1_7vsmem_tEENKUlT_SN_SO_SP_E_clIPjSG_PS9_SI_EESM_S12_SN_SO_SP_EUlS12_E0_NS1_11comp_targetILNS1_3genE9ELNS1_11target_archE1100ELNS1_3gpuE3ELNS1_3repE0EEENS1_38merge_mergepath_config_static_selectorELNS0_4arch9wavefront6targetE0EEEvSO_.uses_flat_scratch, 0
	.set _ZN7rocprim17ROCPRIM_400000_NS6detail17trampoline_kernelINS0_14default_configENS1_38merge_sort_block_merge_config_selectorIjN6thrust23THRUST_200600_302600_NS5tupleIffNS6_9null_typeES8_S8_S8_S8_S8_S8_S8_EEEEZZNS1_27merge_sort_block_merge_implIS3_NS6_6detail15normal_iteratorINS6_10device_ptrIjEEEENSD_INSE_IS9_EEEEjNS1_19radix_merge_compareILb0ELb1EjNS0_19identity_decomposerEEEEE10hipError_tT0_T1_T2_jT3_P12ihipStream_tbPNSt15iterator_traitsISN_E10value_typeEPNST_ISO_E10value_typeEPSP_NS1_7vsmem_tEENKUlT_SN_SO_SP_E_clIPjSG_PS9_SI_EESM_S12_SN_SO_SP_EUlS12_E0_NS1_11comp_targetILNS1_3genE9ELNS1_11target_archE1100ELNS1_3gpuE3ELNS1_3repE0EEENS1_38merge_mergepath_config_static_selectorELNS0_4arch9wavefront6targetE0EEEvSO_.has_dyn_sized_stack, 0
	.set _ZN7rocprim17ROCPRIM_400000_NS6detail17trampoline_kernelINS0_14default_configENS1_38merge_sort_block_merge_config_selectorIjN6thrust23THRUST_200600_302600_NS5tupleIffNS6_9null_typeES8_S8_S8_S8_S8_S8_S8_EEEEZZNS1_27merge_sort_block_merge_implIS3_NS6_6detail15normal_iteratorINS6_10device_ptrIjEEEENSD_INSE_IS9_EEEEjNS1_19radix_merge_compareILb0ELb1EjNS0_19identity_decomposerEEEEE10hipError_tT0_T1_T2_jT3_P12ihipStream_tbPNSt15iterator_traitsISN_E10value_typeEPNST_ISO_E10value_typeEPSP_NS1_7vsmem_tEENKUlT_SN_SO_SP_E_clIPjSG_PS9_SI_EESM_S12_SN_SO_SP_EUlS12_E0_NS1_11comp_targetILNS1_3genE9ELNS1_11target_archE1100ELNS1_3gpuE3ELNS1_3repE0EEENS1_38merge_mergepath_config_static_selectorELNS0_4arch9wavefront6targetE0EEEvSO_.has_recursion, 0
	.set _ZN7rocprim17ROCPRIM_400000_NS6detail17trampoline_kernelINS0_14default_configENS1_38merge_sort_block_merge_config_selectorIjN6thrust23THRUST_200600_302600_NS5tupleIffNS6_9null_typeES8_S8_S8_S8_S8_S8_S8_EEEEZZNS1_27merge_sort_block_merge_implIS3_NS6_6detail15normal_iteratorINS6_10device_ptrIjEEEENSD_INSE_IS9_EEEEjNS1_19radix_merge_compareILb0ELb1EjNS0_19identity_decomposerEEEEE10hipError_tT0_T1_T2_jT3_P12ihipStream_tbPNSt15iterator_traitsISN_E10value_typeEPNST_ISO_E10value_typeEPSP_NS1_7vsmem_tEENKUlT_SN_SO_SP_E_clIPjSG_PS9_SI_EESM_S12_SN_SO_SP_EUlS12_E0_NS1_11comp_targetILNS1_3genE9ELNS1_11target_archE1100ELNS1_3gpuE3ELNS1_3repE0EEENS1_38merge_mergepath_config_static_selectorELNS0_4arch9wavefront6targetE0EEEvSO_.has_indirect_call, 0
	.section	.AMDGPU.csdata,"",@progbits
; Kernel info:
; codeLenInByte = 0
; TotalNumSgprs: 0
; NumVgprs: 0
; ScratchSize: 0
; MemoryBound: 0
; FloatMode: 240
; IeeeMode: 1
; LDSByteSize: 0 bytes/workgroup (compile time only)
; SGPRBlocks: 0
; VGPRBlocks: 0
; NumSGPRsForWavesPerEU: 1
; NumVGPRsForWavesPerEU: 1
; Occupancy: 16
; WaveLimiterHint : 0
; COMPUTE_PGM_RSRC2:SCRATCH_EN: 0
; COMPUTE_PGM_RSRC2:USER_SGPR: 6
; COMPUTE_PGM_RSRC2:TRAP_HANDLER: 0
; COMPUTE_PGM_RSRC2:TGID_X_EN: 1
; COMPUTE_PGM_RSRC2:TGID_Y_EN: 0
; COMPUTE_PGM_RSRC2:TGID_Z_EN: 0
; COMPUTE_PGM_RSRC2:TIDIG_COMP_CNT: 0
	.section	.text._ZN7rocprim17ROCPRIM_400000_NS6detail17trampoline_kernelINS0_14default_configENS1_38merge_sort_block_merge_config_selectorIjN6thrust23THRUST_200600_302600_NS5tupleIffNS6_9null_typeES8_S8_S8_S8_S8_S8_S8_EEEEZZNS1_27merge_sort_block_merge_implIS3_NS6_6detail15normal_iteratorINS6_10device_ptrIjEEEENSD_INSE_IS9_EEEEjNS1_19radix_merge_compareILb0ELb1EjNS0_19identity_decomposerEEEEE10hipError_tT0_T1_T2_jT3_P12ihipStream_tbPNSt15iterator_traitsISN_E10value_typeEPNST_ISO_E10value_typeEPSP_NS1_7vsmem_tEENKUlT_SN_SO_SP_E_clIPjSG_PS9_SI_EESM_S12_SN_SO_SP_EUlS12_E0_NS1_11comp_targetILNS1_3genE8ELNS1_11target_archE1030ELNS1_3gpuE2ELNS1_3repE0EEENS1_38merge_mergepath_config_static_selectorELNS0_4arch9wavefront6targetE0EEEvSO_,"axG",@progbits,_ZN7rocprim17ROCPRIM_400000_NS6detail17trampoline_kernelINS0_14default_configENS1_38merge_sort_block_merge_config_selectorIjN6thrust23THRUST_200600_302600_NS5tupleIffNS6_9null_typeES8_S8_S8_S8_S8_S8_S8_EEEEZZNS1_27merge_sort_block_merge_implIS3_NS6_6detail15normal_iteratorINS6_10device_ptrIjEEEENSD_INSE_IS9_EEEEjNS1_19radix_merge_compareILb0ELb1EjNS0_19identity_decomposerEEEEE10hipError_tT0_T1_T2_jT3_P12ihipStream_tbPNSt15iterator_traitsISN_E10value_typeEPNST_ISO_E10value_typeEPSP_NS1_7vsmem_tEENKUlT_SN_SO_SP_E_clIPjSG_PS9_SI_EESM_S12_SN_SO_SP_EUlS12_E0_NS1_11comp_targetILNS1_3genE8ELNS1_11target_archE1030ELNS1_3gpuE2ELNS1_3repE0EEENS1_38merge_mergepath_config_static_selectorELNS0_4arch9wavefront6targetE0EEEvSO_,comdat
	.protected	_ZN7rocprim17ROCPRIM_400000_NS6detail17trampoline_kernelINS0_14default_configENS1_38merge_sort_block_merge_config_selectorIjN6thrust23THRUST_200600_302600_NS5tupleIffNS6_9null_typeES8_S8_S8_S8_S8_S8_S8_EEEEZZNS1_27merge_sort_block_merge_implIS3_NS6_6detail15normal_iteratorINS6_10device_ptrIjEEEENSD_INSE_IS9_EEEEjNS1_19radix_merge_compareILb0ELb1EjNS0_19identity_decomposerEEEEE10hipError_tT0_T1_T2_jT3_P12ihipStream_tbPNSt15iterator_traitsISN_E10value_typeEPNST_ISO_E10value_typeEPSP_NS1_7vsmem_tEENKUlT_SN_SO_SP_E_clIPjSG_PS9_SI_EESM_S12_SN_SO_SP_EUlS12_E0_NS1_11comp_targetILNS1_3genE8ELNS1_11target_archE1030ELNS1_3gpuE2ELNS1_3repE0EEENS1_38merge_mergepath_config_static_selectorELNS0_4arch9wavefront6targetE0EEEvSO_ ; -- Begin function _ZN7rocprim17ROCPRIM_400000_NS6detail17trampoline_kernelINS0_14default_configENS1_38merge_sort_block_merge_config_selectorIjN6thrust23THRUST_200600_302600_NS5tupleIffNS6_9null_typeES8_S8_S8_S8_S8_S8_S8_EEEEZZNS1_27merge_sort_block_merge_implIS3_NS6_6detail15normal_iteratorINS6_10device_ptrIjEEEENSD_INSE_IS9_EEEEjNS1_19radix_merge_compareILb0ELb1EjNS0_19identity_decomposerEEEEE10hipError_tT0_T1_T2_jT3_P12ihipStream_tbPNSt15iterator_traitsISN_E10value_typeEPNST_ISO_E10value_typeEPSP_NS1_7vsmem_tEENKUlT_SN_SO_SP_E_clIPjSG_PS9_SI_EESM_S12_SN_SO_SP_EUlS12_E0_NS1_11comp_targetILNS1_3genE8ELNS1_11target_archE1030ELNS1_3gpuE2ELNS1_3repE0EEENS1_38merge_mergepath_config_static_selectorELNS0_4arch9wavefront6targetE0EEEvSO_
	.globl	_ZN7rocprim17ROCPRIM_400000_NS6detail17trampoline_kernelINS0_14default_configENS1_38merge_sort_block_merge_config_selectorIjN6thrust23THRUST_200600_302600_NS5tupleIffNS6_9null_typeES8_S8_S8_S8_S8_S8_S8_EEEEZZNS1_27merge_sort_block_merge_implIS3_NS6_6detail15normal_iteratorINS6_10device_ptrIjEEEENSD_INSE_IS9_EEEEjNS1_19radix_merge_compareILb0ELb1EjNS0_19identity_decomposerEEEEE10hipError_tT0_T1_T2_jT3_P12ihipStream_tbPNSt15iterator_traitsISN_E10value_typeEPNST_ISO_E10value_typeEPSP_NS1_7vsmem_tEENKUlT_SN_SO_SP_E_clIPjSG_PS9_SI_EESM_S12_SN_SO_SP_EUlS12_E0_NS1_11comp_targetILNS1_3genE8ELNS1_11target_archE1030ELNS1_3gpuE2ELNS1_3repE0EEENS1_38merge_mergepath_config_static_selectorELNS0_4arch9wavefront6targetE0EEEvSO_
	.p2align	8
	.type	_ZN7rocprim17ROCPRIM_400000_NS6detail17trampoline_kernelINS0_14default_configENS1_38merge_sort_block_merge_config_selectorIjN6thrust23THRUST_200600_302600_NS5tupleIffNS6_9null_typeES8_S8_S8_S8_S8_S8_S8_EEEEZZNS1_27merge_sort_block_merge_implIS3_NS6_6detail15normal_iteratorINS6_10device_ptrIjEEEENSD_INSE_IS9_EEEEjNS1_19radix_merge_compareILb0ELb1EjNS0_19identity_decomposerEEEEE10hipError_tT0_T1_T2_jT3_P12ihipStream_tbPNSt15iterator_traitsISN_E10value_typeEPNST_ISO_E10value_typeEPSP_NS1_7vsmem_tEENKUlT_SN_SO_SP_E_clIPjSG_PS9_SI_EESM_S12_SN_SO_SP_EUlS12_E0_NS1_11comp_targetILNS1_3genE8ELNS1_11target_archE1030ELNS1_3gpuE2ELNS1_3repE0EEENS1_38merge_mergepath_config_static_selectorELNS0_4arch9wavefront6targetE0EEEvSO_,@function
_ZN7rocprim17ROCPRIM_400000_NS6detail17trampoline_kernelINS0_14default_configENS1_38merge_sort_block_merge_config_selectorIjN6thrust23THRUST_200600_302600_NS5tupleIffNS6_9null_typeES8_S8_S8_S8_S8_S8_S8_EEEEZZNS1_27merge_sort_block_merge_implIS3_NS6_6detail15normal_iteratorINS6_10device_ptrIjEEEENSD_INSE_IS9_EEEEjNS1_19radix_merge_compareILb0ELb1EjNS0_19identity_decomposerEEEEE10hipError_tT0_T1_T2_jT3_P12ihipStream_tbPNSt15iterator_traitsISN_E10value_typeEPNST_ISO_E10value_typeEPSP_NS1_7vsmem_tEENKUlT_SN_SO_SP_E_clIPjSG_PS9_SI_EESM_S12_SN_SO_SP_EUlS12_E0_NS1_11comp_targetILNS1_3genE8ELNS1_11target_archE1030ELNS1_3gpuE2ELNS1_3repE0EEENS1_38merge_mergepath_config_static_selectorELNS0_4arch9wavefront6targetE0EEEvSO_: ; @_ZN7rocprim17ROCPRIM_400000_NS6detail17trampoline_kernelINS0_14default_configENS1_38merge_sort_block_merge_config_selectorIjN6thrust23THRUST_200600_302600_NS5tupleIffNS6_9null_typeES8_S8_S8_S8_S8_S8_S8_EEEEZZNS1_27merge_sort_block_merge_implIS3_NS6_6detail15normal_iteratorINS6_10device_ptrIjEEEENSD_INSE_IS9_EEEEjNS1_19radix_merge_compareILb0ELb1EjNS0_19identity_decomposerEEEEE10hipError_tT0_T1_T2_jT3_P12ihipStream_tbPNSt15iterator_traitsISN_E10value_typeEPNST_ISO_E10value_typeEPSP_NS1_7vsmem_tEENKUlT_SN_SO_SP_E_clIPjSG_PS9_SI_EESM_S12_SN_SO_SP_EUlS12_E0_NS1_11comp_targetILNS1_3genE8ELNS1_11target_archE1030ELNS1_3gpuE2ELNS1_3repE0EEENS1_38merge_mergepath_config_static_selectorELNS0_4arch9wavefront6targetE0EEEvSO_
; %bb.0:
	s_clause 0x1
	s_load_dwordx2 s[0:1], s[4:5], 0x40
	s_load_dwordx2 s[12:13], s[4:5], 0x30
	s_waitcnt lgkmcnt(0)
	s_mul_i32 s1, s1, s8
	s_add_i32 s1, s1, s7
	s_mul_i32 s0, s1, s0
	s_add_i32 s16, s0, s6
	s_cmp_ge_u32 s16, s12
	s_cbranch_scc1 .LBB106_21
; %bb.1:
	s_clause 0x1
	s_load_dwordx2 s[10:11], s[4:5], 0x28
	s_load_dwordx2 s[0:1], s[4:5], 0x38
	s_mov_b32 s17, 0
	v_mov_b32_e32 v2, 0
                                        ; implicit-def: $vgpr5
	s_waitcnt lgkmcnt(0)
	s_lshr_b32 s2, s10, 10
	s_cmp_lg_u32 s16, s2
	s_cselect_b32 s12, -1, 0
	s_lshl_b64 s[2:3], s[16:17], 2
	s_add_u32 s0, s0, s2
	s_addc_u32 s1, s1, s3
	s_load_dwordx2 s[14:15], s[0:1], 0x0
	s_lshr_b32 s0, s11, 9
	s_and_b32 s8, s0, 0x7ffffe
	s_load_dwordx8 s[0:7], s[4:5], 0x8
	s_sub_i32 s9, 0, s8
	s_lshl_b32 s8, s16, 10
	s_and_b32 s18, s16, s9
	s_or_b32 s9, s16, s9
	s_lshl_b32 s16, s18, 11
	s_lshl_b32 s18, s18, 10
	s_add_i32 s16, s16, s11
	s_sub_i32 s19, s8, s18
	s_sub_i32 s18, s16, s18
	s_add_i32 s16, s16, s19
	s_min_u32 s19, s10, s18
	s_add_i32 s18, s18, s11
	s_waitcnt lgkmcnt(0)
	s_sub_i32 s20, s16, s14
	s_sub_i32 s21, s16, s15
	s_min_u32 s16, s10, s20
	s_addk_i32 s21, 0x400
	s_cmp_eq_u32 s9, -1
	s_cselect_b32 s9, s18, s21
	s_cselect_b32 s11, s19, s15
	s_min_u32 s9, s9, s10
	s_sub_i32 s11, s11, s14
	s_sub_i32 s18, s9, s16
	s_mov_b32 s15, s17
	s_add_i32 s9, s18, s11
	v_cmp_gt_u32_e32 vcc_lo, s9, v0
	s_or_b32 s19, s12, vcc_lo
	s_and_saveexec_b32 s20, s19
	s_xor_b32 s20, exec_lo, s20
	s_cbranch_execz .LBB106_3
; %bb.2:
	v_lshlrev_b32_e32 v1, 2, v0
	s_lshl_b64 s[22:23], s[14:15], 2
	s_add_u32 s21, s0, s22
	s_addc_u32 s22, s1, s23
	v_add_co_u32 v3, s21, s21, v1
	v_sub_co_u32 v1, vcc_lo, v0, s11
	v_add_co_ci_u32_e64 v4, null, s22, 0, s21
	s_lshl_b64 s[22:23], s[16:17], 2
	v_lshlrev_b64 v[1:2], 2, v[1:2]
	s_add_u32 s0, s0, s22
	s_addc_u32 s1, s1, s23
	v_add_co_u32 v1, s0, s0, v1
	v_add_co_ci_u32_e64 v2, null, s1, v2, s0
	v_cndmask_b32_e32 v1, v1, v3, vcc_lo
	v_cndmask_b32_e32 v2, v2, v4, vcc_lo
	global_load_dword v5, v[1:2], off
.LBB106_3:
	s_andn2_saveexec_b32 s0, s20
; %bb.4:
                                        ; implicit-def: $vgpr5
; %bb.5:
	s_or_b32 exec_lo, exec_lo, s0
	v_lshlrev_b32_e32 v4, 2, v0
	v_mov_b32_e32 v2, 0
	v_lshlrev_b32_e32 v3, 3, v0
	v_mov_b32_e32 v1, 0
	s_waitcnt vmcnt(0)
	ds_write_b32 v4, v5
	s_and_saveexec_b32 s1, s19
	s_cbranch_execz .LBB106_7
; %bb.6:
	v_mov_b32_e32 v2, 0
	v_sub_co_u32 v1, vcc_lo, v0, s11
	s_lshl_b64 s[14:15], s[14:15], 3
	s_add_u32 s0, s4, s14
	s_addc_u32 s14, s5, s15
	v_add_co_u32 v6, s0, s0, v3
	v_lshlrev_b64 v[1:2], 3, v[1:2]
	v_add_co_ci_u32_e64 v7, null, s14, 0, s0
	s_lshl_b64 s[14:15], s[16:17], 3
	s_add_u32 s0, s4, s14
	s_addc_u32 s4, s5, s15
	v_add_co_u32 v1, s0, s0, v1
	v_add_co_ci_u32_e64 v2, null, s4, v2, s0
	v_cndmask_b32_e32 v1, v1, v6, vcc_lo
	v_cndmask_b32_e32 v2, v2, v7, vcc_lo
	global_load_dwordx2 v[1:2], v[1:2], off
.LBB106_7:
	s_or_b32 exec_lo, exec_lo, s1
	v_min_u32_e32 v7, s9, v0
	s_mov_b32 s0, exec_lo
	s_waitcnt vmcnt(0) lgkmcnt(0)
	s_barrier
	buffer_gl0_inv
	v_sub_nc_u32_e64 v6, v7, s18 clamp
	v_min_u32_e32 v8, s11, v7
	v_cmpx_lt_u32_e64 v6, v8
	s_cbranch_execz .LBB106_11
; %bb.8:
	v_lshlrev_b32_e32 v9, 2, v7
	s_mov_b32 s1, 0
	v_lshl_add_u32 v9, s11, 2, v9
	.p2align	6
.LBB106_9:                              ; =>This Inner Loop Header: Depth=1
	v_add_nc_u32_e32 v10, v8, v6
	v_lshrrev_b32_e32 v10, 1, v10
	v_not_b32_e32 v11, v10
	v_lshlrev_b32_e32 v12, 2, v10
	v_add_nc_u32_e32 v13, 1, v10
	v_lshl_add_u32 v11, v11, 2, v9
	ds_read_b32 v12, v12
	ds_read_b32 v11, v11
	s_waitcnt lgkmcnt(1)
	v_and_b32_e32 v12, s13, v12
	s_waitcnt lgkmcnt(0)
	v_and_b32_e32 v11, s13, v11
	v_cmp_gt_u32_e32 vcc_lo, v12, v11
	v_cndmask_b32_e32 v8, v8, v10, vcc_lo
	v_cndmask_b32_e32 v6, v13, v6, vcc_lo
	v_cmp_ge_u32_e32 vcc_lo, v6, v8
	s_or_b32 s1, vcc_lo, s1
	s_andn2_b32 exec_lo, exec_lo, s1
	s_cbranch_execnz .LBB106_9
; %bb.10:
	s_or_b32 exec_lo, exec_lo, s1
.LBB106_11:
	s_or_b32 exec_lo, exec_lo, s0
	v_sub_nc_u32_e32 v7, v7, v6
	v_cmp_ge_u32_e32 vcc_lo, s11, v6
	v_mov_b32_e32 v8, 0
	v_add_nc_u32_e32 v7, s11, v7
	v_cmp_ge_u32_e64 s0, s9, v7
	s_or_b32 s0, vcc_lo, s0
	s_and_saveexec_b32 s4, s0
	s_cbranch_execz .LBB106_17
; %bb.12:
	v_cmp_gt_u32_e32 vcc_lo, s11, v6
                                        ; implicit-def: $vgpr5
	s_and_saveexec_b32 s0, vcc_lo
; %bb.13:
	v_lshlrev_b32_e32 v5, 2, v6
	ds_read_b32 v5, v5
; %bb.14:
	s_or_b32 exec_lo, exec_lo, s0
	v_cmp_le_u32_e64 s0, s9, v7
	s_mov_b32 s5, exec_lo
                                        ; implicit-def: $vgpr9
	v_cmpx_gt_u32_e64 s9, v7
; %bb.15:
	v_lshlrev_b32_e32 v8, 2, v7
	ds_read_b32 v9, v8
; %bb.16:
	s_or_b32 exec_lo, exec_lo, s5
	s_waitcnt lgkmcnt(0)
	v_and_b32_e32 v8, s13, v9
	v_and_b32_e32 v10, s13, v5
	v_cmp_le_u32_e64 s1, v10, v8
	s_and_b32 s1, vcc_lo, s1
	s_or_b32 vcc_lo, s0, s1
	v_cndmask_b32_e32 v8, v7, v6, vcc_lo
	v_cndmask_b32_e32 v5, v9, v5, vcc_lo
.LBB106_17:
	s_or_b32 exec_lo, exec_lo, s4
	v_add_nc_u32_e32 v6, v4, v4
	v_lshlrev_b32_e32 v7, 3, v8
	s_barrier
	buffer_gl0_inv
	ds_write_b64 v6, v[1:2]
	s_waitcnt lgkmcnt(0)
	s_barrier
	buffer_gl0_inv
	ds_read_b64 v[1:2], v7
	s_mov_b32 s9, 0
	s_mov_b32 s1, -1
	s_and_b32 vcc_lo, exec_lo, s12
	s_mov_b32 s0, s9
	s_waitcnt lgkmcnt(0)
	s_barrier
	buffer_gl0_inv
	s_barrier
	buffer_gl0_inv
	ds_write_b32 v4, v5
	s_waitcnt lgkmcnt(0)
	s_cbranch_vccnz .LBB106_22
; %bb.18:
	s_andn2_b32 vcc_lo, exec_lo, s1
	s_cbranch_vccz .LBB106_23
.LBB106_19:
	s_and_saveexec_b32 s1, s0
	s_cbranch_execz .LBB106_21
.LBB106_20:
	ds_read_b64 v[0:1], v6
	s_lshl_b64 s[0:1], s[8:9], 3
	s_add_u32 s0, s6, s0
	s_addc_u32 s1, s7, s1
	s_waitcnt lgkmcnt(0)
	global_store_dwordx2 v3, v[0:1], s[0:1]
.LBB106_21:
	s_endpgm
.LBB106_22:
	s_barrier
	buffer_gl0_inv
	ds_read_b32 v5, v4
	s_lshl_b64 s[4:5], s[8:9], 2
	s_add_u32 s4, s2, s4
	s_addc_u32 s5, s3, s5
	s_mov_b32 s0, -1
	s_waitcnt lgkmcnt(0)
	global_store_dword v4, v5, s[4:5]
	s_waitcnt_vscnt null, 0x0
	s_barrier
	buffer_gl0_inv
	ds_write_b64 v6, v[1:2]
	s_waitcnt lgkmcnt(0)
	s_barrier
	buffer_gl0_inv
	s_cbranch_execnz .LBB106_19
.LBB106_23:
	s_sub_i32 s0, s10, s8
	s_barrier
	v_cmp_gt_u32_e64 s0, s0, v0
	buffer_gl0_inv
	s_and_saveexec_b32 s1, s0
	s_cbranch_execz .LBB106_25
; %bb.24:
	ds_read_b32 v0, v4
	s_lshl_b64 s[4:5], s[8:9], 2
	s_add_u32 s2, s2, s4
	s_addc_u32 s3, s3, s5
	s_waitcnt lgkmcnt(0)
	global_store_dword v4, v0, s[2:3]
.LBB106_25:
	s_or_b32 exec_lo, exec_lo, s1
	s_waitcnt_vscnt null, 0x0
	s_barrier
	buffer_gl0_inv
	ds_write_b64 v6, v[1:2]
	s_waitcnt lgkmcnt(0)
	s_barrier
	buffer_gl0_inv
	s_and_saveexec_b32 s1, s0
	s_cbranch_execnz .LBB106_20
	s_branch .LBB106_21
	.section	.rodata,"a",@progbits
	.p2align	6, 0x0
	.amdhsa_kernel _ZN7rocprim17ROCPRIM_400000_NS6detail17trampoline_kernelINS0_14default_configENS1_38merge_sort_block_merge_config_selectorIjN6thrust23THRUST_200600_302600_NS5tupleIffNS6_9null_typeES8_S8_S8_S8_S8_S8_S8_EEEEZZNS1_27merge_sort_block_merge_implIS3_NS6_6detail15normal_iteratorINS6_10device_ptrIjEEEENSD_INSE_IS9_EEEEjNS1_19radix_merge_compareILb0ELb1EjNS0_19identity_decomposerEEEEE10hipError_tT0_T1_T2_jT3_P12ihipStream_tbPNSt15iterator_traitsISN_E10value_typeEPNST_ISO_E10value_typeEPSP_NS1_7vsmem_tEENKUlT_SN_SO_SP_E_clIPjSG_PS9_SI_EESM_S12_SN_SO_SP_EUlS12_E0_NS1_11comp_targetILNS1_3genE8ELNS1_11target_archE1030ELNS1_3gpuE2ELNS1_3repE0EEENS1_38merge_mergepath_config_static_selectorELNS0_4arch9wavefront6targetE0EEEvSO_
		.amdhsa_group_segment_fixed_size 8208
		.amdhsa_private_segment_fixed_size 0
		.amdhsa_kernarg_size 320
		.amdhsa_user_sgpr_count 6
		.amdhsa_user_sgpr_private_segment_buffer 1
		.amdhsa_user_sgpr_dispatch_ptr 0
		.amdhsa_user_sgpr_queue_ptr 0
		.amdhsa_user_sgpr_kernarg_segment_ptr 1
		.amdhsa_user_sgpr_dispatch_id 0
		.amdhsa_user_sgpr_flat_scratch_init 0
		.amdhsa_user_sgpr_private_segment_size 0
		.amdhsa_wavefront_size32 1
		.amdhsa_uses_dynamic_stack 0
		.amdhsa_system_sgpr_private_segment_wavefront_offset 0
		.amdhsa_system_sgpr_workgroup_id_x 1
		.amdhsa_system_sgpr_workgroup_id_y 1
		.amdhsa_system_sgpr_workgroup_id_z 1
		.amdhsa_system_sgpr_workgroup_info 0
		.amdhsa_system_vgpr_workitem_id 0
		.amdhsa_next_free_vgpr 14
		.amdhsa_next_free_sgpr 24
		.amdhsa_reserve_vcc 1
		.amdhsa_reserve_flat_scratch 0
		.amdhsa_float_round_mode_32 0
		.amdhsa_float_round_mode_16_64 0
		.amdhsa_float_denorm_mode_32 3
		.amdhsa_float_denorm_mode_16_64 3
		.amdhsa_dx10_clamp 1
		.amdhsa_ieee_mode 1
		.amdhsa_fp16_overflow 0
		.amdhsa_workgroup_processor_mode 1
		.amdhsa_memory_ordered 1
		.amdhsa_forward_progress 1
		.amdhsa_shared_vgpr_count 0
		.amdhsa_exception_fp_ieee_invalid_op 0
		.amdhsa_exception_fp_denorm_src 0
		.amdhsa_exception_fp_ieee_div_zero 0
		.amdhsa_exception_fp_ieee_overflow 0
		.amdhsa_exception_fp_ieee_underflow 0
		.amdhsa_exception_fp_ieee_inexact 0
		.amdhsa_exception_int_div_zero 0
	.end_amdhsa_kernel
	.section	.text._ZN7rocprim17ROCPRIM_400000_NS6detail17trampoline_kernelINS0_14default_configENS1_38merge_sort_block_merge_config_selectorIjN6thrust23THRUST_200600_302600_NS5tupleIffNS6_9null_typeES8_S8_S8_S8_S8_S8_S8_EEEEZZNS1_27merge_sort_block_merge_implIS3_NS6_6detail15normal_iteratorINS6_10device_ptrIjEEEENSD_INSE_IS9_EEEEjNS1_19radix_merge_compareILb0ELb1EjNS0_19identity_decomposerEEEEE10hipError_tT0_T1_T2_jT3_P12ihipStream_tbPNSt15iterator_traitsISN_E10value_typeEPNST_ISO_E10value_typeEPSP_NS1_7vsmem_tEENKUlT_SN_SO_SP_E_clIPjSG_PS9_SI_EESM_S12_SN_SO_SP_EUlS12_E0_NS1_11comp_targetILNS1_3genE8ELNS1_11target_archE1030ELNS1_3gpuE2ELNS1_3repE0EEENS1_38merge_mergepath_config_static_selectorELNS0_4arch9wavefront6targetE0EEEvSO_,"axG",@progbits,_ZN7rocprim17ROCPRIM_400000_NS6detail17trampoline_kernelINS0_14default_configENS1_38merge_sort_block_merge_config_selectorIjN6thrust23THRUST_200600_302600_NS5tupleIffNS6_9null_typeES8_S8_S8_S8_S8_S8_S8_EEEEZZNS1_27merge_sort_block_merge_implIS3_NS6_6detail15normal_iteratorINS6_10device_ptrIjEEEENSD_INSE_IS9_EEEEjNS1_19radix_merge_compareILb0ELb1EjNS0_19identity_decomposerEEEEE10hipError_tT0_T1_T2_jT3_P12ihipStream_tbPNSt15iterator_traitsISN_E10value_typeEPNST_ISO_E10value_typeEPSP_NS1_7vsmem_tEENKUlT_SN_SO_SP_E_clIPjSG_PS9_SI_EESM_S12_SN_SO_SP_EUlS12_E0_NS1_11comp_targetILNS1_3genE8ELNS1_11target_archE1030ELNS1_3gpuE2ELNS1_3repE0EEENS1_38merge_mergepath_config_static_selectorELNS0_4arch9wavefront6targetE0EEEvSO_,comdat
.Lfunc_end106:
	.size	_ZN7rocprim17ROCPRIM_400000_NS6detail17trampoline_kernelINS0_14default_configENS1_38merge_sort_block_merge_config_selectorIjN6thrust23THRUST_200600_302600_NS5tupleIffNS6_9null_typeES8_S8_S8_S8_S8_S8_S8_EEEEZZNS1_27merge_sort_block_merge_implIS3_NS6_6detail15normal_iteratorINS6_10device_ptrIjEEEENSD_INSE_IS9_EEEEjNS1_19radix_merge_compareILb0ELb1EjNS0_19identity_decomposerEEEEE10hipError_tT0_T1_T2_jT3_P12ihipStream_tbPNSt15iterator_traitsISN_E10value_typeEPNST_ISO_E10value_typeEPSP_NS1_7vsmem_tEENKUlT_SN_SO_SP_E_clIPjSG_PS9_SI_EESM_S12_SN_SO_SP_EUlS12_E0_NS1_11comp_targetILNS1_3genE8ELNS1_11target_archE1030ELNS1_3gpuE2ELNS1_3repE0EEENS1_38merge_mergepath_config_static_selectorELNS0_4arch9wavefront6targetE0EEEvSO_, .Lfunc_end106-_ZN7rocprim17ROCPRIM_400000_NS6detail17trampoline_kernelINS0_14default_configENS1_38merge_sort_block_merge_config_selectorIjN6thrust23THRUST_200600_302600_NS5tupleIffNS6_9null_typeES8_S8_S8_S8_S8_S8_S8_EEEEZZNS1_27merge_sort_block_merge_implIS3_NS6_6detail15normal_iteratorINS6_10device_ptrIjEEEENSD_INSE_IS9_EEEEjNS1_19radix_merge_compareILb0ELb1EjNS0_19identity_decomposerEEEEE10hipError_tT0_T1_T2_jT3_P12ihipStream_tbPNSt15iterator_traitsISN_E10value_typeEPNST_ISO_E10value_typeEPSP_NS1_7vsmem_tEENKUlT_SN_SO_SP_E_clIPjSG_PS9_SI_EESM_S12_SN_SO_SP_EUlS12_E0_NS1_11comp_targetILNS1_3genE8ELNS1_11target_archE1030ELNS1_3gpuE2ELNS1_3repE0EEENS1_38merge_mergepath_config_static_selectorELNS0_4arch9wavefront6targetE0EEEvSO_
                                        ; -- End function
	.set _ZN7rocprim17ROCPRIM_400000_NS6detail17trampoline_kernelINS0_14default_configENS1_38merge_sort_block_merge_config_selectorIjN6thrust23THRUST_200600_302600_NS5tupleIffNS6_9null_typeES8_S8_S8_S8_S8_S8_S8_EEEEZZNS1_27merge_sort_block_merge_implIS3_NS6_6detail15normal_iteratorINS6_10device_ptrIjEEEENSD_INSE_IS9_EEEEjNS1_19radix_merge_compareILb0ELb1EjNS0_19identity_decomposerEEEEE10hipError_tT0_T1_T2_jT3_P12ihipStream_tbPNSt15iterator_traitsISN_E10value_typeEPNST_ISO_E10value_typeEPSP_NS1_7vsmem_tEENKUlT_SN_SO_SP_E_clIPjSG_PS9_SI_EESM_S12_SN_SO_SP_EUlS12_E0_NS1_11comp_targetILNS1_3genE8ELNS1_11target_archE1030ELNS1_3gpuE2ELNS1_3repE0EEENS1_38merge_mergepath_config_static_selectorELNS0_4arch9wavefront6targetE0EEEvSO_.num_vgpr, 14
	.set _ZN7rocprim17ROCPRIM_400000_NS6detail17trampoline_kernelINS0_14default_configENS1_38merge_sort_block_merge_config_selectorIjN6thrust23THRUST_200600_302600_NS5tupleIffNS6_9null_typeES8_S8_S8_S8_S8_S8_S8_EEEEZZNS1_27merge_sort_block_merge_implIS3_NS6_6detail15normal_iteratorINS6_10device_ptrIjEEEENSD_INSE_IS9_EEEEjNS1_19radix_merge_compareILb0ELb1EjNS0_19identity_decomposerEEEEE10hipError_tT0_T1_T2_jT3_P12ihipStream_tbPNSt15iterator_traitsISN_E10value_typeEPNST_ISO_E10value_typeEPSP_NS1_7vsmem_tEENKUlT_SN_SO_SP_E_clIPjSG_PS9_SI_EESM_S12_SN_SO_SP_EUlS12_E0_NS1_11comp_targetILNS1_3genE8ELNS1_11target_archE1030ELNS1_3gpuE2ELNS1_3repE0EEENS1_38merge_mergepath_config_static_selectorELNS0_4arch9wavefront6targetE0EEEvSO_.num_agpr, 0
	.set _ZN7rocprim17ROCPRIM_400000_NS6detail17trampoline_kernelINS0_14default_configENS1_38merge_sort_block_merge_config_selectorIjN6thrust23THRUST_200600_302600_NS5tupleIffNS6_9null_typeES8_S8_S8_S8_S8_S8_S8_EEEEZZNS1_27merge_sort_block_merge_implIS3_NS6_6detail15normal_iteratorINS6_10device_ptrIjEEEENSD_INSE_IS9_EEEEjNS1_19radix_merge_compareILb0ELb1EjNS0_19identity_decomposerEEEEE10hipError_tT0_T1_T2_jT3_P12ihipStream_tbPNSt15iterator_traitsISN_E10value_typeEPNST_ISO_E10value_typeEPSP_NS1_7vsmem_tEENKUlT_SN_SO_SP_E_clIPjSG_PS9_SI_EESM_S12_SN_SO_SP_EUlS12_E0_NS1_11comp_targetILNS1_3genE8ELNS1_11target_archE1030ELNS1_3gpuE2ELNS1_3repE0EEENS1_38merge_mergepath_config_static_selectorELNS0_4arch9wavefront6targetE0EEEvSO_.numbered_sgpr, 24
	.set _ZN7rocprim17ROCPRIM_400000_NS6detail17trampoline_kernelINS0_14default_configENS1_38merge_sort_block_merge_config_selectorIjN6thrust23THRUST_200600_302600_NS5tupleIffNS6_9null_typeES8_S8_S8_S8_S8_S8_S8_EEEEZZNS1_27merge_sort_block_merge_implIS3_NS6_6detail15normal_iteratorINS6_10device_ptrIjEEEENSD_INSE_IS9_EEEEjNS1_19radix_merge_compareILb0ELb1EjNS0_19identity_decomposerEEEEE10hipError_tT0_T1_T2_jT3_P12ihipStream_tbPNSt15iterator_traitsISN_E10value_typeEPNST_ISO_E10value_typeEPSP_NS1_7vsmem_tEENKUlT_SN_SO_SP_E_clIPjSG_PS9_SI_EESM_S12_SN_SO_SP_EUlS12_E0_NS1_11comp_targetILNS1_3genE8ELNS1_11target_archE1030ELNS1_3gpuE2ELNS1_3repE0EEENS1_38merge_mergepath_config_static_selectorELNS0_4arch9wavefront6targetE0EEEvSO_.num_named_barrier, 0
	.set _ZN7rocprim17ROCPRIM_400000_NS6detail17trampoline_kernelINS0_14default_configENS1_38merge_sort_block_merge_config_selectorIjN6thrust23THRUST_200600_302600_NS5tupleIffNS6_9null_typeES8_S8_S8_S8_S8_S8_S8_EEEEZZNS1_27merge_sort_block_merge_implIS3_NS6_6detail15normal_iteratorINS6_10device_ptrIjEEEENSD_INSE_IS9_EEEEjNS1_19radix_merge_compareILb0ELb1EjNS0_19identity_decomposerEEEEE10hipError_tT0_T1_T2_jT3_P12ihipStream_tbPNSt15iterator_traitsISN_E10value_typeEPNST_ISO_E10value_typeEPSP_NS1_7vsmem_tEENKUlT_SN_SO_SP_E_clIPjSG_PS9_SI_EESM_S12_SN_SO_SP_EUlS12_E0_NS1_11comp_targetILNS1_3genE8ELNS1_11target_archE1030ELNS1_3gpuE2ELNS1_3repE0EEENS1_38merge_mergepath_config_static_selectorELNS0_4arch9wavefront6targetE0EEEvSO_.private_seg_size, 0
	.set _ZN7rocprim17ROCPRIM_400000_NS6detail17trampoline_kernelINS0_14default_configENS1_38merge_sort_block_merge_config_selectorIjN6thrust23THRUST_200600_302600_NS5tupleIffNS6_9null_typeES8_S8_S8_S8_S8_S8_S8_EEEEZZNS1_27merge_sort_block_merge_implIS3_NS6_6detail15normal_iteratorINS6_10device_ptrIjEEEENSD_INSE_IS9_EEEEjNS1_19radix_merge_compareILb0ELb1EjNS0_19identity_decomposerEEEEE10hipError_tT0_T1_T2_jT3_P12ihipStream_tbPNSt15iterator_traitsISN_E10value_typeEPNST_ISO_E10value_typeEPSP_NS1_7vsmem_tEENKUlT_SN_SO_SP_E_clIPjSG_PS9_SI_EESM_S12_SN_SO_SP_EUlS12_E0_NS1_11comp_targetILNS1_3genE8ELNS1_11target_archE1030ELNS1_3gpuE2ELNS1_3repE0EEENS1_38merge_mergepath_config_static_selectorELNS0_4arch9wavefront6targetE0EEEvSO_.uses_vcc, 1
	.set _ZN7rocprim17ROCPRIM_400000_NS6detail17trampoline_kernelINS0_14default_configENS1_38merge_sort_block_merge_config_selectorIjN6thrust23THRUST_200600_302600_NS5tupleIffNS6_9null_typeES8_S8_S8_S8_S8_S8_S8_EEEEZZNS1_27merge_sort_block_merge_implIS3_NS6_6detail15normal_iteratorINS6_10device_ptrIjEEEENSD_INSE_IS9_EEEEjNS1_19radix_merge_compareILb0ELb1EjNS0_19identity_decomposerEEEEE10hipError_tT0_T1_T2_jT3_P12ihipStream_tbPNSt15iterator_traitsISN_E10value_typeEPNST_ISO_E10value_typeEPSP_NS1_7vsmem_tEENKUlT_SN_SO_SP_E_clIPjSG_PS9_SI_EESM_S12_SN_SO_SP_EUlS12_E0_NS1_11comp_targetILNS1_3genE8ELNS1_11target_archE1030ELNS1_3gpuE2ELNS1_3repE0EEENS1_38merge_mergepath_config_static_selectorELNS0_4arch9wavefront6targetE0EEEvSO_.uses_flat_scratch, 0
	.set _ZN7rocprim17ROCPRIM_400000_NS6detail17trampoline_kernelINS0_14default_configENS1_38merge_sort_block_merge_config_selectorIjN6thrust23THRUST_200600_302600_NS5tupleIffNS6_9null_typeES8_S8_S8_S8_S8_S8_S8_EEEEZZNS1_27merge_sort_block_merge_implIS3_NS6_6detail15normal_iteratorINS6_10device_ptrIjEEEENSD_INSE_IS9_EEEEjNS1_19radix_merge_compareILb0ELb1EjNS0_19identity_decomposerEEEEE10hipError_tT0_T1_T2_jT3_P12ihipStream_tbPNSt15iterator_traitsISN_E10value_typeEPNST_ISO_E10value_typeEPSP_NS1_7vsmem_tEENKUlT_SN_SO_SP_E_clIPjSG_PS9_SI_EESM_S12_SN_SO_SP_EUlS12_E0_NS1_11comp_targetILNS1_3genE8ELNS1_11target_archE1030ELNS1_3gpuE2ELNS1_3repE0EEENS1_38merge_mergepath_config_static_selectorELNS0_4arch9wavefront6targetE0EEEvSO_.has_dyn_sized_stack, 0
	.set _ZN7rocprim17ROCPRIM_400000_NS6detail17trampoline_kernelINS0_14default_configENS1_38merge_sort_block_merge_config_selectorIjN6thrust23THRUST_200600_302600_NS5tupleIffNS6_9null_typeES8_S8_S8_S8_S8_S8_S8_EEEEZZNS1_27merge_sort_block_merge_implIS3_NS6_6detail15normal_iteratorINS6_10device_ptrIjEEEENSD_INSE_IS9_EEEEjNS1_19radix_merge_compareILb0ELb1EjNS0_19identity_decomposerEEEEE10hipError_tT0_T1_T2_jT3_P12ihipStream_tbPNSt15iterator_traitsISN_E10value_typeEPNST_ISO_E10value_typeEPSP_NS1_7vsmem_tEENKUlT_SN_SO_SP_E_clIPjSG_PS9_SI_EESM_S12_SN_SO_SP_EUlS12_E0_NS1_11comp_targetILNS1_3genE8ELNS1_11target_archE1030ELNS1_3gpuE2ELNS1_3repE0EEENS1_38merge_mergepath_config_static_selectorELNS0_4arch9wavefront6targetE0EEEvSO_.has_recursion, 0
	.set _ZN7rocprim17ROCPRIM_400000_NS6detail17trampoline_kernelINS0_14default_configENS1_38merge_sort_block_merge_config_selectorIjN6thrust23THRUST_200600_302600_NS5tupleIffNS6_9null_typeES8_S8_S8_S8_S8_S8_S8_EEEEZZNS1_27merge_sort_block_merge_implIS3_NS6_6detail15normal_iteratorINS6_10device_ptrIjEEEENSD_INSE_IS9_EEEEjNS1_19radix_merge_compareILb0ELb1EjNS0_19identity_decomposerEEEEE10hipError_tT0_T1_T2_jT3_P12ihipStream_tbPNSt15iterator_traitsISN_E10value_typeEPNST_ISO_E10value_typeEPSP_NS1_7vsmem_tEENKUlT_SN_SO_SP_E_clIPjSG_PS9_SI_EESM_S12_SN_SO_SP_EUlS12_E0_NS1_11comp_targetILNS1_3genE8ELNS1_11target_archE1030ELNS1_3gpuE2ELNS1_3repE0EEENS1_38merge_mergepath_config_static_selectorELNS0_4arch9wavefront6targetE0EEEvSO_.has_indirect_call, 0
	.section	.AMDGPU.csdata,"",@progbits
; Kernel info:
; codeLenInByte = 1184
; TotalNumSgprs: 26
; NumVgprs: 14
; ScratchSize: 0
; MemoryBound: 0
; FloatMode: 240
; IeeeMode: 1
; LDSByteSize: 8208 bytes/workgroup (compile time only)
; SGPRBlocks: 0
; VGPRBlocks: 1
; NumSGPRsForWavesPerEU: 26
; NumVGPRsForWavesPerEU: 14
; Occupancy: 16
; WaveLimiterHint : 1
; COMPUTE_PGM_RSRC2:SCRATCH_EN: 0
; COMPUTE_PGM_RSRC2:USER_SGPR: 6
; COMPUTE_PGM_RSRC2:TRAP_HANDLER: 0
; COMPUTE_PGM_RSRC2:TGID_X_EN: 1
; COMPUTE_PGM_RSRC2:TGID_Y_EN: 1
; COMPUTE_PGM_RSRC2:TGID_Z_EN: 1
; COMPUTE_PGM_RSRC2:TIDIG_COMP_CNT: 0
	.section	.text._ZN7rocprim17ROCPRIM_400000_NS6detail17trampoline_kernelINS0_14default_configENS1_38merge_sort_block_merge_config_selectorIjN6thrust23THRUST_200600_302600_NS5tupleIffNS6_9null_typeES8_S8_S8_S8_S8_S8_S8_EEEEZZNS1_27merge_sort_block_merge_implIS3_NS6_6detail15normal_iteratorINS6_10device_ptrIjEEEENSD_INSE_IS9_EEEEjNS1_19radix_merge_compareILb0ELb1EjNS0_19identity_decomposerEEEEE10hipError_tT0_T1_T2_jT3_P12ihipStream_tbPNSt15iterator_traitsISN_E10value_typeEPNST_ISO_E10value_typeEPSP_NS1_7vsmem_tEENKUlT_SN_SO_SP_E_clIPjSG_PS9_SI_EESM_S12_SN_SO_SP_EUlS12_E1_NS1_11comp_targetILNS1_3genE0ELNS1_11target_archE4294967295ELNS1_3gpuE0ELNS1_3repE0EEENS1_36merge_oddeven_config_static_selectorELNS0_4arch9wavefront6targetE0EEEvSO_,"axG",@progbits,_ZN7rocprim17ROCPRIM_400000_NS6detail17trampoline_kernelINS0_14default_configENS1_38merge_sort_block_merge_config_selectorIjN6thrust23THRUST_200600_302600_NS5tupleIffNS6_9null_typeES8_S8_S8_S8_S8_S8_S8_EEEEZZNS1_27merge_sort_block_merge_implIS3_NS6_6detail15normal_iteratorINS6_10device_ptrIjEEEENSD_INSE_IS9_EEEEjNS1_19radix_merge_compareILb0ELb1EjNS0_19identity_decomposerEEEEE10hipError_tT0_T1_T2_jT3_P12ihipStream_tbPNSt15iterator_traitsISN_E10value_typeEPNST_ISO_E10value_typeEPSP_NS1_7vsmem_tEENKUlT_SN_SO_SP_E_clIPjSG_PS9_SI_EESM_S12_SN_SO_SP_EUlS12_E1_NS1_11comp_targetILNS1_3genE0ELNS1_11target_archE4294967295ELNS1_3gpuE0ELNS1_3repE0EEENS1_36merge_oddeven_config_static_selectorELNS0_4arch9wavefront6targetE0EEEvSO_,comdat
	.protected	_ZN7rocprim17ROCPRIM_400000_NS6detail17trampoline_kernelINS0_14default_configENS1_38merge_sort_block_merge_config_selectorIjN6thrust23THRUST_200600_302600_NS5tupleIffNS6_9null_typeES8_S8_S8_S8_S8_S8_S8_EEEEZZNS1_27merge_sort_block_merge_implIS3_NS6_6detail15normal_iteratorINS6_10device_ptrIjEEEENSD_INSE_IS9_EEEEjNS1_19radix_merge_compareILb0ELb1EjNS0_19identity_decomposerEEEEE10hipError_tT0_T1_T2_jT3_P12ihipStream_tbPNSt15iterator_traitsISN_E10value_typeEPNST_ISO_E10value_typeEPSP_NS1_7vsmem_tEENKUlT_SN_SO_SP_E_clIPjSG_PS9_SI_EESM_S12_SN_SO_SP_EUlS12_E1_NS1_11comp_targetILNS1_3genE0ELNS1_11target_archE4294967295ELNS1_3gpuE0ELNS1_3repE0EEENS1_36merge_oddeven_config_static_selectorELNS0_4arch9wavefront6targetE0EEEvSO_ ; -- Begin function _ZN7rocprim17ROCPRIM_400000_NS6detail17trampoline_kernelINS0_14default_configENS1_38merge_sort_block_merge_config_selectorIjN6thrust23THRUST_200600_302600_NS5tupleIffNS6_9null_typeES8_S8_S8_S8_S8_S8_S8_EEEEZZNS1_27merge_sort_block_merge_implIS3_NS6_6detail15normal_iteratorINS6_10device_ptrIjEEEENSD_INSE_IS9_EEEEjNS1_19radix_merge_compareILb0ELb1EjNS0_19identity_decomposerEEEEE10hipError_tT0_T1_T2_jT3_P12ihipStream_tbPNSt15iterator_traitsISN_E10value_typeEPNST_ISO_E10value_typeEPSP_NS1_7vsmem_tEENKUlT_SN_SO_SP_E_clIPjSG_PS9_SI_EESM_S12_SN_SO_SP_EUlS12_E1_NS1_11comp_targetILNS1_3genE0ELNS1_11target_archE4294967295ELNS1_3gpuE0ELNS1_3repE0EEENS1_36merge_oddeven_config_static_selectorELNS0_4arch9wavefront6targetE0EEEvSO_
	.globl	_ZN7rocprim17ROCPRIM_400000_NS6detail17trampoline_kernelINS0_14default_configENS1_38merge_sort_block_merge_config_selectorIjN6thrust23THRUST_200600_302600_NS5tupleIffNS6_9null_typeES8_S8_S8_S8_S8_S8_S8_EEEEZZNS1_27merge_sort_block_merge_implIS3_NS6_6detail15normal_iteratorINS6_10device_ptrIjEEEENSD_INSE_IS9_EEEEjNS1_19radix_merge_compareILb0ELb1EjNS0_19identity_decomposerEEEEE10hipError_tT0_T1_T2_jT3_P12ihipStream_tbPNSt15iterator_traitsISN_E10value_typeEPNST_ISO_E10value_typeEPSP_NS1_7vsmem_tEENKUlT_SN_SO_SP_E_clIPjSG_PS9_SI_EESM_S12_SN_SO_SP_EUlS12_E1_NS1_11comp_targetILNS1_3genE0ELNS1_11target_archE4294967295ELNS1_3gpuE0ELNS1_3repE0EEENS1_36merge_oddeven_config_static_selectorELNS0_4arch9wavefront6targetE0EEEvSO_
	.p2align	8
	.type	_ZN7rocprim17ROCPRIM_400000_NS6detail17trampoline_kernelINS0_14default_configENS1_38merge_sort_block_merge_config_selectorIjN6thrust23THRUST_200600_302600_NS5tupleIffNS6_9null_typeES8_S8_S8_S8_S8_S8_S8_EEEEZZNS1_27merge_sort_block_merge_implIS3_NS6_6detail15normal_iteratorINS6_10device_ptrIjEEEENSD_INSE_IS9_EEEEjNS1_19radix_merge_compareILb0ELb1EjNS0_19identity_decomposerEEEEE10hipError_tT0_T1_T2_jT3_P12ihipStream_tbPNSt15iterator_traitsISN_E10value_typeEPNST_ISO_E10value_typeEPSP_NS1_7vsmem_tEENKUlT_SN_SO_SP_E_clIPjSG_PS9_SI_EESM_S12_SN_SO_SP_EUlS12_E1_NS1_11comp_targetILNS1_3genE0ELNS1_11target_archE4294967295ELNS1_3gpuE0ELNS1_3repE0EEENS1_36merge_oddeven_config_static_selectorELNS0_4arch9wavefront6targetE0EEEvSO_,@function
_ZN7rocprim17ROCPRIM_400000_NS6detail17trampoline_kernelINS0_14default_configENS1_38merge_sort_block_merge_config_selectorIjN6thrust23THRUST_200600_302600_NS5tupleIffNS6_9null_typeES8_S8_S8_S8_S8_S8_S8_EEEEZZNS1_27merge_sort_block_merge_implIS3_NS6_6detail15normal_iteratorINS6_10device_ptrIjEEEENSD_INSE_IS9_EEEEjNS1_19radix_merge_compareILb0ELb1EjNS0_19identity_decomposerEEEEE10hipError_tT0_T1_T2_jT3_P12ihipStream_tbPNSt15iterator_traitsISN_E10value_typeEPNST_ISO_E10value_typeEPSP_NS1_7vsmem_tEENKUlT_SN_SO_SP_E_clIPjSG_PS9_SI_EESM_S12_SN_SO_SP_EUlS12_E1_NS1_11comp_targetILNS1_3genE0ELNS1_11target_archE4294967295ELNS1_3gpuE0ELNS1_3repE0EEENS1_36merge_oddeven_config_static_selectorELNS0_4arch9wavefront6targetE0EEEvSO_: ; @_ZN7rocprim17ROCPRIM_400000_NS6detail17trampoline_kernelINS0_14default_configENS1_38merge_sort_block_merge_config_selectorIjN6thrust23THRUST_200600_302600_NS5tupleIffNS6_9null_typeES8_S8_S8_S8_S8_S8_S8_EEEEZZNS1_27merge_sort_block_merge_implIS3_NS6_6detail15normal_iteratorINS6_10device_ptrIjEEEENSD_INSE_IS9_EEEEjNS1_19radix_merge_compareILb0ELb1EjNS0_19identity_decomposerEEEEE10hipError_tT0_T1_T2_jT3_P12ihipStream_tbPNSt15iterator_traitsISN_E10value_typeEPNST_ISO_E10value_typeEPSP_NS1_7vsmem_tEENKUlT_SN_SO_SP_E_clIPjSG_PS9_SI_EESM_S12_SN_SO_SP_EUlS12_E1_NS1_11comp_targetILNS1_3genE0ELNS1_11target_archE4294967295ELNS1_3gpuE0ELNS1_3repE0EEENS1_36merge_oddeven_config_static_selectorELNS0_4arch9wavefront6targetE0EEEvSO_
; %bb.0:
	.section	.rodata,"a",@progbits
	.p2align	6, 0x0
	.amdhsa_kernel _ZN7rocprim17ROCPRIM_400000_NS6detail17trampoline_kernelINS0_14default_configENS1_38merge_sort_block_merge_config_selectorIjN6thrust23THRUST_200600_302600_NS5tupleIffNS6_9null_typeES8_S8_S8_S8_S8_S8_S8_EEEEZZNS1_27merge_sort_block_merge_implIS3_NS6_6detail15normal_iteratorINS6_10device_ptrIjEEEENSD_INSE_IS9_EEEEjNS1_19radix_merge_compareILb0ELb1EjNS0_19identity_decomposerEEEEE10hipError_tT0_T1_T2_jT3_P12ihipStream_tbPNSt15iterator_traitsISN_E10value_typeEPNST_ISO_E10value_typeEPSP_NS1_7vsmem_tEENKUlT_SN_SO_SP_E_clIPjSG_PS9_SI_EESM_S12_SN_SO_SP_EUlS12_E1_NS1_11comp_targetILNS1_3genE0ELNS1_11target_archE4294967295ELNS1_3gpuE0ELNS1_3repE0EEENS1_36merge_oddeven_config_static_selectorELNS0_4arch9wavefront6targetE0EEEvSO_
		.amdhsa_group_segment_fixed_size 0
		.amdhsa_private_segment_fixed_size 0
		.amdhsa_kernarg_size 48
		.amdhsa_user_sgpr_count 6
		.amdhsa_user_sgpr_private_segment_buffer 1
		.amdhsa_user_sgpr_dispatch_ptr 0
		.amdhsa_user_sgpr_queue_ptr 0
		.amdhsa_user_sgpr_kernarg_segment_ptr 1
		.amdhsa_user_sgpr_dispatch_id 0
		.amdhsa_user_sgpr_flat_scratch_init 0
		.amdhsa_user_sgpr_private_segment_size 0
		.amdhsa_wavefront_size32 1
		.amdhsa_uses_dynamic_stack 0
		.amdhsa_system_sgpr_private_segment_wavefront_offset 0
		.amdhsa_system_sgpr_workgroup_id_x 1
		.amdhsa_system_sgpr_workgroup_id_y 0
		.amdhsa_system_sgpr_workgroup_id_z 0
		.amdhsa_system_sgpr_workgroup_info 0
		.amdhsa_system_vgpr_workitem_id 0
		.amdhsa_next_free_vgpr 1
		.amdhsa_next_free_sgpr 1
		.amdhsa_reserve_vcc 0
		.amdhsa_reserve_flat_scratch 0
		.amdhsa_float_round_mode_32 0
		.amdhsa_float_round_mode_16_64 0
		.amdhsa_float_denorm_mode_32 3
		.amdhsa_float_denorm_mode_16_64 3
		.amdhsa_dx10_clamp 1
		.amdhsa_ieee_mode 1
		.amdhsa_fp16_overflow 0
		.amdhsa_workgroup_processor_mode 1
		.amdhsa_memory_ordered 1
		.amdhsa_forward_progress 1
		.amdhsa_shared_vgpr_count 0
		.amdhsa_exception_fp_ieee_invalid_op 0
		.amdhsa_exception_fp_denorm_src 0
		.amdhsa_exception_fp_ieee_div_zero 0
		.amdhsa_exception_fp_ieee_overflow 0
		.amdhsa_exception_fp_ieee_underflow 0
		.amdhsa_exception_fp_ieee_inexact 0
		.amdhsa_exception_int_div_zero 0
	.end_amdhsa_kernel
	.section	.text._ZN7rocprim17ROCPRIM_400000_NS6detail17trampoline_kernelINS0_14default_configENS1_38merge_sort_block_merge_config_selectorIjN6thrust23THRUST_200600_302600_NS5tupleIffNS6_9null_typeES8_S8_S8_S8_S8_S8_S8_EEEEZZNS1_27merge_sort_block_merge_implIS3_NS6_6detail15normal_iteratorINS6_10device_ptrIjEEEENSD_INSE_IS9_EEEEjNS1_19radix_merge_compareILb0ELb1EjNS0_19identity_decomposerEEEEE10hipError_tT0_T1_T2_jT3_P12ihipStream_tbPNSt15iterator_traitsISN_E10value_typeEPNST_ISO_E10value_typeEPSP_NS1_7vsmem_tEENKUlT_SN_SO_SP_E_clIPjSG_PS9_SI_EESM_S12_SN_SO_SP_EUlS12_E1_NS1_11comp_targetILNS1_3genE0ELNS1_11target_archE4294967295ELNS1_3gpuE0ELNS1_3repE0EEENS1_36merge_oddeven_config_static_selectorELNS0_4arch9wavefront6targetE0EEEvSO_,"axG",@progbits,_ZN7rocprim17ROCPRIM_400000_NS6detail17trampoline_kernelINS0_14default_configENS1_38merge_sort_block_merge_config_selectorIjN6thrust23THRUST_200600_302600_NS5tupleIffNS6_9null_typeES8_S8_S8_S8_S8_S8_S8_EEEEZZNS1_27merge_sort_block_merge_implIS3_NS6_6detail15normal_iteratorINS6_10device_ptrIjEEEENSD_INSE_IS9_EEEEjNS1_19radix_merge_compareILb0ELb1EjNS0_19identity_decomposerEEEEE10hipError_tT0_T1_T2_jT3_P12ihipStream_tbPNSt15iterator_traitsISN_E10value_typeEPNST_ISO_E10value_typeEPSP_NS1_7vsmem_tEENKUlT_SN_SO_SP_E_clIPjSG_PS9_SI_EESM_S12_SN_SO_SP_EUlS12_E1_NS1_11comp_targetILNS1_3genE0ELNS1_11target_archE4294967295ELNS1_3gpuE0ELNS1_3repE0EEENS1_36merge_oddeven_config_static_selectorELNS0_4arch9wavefront6targetE0EEEvSO_,comdat
.Lfunc_end107:
	.size	_ZN7rocprim17ROCPRIM_400000_NS6detail17trampoline_kernelINS0_14default_configENS1_38merge_sort_block_merge_config_selectorIjN6thrust23THRUST_200600_302600_NS5tupleIffNS6_9null_typeES8_S8_S8_S8_S8_S8_S8_EEEEZZNS1_27merge_sort_block_merge_implIS3_NS6_6detail15normal_iteratorINS6_10device_ptrIjEEEENSD_INSE_IS9_EEEEjNS1_19radix_merge_compareILb0ELb1EjNS0_19identity_decomposerEEEEE10hipError_tT0_T1_T2_jT3_P12ihipStream_tbPNSt15iterator_traitsISN_E10value_typeEPNST_ISO_E10value_typeEPSP_NS1_7vsmem_tEENKUlT_SN_SO_SP_E_clIPjSG_PS9_SI_EESM_S12_SN_SO_SP_EUlS12_E1_NS1_11comp_targetILNS1_3genE0ELNS1_11target_archE4294967295ELNS1_3gpuE0ELNS1_3repE0EEENS1_36merge_oddeven_config_static_selectorELNS0_4arch9wavefront6targetE0EEEvSO_, .Lfunc_end107-_ZN7rocprim17ROCPRIM_400000_NS6detail17trampoline_kernelINS0_14default_configENS1_38merge_sort_block_merge_config_selectorIjN6thrust23THRUST_200600_302600_NS5tupleIffNS6_9null_typeES8_S8_S8_S8_S8_S8_S8_EEEEZZNS1_27merge_sort_block_merge_implIS3_NS6_6detail15normal_iteratorINS6_10device_ptrIjEEEENSD_INSE_IS9_EEEEjNS1_19radix_merge_compareILb0ELb1EjNS0_19identity_decomposerEEEEE10hipError_tT0_T1_T2_jT3_P12ihipStream_tbPNSt15iterator_traitsISN_E10value_typeEPNST_ISO_E10value_typeEPSP_NS1_7vsmem_tEENKUlT_SN_SO_SP_E_clIPjSG_PS9_SI_EESM_S12_SN_SO_SP_EUlS12_E1_NS1_11comp_targetILNS1_3genE0ELNS1_11target_archE4294967295ELNS1_3gpuE0ELNS1_3repE0EEENS1_36merge_oddeven_config_static_selectorELNS0_4arch9wavefront6targetE0EEEvSO_
                                        ; -- End function
	.set _ZN7rocprim17ROCPRIM_400000_NS6detail17trampoline_kernelINS0_14default_configENS1_38merge_sort_block_merge_config_selectorIjN6thrust23THRUST_200600_302600_NS5tupleIffNS6_9null_typeES8_S8_S8_S8_S8_S8_S8_EEEEZZNS1_27merge_sort_block_merge_implIS3_NS6_6detail15normal_iteratorINS6_10device_ptrIjEEEENSD_INSE_IS9_EEEEjNS1_19radix_merge_compareILb0ELb1EjNS0_19identity_decomposerEEEEE10hipError_tT0_T1_T2_jT3_P12ihipStream_tbPNSt15iterator_traitsISN_E10value_typeEPNST_ISO_E10value_typeEPSP_NS1_7vsmem_tEENKUlT_SN_SO_SP_E_clIPjSG_PS9_SI_EESM_S12_SN_SO_SP_EUlS12_E1_NS1_11comp_targetILNS1_3genE0ELNS1_11target_archE4294967295ELNS1_3gpuE0ELNS1_3repE0EEENS1_36merge_oddeven_config_static_selectorELNS0_4arch9wavefront6targetE0EEEvSO_.num_vgpr, 0
	.set _ZN7rocprim17ROCPRIM_400000_NS6detail17trampoline_kernelINS0_14default_configENS1_38merge_sort_block_merge_config_selectorIjN6thrust23THRUST_200600_302600_NS5tupleIffNS6_9null_typeES8_S8_S8_S8_S8_S8_S8_EEEEZZNS1_27merge_sort_block_merge_implIS3_NS6_6detail15normal_iteratorINS6_10device_ptrIjEEEENSD_INSE_IS9_EEEEjNS1_19radix_merge_compareILb0ELb1EjNS0_19identity_decomposerEEEEE10hipError_tT0_T1_T2_jT3_P12ihipStream_tbPNSt15iterator_traitsISN_E10value_typeEPNST_ISO_E10value_typeEPSP_NS1_7vsmem_tEENKUlT_SN_SO_SP_E_clIPjSG_PS9_SI_EESM_S12_SN_SO_SP_EUlS12_E1_NS1_11comp_targetILNS1_3genE0ELNS1_11target_archE4294967295ELNS1_3gpuE0ELNS1_3repE0EEENS1_36merge_oddeven_config_static_selectorELNS0_4arch9wavefront6targetE0EEEvSO_.num_agpr, 0
	.set _ZN7rocprim17ROCPRIM_400000_NS6detail17trampoline_kernelINS0_14default_configENS1_38merge_sort_block_merge_config_selectorIjN6thrust23THRUST_200600_302600_NS5tupleIffNS6_9null_typeES8_S8_S8_S8_S8_S8_S8_EEEEZZNS1_27merge_sort_block_merge_implIS3_NS6_6detail15normal_iteratorINS6_10device_ptrIjEEEENSD_INSE_IS9_EEEEjNS1_19radix_merge_compareILb0ELb1EjNS0_19identity_decomposerEEEEE10hipError_tT0_T1_T2_jT3_P12ihipStream_tbPNSt15iterator_traitsISN_E10value_typeEPNST_ISO_E10value_typeEPSP_NS1_7vsmem_tEENKUlT_SN_SO_SP_E_clIPjSG_PS9_SI_EESM_S12_SN_SO_SP_EUlS12_E1_NS1_11comp_targetILNS1_3genE0ELNS1_11target_archE4294967295ELNS1_3gpuE0ELNS1_3repE0EEENS1_36merge_oddeven_config_static_selectorELNS0_4arch9wavefront6targetE0EEEvSO_.numbered_sgpr, 0
	.set _ZN7rocprim17ROCPRIM_400000_NS6detail17trampoline_kernelINS0_14default_configENS1_38merge_sort_block_merge_config_selectorIjN6thrust23THRUST_200600_302600_NS5tupleIffNS6_9null_typeES8_S8_S8_S8_S8_S8_S8_EEEEZZNS1_27merge_sort_block_merge_implIS3_NS6_6detail15normal_iteratorINS6_10device_ptrIjEEEENSD_INSE_IS9_EEEEjNS1_19radix_merge_compareILb0ELb1EjNS0_19identity_decomposerEEEEE10hipError_tT0_T1_T2_jT3_P12ihipStream_tbPNSt15iterator_traitsISN_E10value_typeEPNST_ISO_E10value_typeEPSP_NS1_7vsmem_tEENKUlT_SN_SO_SP_E_clIPjSG_PS9_SI_EESM_S12_SN_SO_SP_EUlS12_E1_NS1_11comp_targetILNS1_3genE0ELNS1_11target_archE4294967295ELNS1_3gpuE0ELNS1_3repE0EEENS1_36merge_oddeven_config_static_selectorELNS0_4arch9wavefront6targetE0EEEvSO_.num_named_barrier, 0
	.set _ZN7rocprim17ROCPRIM_400000_NS6detail17trampoline_kernelINS0_14default_configENS1_38merge_sort_block_merge_config_selectorIjN6thrust23THRUST_200600_302600_NS5tupleIffNS6_9null_typeES8_S8_S8_S8_S8_S8_S8_EEEEZZNS1_27merge_sort_block_merge_implIS3_NS6_6detail15normal_iteratorINS6_10device_ptrIjEEEENSD_INSE_IS9_EEEEjNS1_19radix_merge_compareILb0ELb1EjNS0_19identity_decomposerEEEEE10hipError_tT0_T1_T2_jT3_P12ihipStream_tbPNSt15iterator_traitsISN_E10value_typeEPNST_ISO_E10value_typeEPSP_NS1_7vsmem_tEENKUlT_SN_SO_SP_E_clIPjSG_PS9_SI_EESM_S12_SN_SO_SP_EUlS12_E1_NS1_11comp_targetILNS1_3genE0ELNS1_11target_archE4294967295ELNS1_3gpuE0ELNS1_3repE0EEENS1_36merge_oddeven_config_static_selectorELNS0_4arch9wavefront6targetE0EEEvSO_.private_seg_size, 0
	.set _ZN7rocprim17ROCPRIM_400000_NS6detail17trampoline_kernelINS0_14default_configENS1_38merge_sort_block_merge_config_selectorIjN6thrust23THRUST_200600_302600_NS5tupleIffNS6_9null_typeES8_S8_S8_S8_S8_S8_S8_EEEEZZNS1_27merge_sort_block_merge_implIS3_NS6_6detail15normal_iteratorINS6_10device_ptrIjEEEENSD_INSE_IS9_EEEEjNS1_19radix_merge_compareILb0ELb1EjNS0_19identity_decomposerEEEEE10hipError_tT0_T1_T2_jT3_P12ihipStream_tbPNSt15iterator_traitsISN_E10value_typeEPNST_ISO_E10value_typeEPSP_NS1_7vsmem_tEENKUlT_SN_SO_SP_E_clIPjSG_PS9_SI_EESM_S12_SN_SO_SP_EUlS12_E1_NS1_11comp_targetILNS1_3genE0ELNS1_11target_archE4294967295ELNS1_3gpuE0ELNS1_3repE0EEENS1_36merge_oddeven_config_static_selectorELNS0_4arch9wavefront6targetE0EEEvSO_.uses_vcc, 0
	.set _ZN7rocprim17ROCPRIM_400000_NS6detail17trampoline_kernelINS0_14default_configENS1_38merge_sort_block_merge_config_selectorIjN6thrust23THRUST_200600_302600_NS5tupleIffNS6_9null_typeES8_S8_S8_S8_S8_S8_S8_EEEEZZNS1_27merge_sort_block_merge_implIS3_NS6_6detail15normal_iteratorINS6_10device_ptrIjEEEENSD_INSE_IS9_EEEEjNS1_19radix_merge_compareILb0ELb1EjNS0_19identity_decomposerEEEEE10hipError_tT0_T1_T2_jT3_P12ihipStream_tbPNSt15iterator_traitsISN_E10value_typeEPNST_ISO_E10value_typeEPSP_NS1_7vsmem_tEENKUlT_SN_SO_SP_E_clIPjSG_PS9_SI_EESM_S12_SN_SO_SP_EUlS12_E1_NS1_11comp_targetILNS1_3genE0ELNS1_11target_archE4294967295ELNS1_3gpuE0ELNS1_3repE0EEENS1_36merge_oddeven_config_static_selectorELNS0_4arch9wavefront6targetE0EEEvSO_.uses_flat_scratch, 0
	.set _ZN7rocprim17ROCPRIM_400000_NS6detail17trampoline_kernelINS0_14default_configENS1_38merge_sort_block_merge_config_selectorIjN6thrust23THRUST_200600_302600_NS5tupleIffNS6_9null_typeES8_S8_S8_S8_S8_S8_S8_EEEEZZNS1_27merge_sort_block_merge_implIS3_NS6_6detail15normal_iteratorINS6_10device_ptrIjEEEENSD_INSE_IS9_EEEEjNS1_19radix_merge_compareILb0ELb1EjNS0_19identity_decomposerEEEEE10hipError_tT0_T1_T2_jT3_P12ihipStream_tbPNSt15iterator_traitsISN_E10value_typeEPNST_ISO_E10value_typeEPSP_NS1_7vsmem_tEENKUlT_SN_SO_SP_E_clIPjSG_PS9_SI_EESM_S12_SN_SO_SP_EUlS12_E1_NS1_11comp_targetILNS1_3genE0ELNS1_11target_archE4294967295ELNS1_3gpuE0ELNS1_3repE0EEENS1_36merge_oddeven_config_static_selectorELNS0_4arch9wavefront6targetE0EEEvSO_.has_dyn_sized_stack, 0
	.set _ZN7rocprim17ROCPRIM_400000_NS6detail17trampoline_kernelINS0_14default_configENS1_38merge_sort_block_merge_config_selectorIjN6thrust23THRUST_200600_302600_NS5tupleIffNS6_9null_typeES8_S8_S8_S8_S8_S8_S8_EEEEZZNS1_27merge_sort_block_merge_implIS3_NS6_6detail15normal_iteratorINS6_10device_ptrIjEEEENSD_INSE_IS9_EEEEjNS1_19radix_merge_compareILb0ELb1EjNS0_19identity_decomposerEEEEE10hipError_tT0_T1_T2_jT3_P12ihipStream_tbPNSt15iterator_traitsISN_E10value_typeEPNST_ISO_E10value_typeEPSP_NS1_7vsmem_tEENKUlT_SN_SO_SP_E_clIPjSG_PS9_SI_EESM_S12_SN_SO_SP_EUlS12_E1_NS1_11comp_targetILNS1_3genE0ELNS1_11target_archE4294967295ELNS1_3gpuE0ELNS1_3repE0EEENS1_36merge_oddeven_config_static_selectorELNS0_4arch9wavefront6targetE0EEEvSO_.has_recursion, 0
	.set _ZN7rocprim17ROCPRIM_400000_NS6detail17trampoline_kernelINS0_14default_configENS1_38merge_sort_block_merge_config_selectorIjN6thrust23THRUST_200600_302600_NS5tupleIffNS6_9null_typeES8_S8_S8_S8_S8_S8_S8_EEEEZZNS1_27merge_sort_block_merge_implIS3_NS6_6detail15normal_iteratorINS6_10device_ptrIjEEEENSD_INSE_IS9_EEEEjNS1_19radix_merge_compareILb0ELb1EjNS0_19identity_decomposerEEEEE10hipError_tT0_T1_T2_jT3_P12ihipStream_tbPNSt15iterator_traitsISN_E10value_typeEPNST_ISO_E10value_typeEPSP_NS1_7vsmem_tEENKUlT_SN_SO_SP_E_clIPjSG_PS9_SI_EESM_S12_SN_SO_SP_EUlS12_E1_NS1_11comp_targetILNS1_3genE0ELNS1_11target_archE4294967295ELNS1_3gpuE0ELNS1_3repE0EEENS1_36merge_oddeven_config_static_selectorELNS0_4arch9wavefront6targetE0EEEvSO_.has_indirect_call, 0
	.section	.AMDGPU.csdata,"",@progbits
; Kernel info:
; codeLenInByte = 0
; TotalNumSgprs: 0
; NumVgprs: 0
; ScratchSize: 0
; MemoryBound: 0
; FloatMode: 240
; IeeeMode: 1
; LDSByteSize: 0 bytes/workgroup (compile time only)
; SGPRBlocks: 0
; VGPRBlocks: 0
; NumSGPRsForWavesPerEU: 1
; NumVGPRsForWavesPerEU: 1
; Occupancy: 16
; WaveLimiterHint : 0
; COMPUTE_PGM_RSRC2:SCRATCH_EN: 0
; COMPUTE_PGM_RSRC2:USER_SGPR: 6
; COMPUTE_PGM_RSRC2:TRAP_HANDLER: 0
; COMPUTE_PGM_RSRC2:TGID_X_EN: 1
; COMPUTE_PGM_RSRC2:TGID_Y_EN: 0
; COMPUTE_PGM_RSRC2:TGID_Z_EN: 0
; COMPUTE_PGM_RSRC2:TIDIG_COMP_CNT: 0
	.section	.text._ZN7rocprim17ROCPRIM_400000_NS6detail17trampoline_kernelINS0_14default_configENS1_38merge_sort_block_merge_config_selectorIjN6thrust23THRUST_200600_302600_NS5tupleIffNS6_9null_typeES8_S8_S8_S8_S8_S8_S8_EEEEZZNS1_27merge_sort_block_merge_implIS3_NS6_6detail15normal_iteratorINS6_10device_ptrIjEEEENSD_INSE_IS9_EEEEjNS1_19radix_merge_compareILb0ELb1EjNS0_19identity_decomposerEEEEE10hipError_tT0_T1_T2_jT3_P12ihipStream_tbPNSt15iterator_traitsISN_E10value_typeEPNST_ISO_E10value_typeEPSP_NS1_7vsmem_tEENKUlT_SN_SO_SP_E_clIPjSG_PS9_SI_EESM_S12_SN_SO_SP_EUlS12_E1_NS1_11comp_targetILNS1_3genE10ELNS1_11target_archE1201ELNS1_3gpuE5ELNS1_3repE0EEENS1_36merge_oddeven_config_static_selectorELNS0_4arch9wavefront6targetE0EEEvSO_,"axG",@progbits,_ZN7rocprim17ROCPRIM_400000_NS6detail17trampoline_kernelINS0_14default_configENS1_38merge_sort_block_merge_config_selectorIjN6thrust23THRUST_200600_302600_NS5tupleIffNS6_9null_typeES8_S8_S8_S8_S8_S8_S8_EEEEZZNS1_27merge_sort_block_merge_implIS3_NS6_6detail15normal_iteratorINS6_10device_ptrIjEEEENSD_INSE_IS9_EEEEjNS1_19radix_merge_compareILb0ELb1EjNS0_19identity_decomposerEEEEE10hipError_tT0_T1_T2_jT3_P12ihipStream_tbPNSt15iterator_traitsISN_E10value_typeEPNST_ISO_E10value_typeEPSP_NS1_7vsmem_tEENKUlT_SN_SO_SP_E_clIPjSG_PS9_SI_EESM_S12_SN_SO_SP_EUlS12_E1_NS1_11comp_targetILNS1_3genE10ELNS1_11target_archE1201ELNS1_3gpuE5ELNS1_3repE0EEENS1_36merge_oddeven_config_static_selectorELNS0_4arch9wavefront6targetE0EEEvSO_,comdat
	.protected	_ZN7rocprim17ROCPRIM_400000_NS6detail17trampoline_kernelINS0_14default_configENS1_38merge_sort_block_merge_config_selectorIjN6thrust23THRUST_200600_302600_NS5tupleIffNS6_9null_typeES8_S8_S8_S8_S8_S8_S8_EEEEZZNS1_27merge_sort_block_merge_implIS3_NS6_6detail15normal_iteratorINS6_10device_ptrIjEEEENSD_INSE_IS9_EEEEjNS1_19radix_merge_compareILb0ELb1EjNS0_19identity_decomposerEEEEE10hipError_tT0_T1_T2_jT3_P12ihipStream_tbPNSt15iterator_traitsISN_E10value_typeEPNST_ISO_E10value_typeEPSP_NS1_7vsmem_tEENKUlT_SN_SO_SP_E_clIPjSG_PS9_SI_EESM_S12_SN_SO_SP_EUlS12_E1_NS1_11comp_targetILNS1_3genE10ELNS1_11target_archE1201ELNS1_3gpuE5ELNS1_3repE0EEENS1_36merge_oddeven_config_static_selectorELNS0_4arch9wavefront6targetE0EEEvSO_ ; -- Begin function _ZN7rocprim17ROCPRIM_400000_NS6detail17trampoline_kernelINS0_14default_configENS1_38merge_sort_block_merge_config_selectorIjN6thrust23THRUST_200600_302600_NS5tupleIffNS6_9null_typeES8_S8_S8_S8_S8_S8_S8_EEEEZZNS1_27merge_sort_block_merge_implIS3_NS6_6detail15normal_iteratorINS6_10device_ptrIjEEEENSD_INSE_IS9_EEEEjNS1_19radix_merge_compareILb0ELb1EjNS0_19identity_decomposerEEEEE10hipError_tT0_T1_T2_jT3_P12ihipStream_tbPNSt15iterator_traitsISN_E10value_typeEPNST_ISO_E10value_typeEPSP_NS1_7vsmem_tEENKUlT_SN_SO_SP_E_clIPjSG_PS9_SI_EESM_S12_SN_SO_SP_EUlS12_E1_NS1_11comp_targetILNS1_3genE10ELNS1_11target_archE1201ELNS1_3gpuE5ELNS1_3repE0EEENS1_36merge_oddeven_config_static_selectorELNS0_4arch9wavefront6targetE0EEEvSO_
	.globl	_ZN7rocprim17ROCPRIM_400000_NS6detail17trampoline_kernelINS0_14default_configENS1_38merge_sort_block_merge_config_selectorIjN6thrust23THRUST_200600_302600_NS5tupleIffNS6_9null_typeES8_S8_S8_S8_S8_S8_S8_EEEEZZNS1_27merge_sort_block_merge_implIS3_NS6_6detail15normal_iteratorINS6_10device_ptrIjEEEENSD_INSE_IS9_EEEEjNS1_19radix_merge_compareILb0ELb1EjNS0_19identity_decomposerEEEEE10hipError_tT0_T1_T2_jT3_P12ihipStream_tbPNSt15iterator_traitsISN_E10value_typeEPNST_ISO_E10value_typeEPSP_NS1_7vsmem_tEENKUlT_SN_SO_SP_E_clIPjSG_PS9_SI_EESM_S12_SN_SO_SP_EUlS12_E1_NS1_11comp_targetILNS1_3genE10ELNS1_11target_archE1201ELNS1_3gpuE5ELNS1_3repE0EEENS1_36merge_oddeven_config_static_selectorELNS0_4arch9wavefront6targetE0EEEvSO_
	.p2align	8
	.type	_ZN7rocprim17ROCPRIM_400000_NS6detail17trampoline_kernelINS0_14default_configENS1_38merge_sort_block_merge_config_selectorIjN6thrust23THRUST_200600_302600_NS5tupleIffNS6_9null_typeES8_S8_S8_S8_S8_S8_S8_EEEEZZNS1_27merge_sort_block_merge_implIS3_NS6_6detail15normal_iteratorINS6_10device_ptrIjEEEENSD_INSE_IS9_EEEEjNS1_19radix_merge_compareILb0ELb1EjNS0_19identity_decomposerEEEEE10hipError_tT0_T1_T2_jT3_P12ihipStream_tbPNSt15iterator_traitsISN_E10value_typeEPNST_ISO_E10value_typeEPSP_NS1_7vsmem_tEENKUlT_SN_SO_SP_E_clIPjSG_PS9_SI_EESM_S12_SN_SO_SP_EUlS12_E1_NS1_11comp_targetILNS1_3genE10ELNS1_11target_archE1201ELNS1_3gpuE5ELNS1_3repE0EEENS1_36merge_oddeven_config_static_selectorELNS0_4arch9wavefront6targetE0EEEvSO_,@function
_ZN7rocprim17ROCPRIM_400000_NS6detail17trampoline_kernelINS0_14default_configENS1_38merge_sort_block_merge_config_selectorIjN6thrust23THRUST_200600_302600_NS5tupleIffNS6_9null_typeES8_S8_S8_S8_S8_S8_S8_EEEEZZNS1_27merge_sort_block_merge_implIS3_NS6_6detail15normal_iteratorINS6_10device_ptrIjEEEENSD_INSE_IS9_EEEEjNS1_19radix_merge_compareILb0ELb1EjNS0_19identity_decomposerEEEEE10hipError_tT0_T1_T2_jT3_P12ihipStream_tbPNSt15iterator_traitsISN_E10value_typeEPNST_ISO_E10value_typeEPSP_NS1_7vsmem_tEENKUlT_SN_SO_SP_E_clIPjSG_PS9_SI_EESM_S12_SN_SO_SP_EUlS12_E1_NS1_11comp_targetILNS1_3genE10ELNS1_11target_archE1201ELNS1_3gpuE5ELNS1_3repE0EEENS1_36merge_oddeven_config_static_selectorELNS0_4arch9wavefront6targetE0EEEvSO_: ; @_ZN7rocprim17ROCPRIM_400000_NS6detail17trampoline_kernelINS0_14default_configENS1_38merge_sort_block_merge_config_selectorIjN6thrust23THRUST_200600_302600_NS5tupleIffNS6_9null_typeES8_S8_S8_S8_S8_S8_S8_EEEEZZNS1_27merge_sort_block_merge_implIS3_NS6_6detail15normal_iteratorINS6_10device_ptrIjEEEENSD_INSE_IS9_EEEEjNS1_19radix_merge_compareILb0ELb1EjNS0_19identity_decomposerEEEEE10hipError_tT0_T1_T2_jT3_P12ihipStream_tbPNSt15iterator_traitsISN_E10value_typeEPNST_ISO_E10value_typeEPSP_NS1_7vsmem_tEENKUlT_SN_SO_SP_E_clIPjSG_PS9_SI_EESM_S12_SN_SO_SP_EUlS12_E1_NS1_11comp_targetILNS1_3genE10ELNS1_11target_archE1201ELNS1_3gpuE5ELNS1_3repE0EEENS1_36merge_oddeven_config_static_selectorELNS0_4arch9wavefront6targetE0EEEvSO_
; %bb.0:
	.section	.rodata,"a",@progbits
	.p2align	6, 0x0
	.amdhsa_kernel _ZN7rocprim17ROCPRIM_400000_NS6detail17trampoline_kernelINS0_14default_configENS1_38merge_sort_block_merge_config_selectorIjN6thrust23THRUST_200600_302600_NS5tupleIffNS6_9null_typeES8_S8_S8_S8_S8_S8_S8_EEEEZZNS1_27merge_sort_block_merge_implIS3_NS6_6detail15normal_iteratorINS6_10device_ptrIjEEEENSD_INSE_IS9_EEEEjNS1_19radix_merge_compareILb0ELb1EjNS0_19identity_decomposerEEEEE10hipError_tT0_T1_T2_jT3_P12ihipStream_tbPNSt15iterator_traitsISN_E10value_typeEPNST_ISO_E10value_typeEPSP_NS1_7vsmem_tEENKUlT_SN_SO_SP_E_clIPjSG_PS9_SI_EESM_S12_SN_SO_SP_EUlS12_E1_NS1_11comp_targetILNS1_3genE10ELNS1_11target_archE1201ELNS1_3gpuE5ELNS1_3repE0EEENS1_36merge_oddeven_config_static_selectorELNS0_4arch9wavefront6targetE0EEEvSO_
		.amdhsa_group_segment_fixed_size 0
		.amdhsa_private_segment_fixed_size 0
		.amdhsa_kernarg_size 48
		.amdhsa_user_sgpr_count 6
		.amdhsa_user_sgpr_private_segment_buffer 1
		.amdhsa_user_sgpr_dispatch_ptr 0
		.amdhsa_user_sgpr_queue_ptr 0
		.amdhsa_user_sgpr_kernarg_segment_ptr 1
		.amdhsa_user_sgpr_dispatch_id 0
		.amdhsa_user_sgpr_flat_scratch_init 0
		.amdhsa_user_sgpr_private_segment_size 0
		.amdhsa_wavefront_size32 1
		.amdhsa_uses_dynamic_stack 0
		.amdhsa_system_sgpr_private_segment_wavefront_offset 0
		.amdhsa_system_sgpr_workgroup_id_x 1
		.amdhsa_system_sgpr_workgroup_id_y 0
		.amdhsa_system_sgpr_workgroup_id_z 0
		.amdhsa_system_sgpr_workgroup_info 0
		.amdhsa_system_vgpr_workitem_id 0
		.amdhsa_next_free_vgpr 1
		.amdhsa_next_free_sgpr 1
		.amdhsa_reserve_vcc 0
		.amdhsa_reserve_flat_scratch 0
		.amdhsa_float_round_mode_32 0
		.amdhsa_float_round_mode_16_64 0
		.amdhsa_float_denorm_mode_32 3
		.amdhsa_float_denorm_mode_16_64 3
		.amdhsa_dx10_clamp 1
		.amdhsa_ieee_mode 1
		.amdhsa_fp16_overflow 0
		.amdhsa_workgroup_processor_mode 1
		.amdhsa_memory_ordered 1
		.amdhsa_forward_progress 1
		.amdhsa_shared_vgpr_count 0
		.amdhsa_exception_fp_ieee_invalid_op 0
		.amdhsa_exception_fp_denorm_src 0
		.amdhsa_exception_fp_ieee_div_zero 0
		.amdhsa_exception_fp_ieee_overflow 0
		.amdhsa_exception_fp_ieee_underflow 0
		.amdhsa_exception_fp_ieee_inexact 0
		.amdhsa_exception_int_div_zero 0
	.end_amdhsa_kernel
	.section	.text._ZN7rocprim17ROCPRIM_400000_NS6detail17trampoline_kernelINS0_14default_configENS1_38merge_sort_block_merge_config_selectorIjN6thrust23THRUST_200600_302600_NS5tupleIffNS6_9null_typeES8_S8_S8_S8_S8_S8_S8_EEEEZZNS1_27merge_sort_block_merge_implIS3_NS6_6detail15normal_iteratorINS6_10device_ptrIjEEEENSD_INSE_IS9_EEEEjNS1_19radix_merge_compareILb0ELb1EjNS0_19identity_decomposerEEEEE10hipError_tT0_T1_T2_jT3_P12ihipStream_tbPNSt15iterator_traitsISN_E10value_typeEPNST_ISO_E10value_typeEPSP_NS1_7vsmem_tEENKUlT_SN_SO_SP_E_clIPjSG_PS9_SI_EESM_S12_SN_SO_SP_EUlS12_E1_NS1_11comp_targetILNS1_3genE10ELNS1_11target_archE1201ELNS1_3gpuE5ELNS1_3repE0EEENS1_36merge_oddeven_config_static_selectorELNS0_4arch9wavefront6targetE0EEEvSO_,"axG",@progbits,_ZN7rocprim17ROCPRIM_400000_NS6detail17trampoline_kernelINS0_14default_configENS1_38merge_sort_block_merge_config_selectorIjN6thrust23THRUST_200600_302600_NS5tupleIffNS6_9null_typeES8_S8_S8_S8_S8_S8_S8_EEEEZZNS1_27merge_sort_block_merge_implIS3_NS6_6detail15normal_iteratorINS6_10device_ptrIjEEEENSD_INSE_IS9_EEEEjNS1_19radix_merge_compareILb0ELb1EjNS0_19identity_decomposerEEEEE10hipError_tT0_T1_T2_jT3_P12ihipStream_tbPNSt15iterator_traitsISN_E10value_typeEPNST_ISO_E10value_typeEPSP_NS1_7vsmem_tEENKUlT_SN_SO_SP_E_clIPjSG_PS9_SI_EESM_S12_SN_SO_SP_EUlS12_E1_NS1_11comp_targetILNS1_3genE10ELNS1_11target_archE1201ELNS1_3gpuE5ELNS1_3repE0EEENS1_36merge_oddeven_config_static_selectorELNS0_4arch9wavefront6targetE0EEEvSO_,comdat
.Lfunc_end108:
	.size	_ZN7rocprim17ROCPRIM_400000_NS6detail17trampoline_kernelINS0_14default_configENS1_38merge_sort_block_merge_config_selectorIjN6thrust23THRUST_200600_302600_NS5tupleIffNS6_9null_typeES8_S8_S8_S8_S8_S8_S8_EEEEZZNS1_27merge_sort_block_merge_implIS3_NS6_6detail15normal_iteratorINS6_10device_ptrIjEEEENSD_INSE_IS9_EEEEjNS1_19radix_merge_compareILb0ELb1EjNS0_19identity_decomposerEEEEE10hipError_tT0_T1_T2_jT3_P12ihipStream_tbPNSt15iterator_traitsISN_E10value_typeEPNST_ISO_E10value_typeEPSP_NS1_7vsmem_tEENKUlT_SN_SO_SP_E_clIPjSG_PS9_SI_EESM_S12_SN_SO_SP_EUlS12_E1_NS1_11comp_targetILNS1_3genE10ELNS1_11target_archE1201ELNS1_3gpuE5ELNS1_3repE0EEENS1_36merge_oddeven_config_static_selectorELNS0_4arch9wavefront6targetE0EEEvSO_, .Lfunc_end108-_ZN7rocprim17ROCPRIM_400000_NS6detail17trampoline_kernelINS0_14default_configENS1_38merge_sort_block_merge_config_selectorIjN6thrust23THRUST_200600_302600_NS5tupleIffNS6_9null_typeES8_S8_S8_S8_S8_S8_S8_EEEEZZNS1_27merge_sort_block_merge_implIS3_NS6_6detail15normal_iteratorINS6_10device_ptrIjEEEENSD_INSE_IS9_EEEEjNS1_19radix_merge_compareILb0ELb1EjNS0_19identity_decomposerEEEEE10hipError_tT0_T1_T2_jT3_P12ihipStream_tbPNSt15iterator_traitsISN_E10value_typeEPNST_ISO_E10value_typeEPSP_NS1_7vsmem_tEENKUlT_SN_SO_SP_E_clIPjSG_PS9_SI_EESM_S12_SN_SO_SP_EUlS12_E1_NS1_11comp_targetILNS1_3genE10ELNS1_11target_archE1201ELNS1_3gpuE5ELNS1_3repE0EEENS1_36merge_oddeven_config_static_selectorELNS0_4arch9wavefront6targetE0EEEvSO_
                                        ; -- End function
	.set _ZN7rocprim17ROCPRIM_400000_NS6detail17trampoline_kernelINS0_14default_configENS1_38merge_sort_block_merge_config_selectorIjN6thrust23THRUST_200600_302600_NS5tupleIffNS6_9null_typeES8_S8_S8_S8_S8_S8_S8_EEEEZZNS1_27merge_sort_block_merge_implIS3_NS6_6detail15normal_iteratorINS6_10device_ptrIjEEEENSD_INSE_IS9_EEEEjNS1_19radix_merge_compareILb0ELb1EjNS0_19identity_decomposerEEEEE10hipError_tT0_T1_T2_jT3_P12ihipStream_tbPNSt15iterator_traitsISN_E10value_typeEPNST_ISO_E10value_typeEPSP_NS1_7vsmem_tEENKUlT_SN_SO_SP_E_clIPjSG_PS9_SI_EESM_S12_SN_SO_SP_EUlS12_E1_NS1_11comp_targetILNS1_3genE10ELNS1_11target_archE1201ELNS1_3gpuE5ELNS1_3repE0EEENS1_36merge_oddeven_config_static_selectorELNS0_4arch9wavefront6targetE0EEEvSO_.num_vgpr, 0
	.set _ZN7rocprim17ROCPRIM_400000_NS6detail17trampoline_kernelINS0_14default_configENS1_38merge_sort_block_merge_config_selectorIjN6thrust23THRUST_200600_302600_NS5tupleIffNS6_9null_typeES8_S8_S8_S8_S8_S8_S8_EEEEZZNS1_27merge_sort_block_merge_implIS3_NS6_6detail15normal_iteratorINS6_10device_ptrIjEEEENSD_INSE_IS9_EEEEjNS1_19radix_merge_compareILb0ELb1EjNS0_19identity_decomposerEEEEE10hipError_tT0_T1_T2_jT3_P12ihipStream_tbPNSt15iterator_traitsISN_E10value_typeEPNST_ISO_E10value_typeEPSP_NS1_7vsmem_tEENKUlT_SN_SO_SP_E_clIPjSG_PS9_SI_EESM_S12_SN_SO_SP_EUlS12_E1_NS1_11comp_targetILNS1_3genE10ELNS1_11target_archE1201ELNS1_3gpuE5ELNS1_3repE0EEENS1_36merge_oddeven_config_static_selectorELNS0_4arch9wavefront6targetE0EEEvSO_.num_agpr, 0
	.set _ZN7rocprim17ROCPRIM_400000_NS6detail17trampoline_kernelINS0_14default_configENS1_38merge_sort_block_merge_config_selectorIjN6thrust23THRUST_200600_302600_NS5tupleIffNS6_9null_typeES8_S8_S8_S8_S8_S8_S8_EEEEZZNS1_27merge_sort_block_merge_implIS3_NS6_6detail15normal_iteratorINS6_10device_ptrIjEEEENSD_INSE_IS9_EEEEjNS1_19radix_merge_compareILb0ELb1EjNS0_19identity_decomposerEEEEE10hipError_tT0_T1_T2_jT3_P12ihipStream_tbPNSt15iterator_traitsISN_E10value_typeEPNST_ISO_E10value_typeEPSP_NS1_7vsmem_tEENKUlT_SN_SO_SP_E_clIPjSG_PS9_SI_EESM_S12_SN_SO_SP_EUlS12_E1_NS1_11comp_targetILNS1_3genE10ELNS1_11target_archE1201ELNS1_3gpuE5ELNS1_3repE0EEENS1_36merge_oddeven_config_static_selectorELNS0_4arch9wavefront6targetE0EEEvSO_.numbered_sgpr, 0
	.set _ZN7rocprim17ROCPRIM_400000_NS6detail17trampoline_kernelINS0_14default_configENS1_38merge_sort_block_merge_config_selectorIjN6thrust23THRUST_200600_302600_NS5tupleIffNS6_9null_typeES8_S8_S8_S8_S8_S8_S8_EEEEZZNS1_27merge_sort_block_merge_implIS3_NS6_6detail15normal_iteratorINS6_10device_ptrIjEEEENSD_INSE_IS9_EEEEjNS1_19radix_merge_compareILb0ELb1EjNS0_19identity_decomposerEEEEE10hipError_tT0_T1_T2_jT3_P12ihipStream_tbPNSt15iterator_traitsISN_E10value_typeEPNST_ISO_E10value_typeEPSP_NS1_7vsmem_tEENKUlT_SN_SO_SP_E_clIPjSG_PS9_SI_EESM_S12_SN_SO_SP_EUlS12_E1_NS1_11comp_targetILNS1_3genE10ELNS1_11target_archE1201ELNS1_3gpuE5ELNS1_3repE0EEENS1_36merge_oddeven_config_static_selectorELNS0_4arch9wavefront6targetE0EEEvSO_.num_named_barrier, 0
	.set _ZN7rocprim17ROCPRIM_400000_NS6detail17trampoline_kernelINS0_14default_configENS1_38merge_sort_block_merge_config_selectorIjN6thrust23THRUST_200600_302600_NS5tupleIffNS6_9null_typeES8_S8_S8_S8_S8_S8_S8_EEEEZZNS1_27merge_sort_block_merge_implIS3_NS6_6detail15normal_iteratorINS6_10device_ptrIjEEEENSD_INSE_IS9_EEEEjNS1_19radix_merge_compareILb0ELb1EjNS0_19identity_decomposerEEEEE10hipError_tT0_T1_T2_jT3_P12ihipStream_tbPNSt15iterator_traitsISN_E10value_typeEPNST_ISO_E10value_typeEPSP_NS1_7vsmem_tEENKUlT_SN_SO_SP_E_clIPjSG_PS9_SI_EESM_S12_SN_SO_SP_EUlS12_E1_NS1_11comp_targetILNS1_3genE10ELNS1_11target_archE1201ELNS1_3gpuE5ELNS1_3repE0EEENS1_36merge_oddeven_config_static_selectorELNS0_4arch9wavefront6targetE0EEEvSO_.private_seg_size, 0
	.set _ZN7rocprim17ROCPRIM_400000_NS6detail17trampoline_kernelINS0_14default_configENS1_38merge_sort_block_merge_config_selectorIjN6thrust23THRUST_200600_302600_NS5tupleIffNS6_9null_typeES8_S8_S8_S8_S8_S8_S8_EEEEZZNS1_27merge_sort_block_merge_implIS3_NS6_6detail15normal_iteratorINS6_10device_ptrIjEEEENSD_INSE_IS9_EEEEjNS1_19radix_merge_compareILb0ELb1EjNS0_19identity_decomposerEEEEE10hipError_tT0_T1_T2_jT3_P12ihipStream_tbPNSt15iterator_traitsISN_E10value_typeEPNST_ISO_E10value_typeEPSP_NS1_7vsmem_tEENKUlT_SN_SO_SP_E_clIPjSG_PS9_SI_EESM_S12_SN_SO_SP_EUlS12_E1_NS1_11comp_targetILNS1_3genE10ELNS1_11target_archE1201ELNS1_3gpuE5ELNS1_3repE0EEENS1_36merge_oddeven_config_static_selectorELNS0_4arch9wavefront6targetE0EEEvSO_.uses_vcc, 0
	.set _ZN7rocprim17ROCPRIM_400000_NS6detail17trampoline_kernelINS0_14default_configENS1_38merge_sort_block_merge_config_selectorIjN6thrust23THRUST_200600_302600_NS5tupleIffNS6_9null_typeES8_S8_S8_S8_S8_S8_S8_EEEEZZNS1_27merge_sort_block_merge_implIS3_NS6_6detail15normal_iteratorINS6_10device_ptrIjEEEENSD_INSE_IS9_EEEEjNS1_19radix_merge_compareILb0ELb1EjNS0_19identity_decomposerEEEEE10hipError_tT0_T1_T2_jT3_P12ihipStream_tbPNSt15iterator_traitsISN_E10value_typeEPNST_ISO_E10value_typeEPSP_NS1_7vsmem_tEENKUlT_SN_SO_SP_E_clIPjSG_PS9_SI_EESM_S12_SN_SO_SP_EUlS12_E1_NS1_11comp_targetILNS1_3genE10ELNS1_11target_archE1201ELNS1_3gpuE5ELNS1_3repE0EEENS1_36merge_oddeven_config_static_selectorELNS0_4arch9wavefront6targetE0EEEvSO_.uses_flat_scratch, 0
	.set _ZN7rocprim17ROCPRIM_400000_NS6detail17trampoline_kernelINS0_14default_configENS1_38merge_sort_block_merge_config_selectorIjN6thrust23THRUST_200600_302600_NS5tupleIffNS6_9null_typeES8_S8_S8_S8_S8_S8_S8_EEEEZZNS1_27merge_sort_block_merge_implIS3_NS6_6detail15normal_iteratorINS6_10device_ptrIjEEEENSD_INSE_IS9_EEEEjNS1_19radix_merge_compareILb0ELb1EjNS0_19identity_decomposerEEEEE10hipError_tT0_T1_T2_jT3_P12ihipStream_tbPNSt15iterator_traitsISN_E10value_typeEPNST_ISO_E10value_typeEPSP_NS1_7vsmem_tEENKUlT_SN_SO_SP_E_clIPjSG_PS9_SI_EESM_S12_SN_SO_SP_EUlS12_E1_NS1_11comp_targetILNS1_3genE10ELNS1_11target_archE1201ELNS1_3gpuE5ELNS1_3repE0EEENS1_36merge_oddeven_config_static_selectorELNS0_4arch9wavefront6targetE0EEEvSO_.has_dyn_sized_stack, 0
	.set _ZN7rocprim17ROCPRIM_400000_NS6detail17trampoline_kernelINS0_14default_configENS1_38merge_sort_block_merge_config_selectorIjN6thrust23THRUST_200600_302600_NS5tupleIffNS6_9null_typeES8_S8_S8_S8_S8_S8_S8_EEEEZZNS1_27merge_sort_block_merge_implIS3_NS6_6detail15normal_iteratorINS6_10device_ptrIjEEEENSD_INSE_IS9_EEEEjNS1_19radix_merge_compareILb0ELb1EjNS0_19identity_decomposerEEEEE10hipError_tT0_T1_T2_jT3_P12ihipStream_tbPNSt15iterator_traitsISN_E10value_typeEPNST_ISO_E10value_typeEPSP_NS1_7vsmem_tEENKUlT_SN_SO_SP_E_clIPjSG_PS9_SI_EESM_S12_SN_SO_SP_EUlS12_E1_NS1_11comp_targetILNS1_3genE10ELNS1_11target_archE1201ELNS1_3gpuE5ELNS1_3repE0EEENS1_36merge_oddeven_config_static_selectorELNS0_4arch9wavefront6targetE0EEEvSO_.has_recursion, 0
	.set _ZN7rocprim17ROCPRIM_400000_NS6detail17trampoline_kernelINS0_14default_configENS1_38merge_sort_block_merge_config_selectorIjN6thrust23THRUST_200600_302600_NS5tupleIffNS6_9null_typeES8_S8_S8_S8_S8_S8_S8_EEEEZZNS1_27merge_sort_block_merge_implIS3_NS6_6detail15normal_iteratorINS6_10device_ptrIjEEEENSD_INSE_IS9_EEEEjNS1_19radix_merge_compareILb0ELb1EjNS0_19identity_decomposerEEEEE10hipError_tT0_T1_T2_jT3_P12ihipStream_tbPNSt15iterator_traitsISN_E10value_typeEPNST_ISO_E10value_typeEPSP_NS1_7vsmem_tEENKUlT_SN_SO_SP_E_clIPjSG_PS9_SI_EESM_S12_SN_SO_SP_EUlS12_E1_NS1_11comp_targetILNS1_3genE10ELNS1_11target_archE1201ELNS1_3gpuE5ELNS1_3repE0EEENS1_36merge_oddeven_config_static_selectorELNS0_4arch9wavefront6targetE0EEEvSO_.has_indirect_call, 0
	.section	.AMDGPU.csdata,"",@progbits
; Kernel info:
; codeLenInByte = 0
; TotalNumSgprs: 0
; NumVgprs: 0
; ScratchSize: 0
; MemoryBound: 0
; FloatMode: 240
; IeeeMode: 1
; LDSByteSize: 0 bytes/workgroup (compile time only)
; SGPRBlocks: 0
; VGPRBlocks: 0
; NumSGPRsForWavesPerEU: 1
; NumVGPRsForWavesPerEU: 1
; Occupancy: 16
; WaveLimiterHint : 0
; COMPUTE_PGM_RSRC2:SCRATCH_EN: 0
; COMPUTE_PGM_RSRC2:USER_SGPR: 6
; COMPUTE_PGM_RSRC2:TRAP_HANDLER: 0
; COMPUTE_PGM_RSRC2:TGID_X_EN: 1
; COMPUTE_PGM_RSRC2:TGID_Y_EN: 0
; COMPUTE_PGM_RSRC2:TGID_Z_EN: 0
; COMPUTE_PGM_RSRC2:TIDIG_COMP_CNT: 0
	.section	.text._ZN7rocprim17ROCPRIM_400000_NS6detail17trampoline_kernelINS0_14default_configENS1_38merge_sort_block_merge_config_selectorIjN6thrust23THRUST_200600_302600_NS5tupleIffNS6_9null_typeES8_S8_S8_S8_S8_S8_S8_EEEEZZNS1_27merge_sort_block_merge_implIS3_NS6_6detail15normal_iteratorINS6_10device_ptrIjEEEENSD_INSE_IS9_EEEEjNS1_19radix_merge_compareILb0ELb1EjNS0_19identity_decomposerEEEEE10hipError_tT0_T1_T2_jT3_P12ihipStream_tbPNSt15iterator_traitsISN_E10value_typeEPNST_ISO_E10value_typeEPSP_NS1_7vsmem_tEENKUlT_SN_SO_SP_E_clIPjSG_PS9_SI_EESM_S12_SN_SO_SP_EUlS12_E1_NS1_11comp_targetILNS1_3genE5ELNS1_11target_archE942ELNS1_3gpuE9ELNS1_3repE0EEENS1_36merge_oddeven_config_static_selectorELNS0_4arch9wavefront6targetE0EEEvSO_,"axG",@progbits,_ZN7rocprim17ROCPRIM_400000_NS6detail17trampoline_kernelINS0_14default_configENS1_38merge_sort_block_merge_config_selectorIjN6thrust23THRUST_200600_302600_NS5tupleIffNS6_9null_typeES8_S8_S8_S8_S8_S8_S8_EEEEZZNS1_27merge_sort_block_merge_implIS3_NS6_6detail15normal_iteratorINS6_10device_ptrIjEEEENSD_INSE_IS9_EEEEjNS1_19radix_merge_compareILb0ELb1EjNS0_19identity_decomposerEEEEE10hipError_tT0_T1_T2_jT3_P12ihipStream_tbPNSt15iterator_traitsISN_E10value_typeEPNST_ISO_E10value_typeEPSP_NS1_7vsmem_tEENKUlT_SN_SO_SP_E_clIPjSG_PS9_SI_EESM_S12_SN_SO_SP_EUlS12_E1_NS1_11comp_targetILNS1_3genE5ELNS1_11target_archE942ELNS1_3gpuE9ELNS1_3repE0EEENS1_36merge_oddeven_config_static_selectorELNS0_4arch9wavefront6targetE0EEEvSO_,comdat
	.protected	_ZN7rocprim17ROCPRIM_400000_NS6detail17trampoline_kernelINS0_14default_configENS1_38merge_sort_block_merge_config_selectorIjN6thrust23THRUST_200600_302600_NS5tupleIffNS6_9null_typeES8_S8_S8_S8_S8_S8_S8_EEEEZZNS1_27merge_sort_block_merge_implIS3_NS6_6detail15normal_iteratorINS6_10device_ptrIjEEEENSD_INSE_IS9_EEEEjNS1_19radix_merge_compareILb0ELb1EjNS0_19identity_decomposerEEEEE10hipError_tT0_T1_T2_jT3_P12ihipStream_tbPNSt15iterator_traitsISN_E10value_typeEPNST_ISO_E10value_typeEPSP_NS1_7vsmem_tEENKUlT_SN_SO_SP_E_clIPjSG_PS9_SI_EESM_S12_SN_SO_SP_EUlS12_E1_NS1_11comp_targetILNS1_3genE5ELNS1_11target_archE942ELNS1_3gpuE9ELNS1_3repE0EEENS1_36merge_oddeven_config_static_selectorELNS0_4arch9wavefront6targetE0EEEvSO_ ; -- Begin function _ZN7rocprim17ROCPRIM_400000_NS6detail17trampoline_kernelINS0_14default_configENS1_38merge_sort_block_merge_config_selectorIjN6thrust23THRUST_200600_302600_NS5tupleIffNS6_9null_typeES8_S8_S8_S8_S8_S8_S8_EEEEZZNS1_27merge_sort_block_merge_implIS3_NS6_6detail15normal_iteratorINS6_10device_ptrIjEEEENSD_INSE_IS9_EEEEjNS1_19radix_merge_compareILb0ELb1EjNS0_19identity_decomposerEEEEE10hipError_tT0_T1_T2_jT3_P12ihipStream_tbPNSt15iterator_traitsISN_E10value_typeEPNST_ISO_E10value_typeEPSP_NS1_7vsmem_tEENKUlT_SN_SO_SP_E_clIPjSG_PS9_SI_EESM_S12_SN_SO_SP_EUlS12_E1_NS1_11comp_targetILNS1_3genE5ELNS1_11target_archE942ELNS1_3gpuE9ELNS1_3repE0EEENS1_36merge_oddeven_config_static_selectorELNS0_4arch9wavefront6targetE0EEEvSO_
	.globl	_ZN7rocprim17ROCPRIM_400000_NS6detail17trampoline_kernelINS0_14default_configENS1_38merge_sort_block_merge_config_selectorIjN6thrust23THRUST_200600_302600_NS5tupleIffNS6_9null_typeES8_S8_S8_S8_S8_S8_S8_EEEEZZNS1_27merge_sort_block_merge_implIS3_NS6_6detail15normal_iteratorINS6_10device_ptrIjEEEENSD_INSE_IS9_EEEEjNS1_19radix_merge_compareILb0ELb1EjNS0_19identity_decomposerEEEEE10hipError_tT0_T1_T2_jT3_P12ihipStream_tbPNSt15iterator_traitsISN_E10value_typeEPNST_ISO_E10value_typeEPSP_NS1_7vsmem_tEENKUlT_SN_SO_SP_E_clIPjSG_PS9_SI_EESM_S12_SN_SO_SP_EUlS12_E1_NS1_11comp_targetILNS1_3genE5ELNS1_11target_archE942ELNS1_3gpuE9ELNS1_3repE0EEENS1_36merge_oddeven_config_static_selectorELNS0_4arch9wavefront6targetE0EEEvSO_
	.p2align	8
	.type	_ZN7rocprim17ROCPRIM_400000_NS6detail17trampoline_kernelINS0_14default_configENS1_38merge_sort_block_merge_config_selectorIjN6thrust23THRUST_200600_302600_NS5tupleIffNS6_9null_typeES8_S8_S8_S8_S8_S8_S8_EEEEZZNS1_27merge_sort_block_merge_implIS3_NS6_6detail15normal_iteratorINS6_10device_ptrIjEEEENSD_INSE_IS9_EEEEjNS1_19radix_merge_compareILb0ELb1EjNS0_19identity_decomposerEEEEE10hipError_tT0_T1_T2_jT3_P12ihipStream_tbPNSt15iterator_traitsISN_E10value_typeEPNST_ISO_E10value_typeEPSP_NS1_7vsmem_tEENKUlT_SN_SO_SP_E_clIPjSG_PS9_SI_EESM_S12_SN_SO_SP_EUlS12_E1_NS1_11comp_targetILNS1_3genE5ELNS1_11target_archE942ELNS1_3gpuE9ELNS1_3repE0EEENS1_36merge_oddeven_config_static_selectorELNS0_4arch9wavefront6targetE0EEEvSO_,@function
_ZN7rocprim17ROCPRIM_400000_NS6detail17trampoline_kernelINS0_14default_configENS1_38merge_sort_block_merge_config_selectorIjN6thrust23THRUST_200600_302600_NS5tupleIffNS6_9null_typeES8_S8_S8_S8_S8_S8_S8_EEEEZZNS1_27merge_sort_block_merge_implIS3_NS6_6detail15normal_iteratorINS6_10device_ptrIjEEEENSD_INSE_IS9_EEEEjNS1_19radix_merge_compareILb0ELb1EjNS0_19identity_decomposerEEEEE10hipError_tT0_T1_T2_jT3_P12ihipStream_tbPNSt15iterator_traitsISN_E10value_typeEPNST_ISO_E10value_typeEPSP_NS1_7vsmem_tEENKUlT_SN_SO_SP_E_clIPjSG_PS9_SI_EESM_S12_SN_SO_SP_EUlS12_E1_NS1_11comp_targetILNS1_3genE5ELNS1_11target_archE942ELNS1_3gpuE9ELNS1_3repE0EEENS1_36merge_oddeven_config_static_selectorELNS0_4arch9wavefront6targetE0EEEvSO_: ; @_ZN7rocprim17ROCPRIM_400000_NS6detail17trampoline_kernelINS0_14default_configENS1_38merge_sort_block_merge_config_selectorIjN6thrust23THRUST_200600_302600_NS5tupleIffNS6_9null_typeES8_S8_S8_S8_S8_S8_S8_EEEEZZNS1_27merge_sort_block_merge_implIS3_NS6_6detail15normal_iteratorINS6_10device_ptrIjEEEENSD_INSE_IS9_EEEEjNS1_19radix_merge_compareILb0ELb1EjNS0_19identity_decomposerEEEEE10hipError_tT0_T1_T2_jT3_P12ihipStream_tbPNSt15iterator_traitsISN_E10value_typeEPNST_ISO_E10value_typeEPSP_NS1_7vsmem_tEENKUlT_SN_SO_SP_E_clIPjSG_PS9_SI_EESM_S12_SN_SO_SP_EUlS12_E1_NS1_11comp_targetILNS1_3genE5ELNS1_11target_archE942ELNS1_3gpuE9ELNS1_3repE0EEENS1_36merge_oddeven_config_static_selectorELNS0_4arch9wavefront6targetE0EEEvSO_
; %bb.0:
	.section	.rodata,"a",@progbits
	.p2align	6, 0x0
	.amdhsa_kernel _ZN7rocprim17ROCPRIM_400000_NS6detail17trampoline_kernelINS0_14default_configENS1_38merge_sort_block_merge_config_selectorIjN6thrust23THRUST_200600_302600_NS5tupleIffNS6_9null_typeES8_S8_S8_S8_S8_S8_S8_EEEEZZNS1_27merge_sort_block_merge_implIS3_NS6_6detail15normal_iteratorINS6_10device_ptrIjEEEENSD_INSE_IS9_EEEEjNS1_19radix_merge_compareILb0ELb1EjNS0_19identity_decomposerEEEEE10hipError_tT0_T1_T2_jT3_P12ihipStream_tbPNSt15iterator_traitsISN_E10value_typeEPNST_ISO_E10value_typeEPSP_NS1_7vsmem_tEENKUlT_SN_SO_SP_E_clIPjSG_PS9_SI_EESM_S12_SN_SO_SP_EUlS12_E1_NS1_11comp_targetILNS1_3genE5ELNS1_11target_archE942ELNS1_3gpuE9ELNS1_3repE0EEENS1_36merge_oddeven_config_static_selectorELNS0_4arch9wavefront6targetE0EEEvSO_
		.amdhsa_group_segment_fixed_size 0
		.amdhsa_private_segment_fixed_size 0
		.amdhsa_kernarg_size 48
		.amdhsa_user_sgpr_count 6
		.amdhsa_user_sgpr_private_segment_buffer 1
		.amdhsa_user_sgpr_dispatch_ptr 0
		.amdhsa_user_sgpr_queue_ptr 0
		.amdhsa_user_sgpr_kernarg_segment_ptr 1
		.amdhsa_user_sgpr_dispatch_id 0
		.amdhsa_user_sgpr_flat_scratch_init 0
		.amdhsa_user_sgpr_private_segment_size 0
		.amdhsa_wavefront_size32 1
		.amdhsa_uses_dynamic_stack 0
		.amdhsa_system_sgpr_private_segment_wavefront_offset 0
		.amdhsa_system_sgpr_workgroup_id_x 1
		.amdhsa_system_sgpr_workgroup_id_y 0
		.amdhsa_system_sgpr_workgroup_id_z 0
		.amdhsa_system_sgpr_workgroup_info 0
		.amdhsa_system_vgpr_workitem_id 0
		.amdhsa_next_free_vgpr 1
		.amdhsa_next_free_sgpr 1
		.amdhsa_reserve_vcc 0
		.amdhsa_reserve_flat_scratch 0
		.amdhsa_float_round_mode_32 0
		.amdhsa_float_round_mode_16_64 0
		.amdhsa_float_denorm_mode_32 3
		.amdhsa_float_denorm_mode_16_64 3
		.amdhsa_dx10_clamp 1
		.amdhsa_ieee_mode 1
		.amdhsa_fp16_overflow 0
		.amdhsa_workgroup_processor_mode 1
		.amdhsa_memory_ordered 1
		.amdhsa_forward_progress 1
		.amdhsa_shared_vgpr_count 0
		.amdhsa_exception_fp_ieee_invalid_op 0
		.amdhsa_exception_fp_denorm_src 0
		.amdhsa_exception_fp_ieee_div_zero 0
		.amdhsa_exception_fp_ieee_overflow 0
		.amdhsa_exception_fp_ieee_underflow 0
		.amdhsa_exception_fp_ieee_inexact 0
		.amdhsa_exception_int_div_zero 0
	.end_amdhsa_kernel
	.section	.text._ZN7rocprim17ROCPRIM_400000_NS6detail17trampoline_kernelINS0_14default_configENS1_38merge_sort_block_merge_config_selectorIjN6thrust23THRUST_200600_302600_NS5tupleIffNS6_9null_typeES8_S8_S8_S8_S8_S8_S8_EEEEZZNS1_27merge_sort_block_merge_implIS3_NS6_6detail15normal_iteratorINS6_10device_ptrIjEEEENSD_INSE_IS9_EEEEjNS1_19radix_merge_compareILb0ELb1EjNS0_19identity_decomposerEEEEE10hipError_tT0_T1_T2_jT3_P12ihipStream_tbPNSt15iterator_traitsISN_E10value_typeEPNST_ISO_E10value_typeEPSP_NS1_7vsmem_tEENKUlT_SN_SO_SP_E_clIPjSG_PS9_SI_EESM_S12_SN_SO_SP_EUlS12_E1_NS1_11comp_targetILNS1_3genE5ELNS1_11target_archE942ELNS1_3gpuE9ELNS1_3repE0EEENS1_36merge_oddeven_config_static_selectorELNS0_4arch9wavefront6targetE0EEEvSO_,"axG",@progbits,_ZN7rocprim17ROCPRIM_400000_NS6detail17trampoline_kernelINS0_14default_configENS1_38merge_sort_block_merge_config_selectorIjN6thrust23THRUST_200600_302600_NS5tupleIffNS6_9null_typeES8_S8_S8_S8_S8_S8_S8_EEEEZZNS1_27merge_sort_block_merge_implIS3_NS6_6detail15normal_iteratorINS6_10device_ptrIjEEEENSD_INSE_IS9_EEEEjNS1_19radix_merge_compareILb0ELb1EjNS0_19identity_decomposerEEEEE10hipError_tT0_T1_T2_jT3_P12ihipStream_tbPNSt15iterator_traitsISN_E10value_typeEPNST_ISO_E10value_typeEPSP_NS1_7vsmem_tEENKUlT_SN_SO_SP_E_clIPjSG_PS9_SI_EESM_S12_SN_SO_SP_EUlS12_E1_NS1_11comp_targetILNS1_3genE5ELNS1_11target_archE942ELNS1_3gpuE9ELNS1_3repE0EEENS1_36merge_oddeven_config_static_selectorELNS0_4arch9wavefront6targetE0EEEvSO_,comdat
.Lfunc_end109:
	.size	_ZN7rocprim17ROCPRIM_400000_NS6detail17trampoline_kernelINS0_14default_configENS1_38merge_sort_block_merge_config_selectorIjN6thrust23THRUST_200600_302600_NS5tupleIffNS6_9null_typeES8_S8_S8_S8_S8_S8_S8_EEEEZZNS1_27merge_sort_block_merge_implIS3_NS6_6detail15normal_iteratorINS6_10device_ptrIjEEEENSD_INSE_IS9_EEEEjNS1_19radix_merge_compareILb0ELb1EjNS0_19identity_decomposerEEEEE10hipError_tT0_T1_T2_jT3_P12ihipStream_tbPNSt15iterator_traitsISN_E10value_typeEPNST_ISO_E10value_typeEPSP_NS1_7vsmem_tEENKUlT_SN_SO_SP_E_clIPjSG_PS9_SI_EESM_S12_SN_SO_SP_EUlS12_E1_NS1_11comp_targetILNS1_3genE5ELNS1_11target_archE942ELNS1_3gpuE9ELNS1_3repE0EEENS1_36merge_oddeven_config_static_selectorELNS0_4arch9wavefront6targetE0EEEvSO_, .Lfunc_end109-_ZN7rocprim17ROCPRIM_400000_NS6detail17trampoline_kernelINS0_14default_configENS1_38merge_sort_block_merge_config_selectorIjN6thrust23THRUST_200600_302600_NS5tupleIffNS6_9null_typeES8_S8_S8_S8_S8_S8_S8_EEEEZZNS1_27merge_sort_block_merge_implIS3_NS6_6detail15normal_iteratorINS6_10device_ptrIjEEEENSD_INSE_IS9_EEEEjNS1_19radix_merge_compareILb0ELb1EjNS0_19identity_decomposerEEEEE10hipError_tT0_T1_T2_jT3_P12ihipStream_tbPNSt15iterator_traitsISN_E10value_typeEPNST_ISO_E10value_typeEPSP_NS1_7vsmem_tEENKUlT_SN_SO_SP_E_clIPjSG_PS9_SI_EESM_S12_SN_SO_SP_EUlS12_E1_NS1_11comp_targetILNS1_3genE5ELNS1_11target_archE942ELNS1_3gpuE9ELNS1_3repE0EEENS1_36merge_oddeven_config_static_selectorELNS0_4arch9wavefront6targetE0EEEvSO_
                                        ; -- End function
	.set _ZN7rocprim17ROCPRIM_400000_NS6detail17trampoline_kernelINS0_14default_configENS1_38merge_sort_block_merge_config_selectorIjN6thrust23THRUST_200600_302600_NS5tupleIffNS6_9null_typeES8_S8_S8_S8_S8_S8_S8_EEEEZZNS1_27merge_sort_block_merge_implIS3_NS6_6detail15normal_iteratorINS6_10device_ptrIjEEEENSD_INSE_IS9_EEEEjNS1_19radix_merge_compareILb0ELb1EjNS0_19identity_decomposerEEEEE10hipError_tT0_T1_T2_jT3_P12ihipStream_tbPNSt15iterator_traitsISN_E10value_typeEPNST_ISO_E10value_typeEPSP_NS1_7vsmem_tEENKUlT_SN_SO_SP_E_clIPjSG_PS9_SI_EESM_S12_SN_SO_SP_EUlS12_E1_NS1_11comp_targetILNS1_3genE5ELNS1_11target_archE942ELNS1_3gpuE9ELNS1_3repE0EEENS1_36merge_oddeven_config_static_selectorELNS0_4arch9wavefront6targetE0EEEvSO_.num_vgpr, 0
	.set _ZN7rocprim17ROCPRIM_400000_NS6detail17trampoline_kernelINS0_14default_configENS1_38merge_sort_block_merge_config_selectorIjN6thrust23THRUST_200600_302600_NS5tupleIffNS6_9null_typeES8_S8_S8_S8_S8_S8_S8_EEEEZZNS1_27merge_sort_block_merge_implIS3_NS6_6detail15normal_iteratorINS6_10device_ptrIjEEEENSD_INSE_IS9_EEEEjNS1_19radix_merge_compareILb0ELb1EjNS0_19identity_decomposerEEEEE10hipError_tT0_T1_T2_jT3_P12ihipStream_tbPNSt15iterator_traitsISN_E10value_typeEPNST_ISO_E10value_typeEPSP_NS1_7vsmem_tEENKUlT_SN_SO_SP_E_clIPjSG_PS9_SI_EESM_S12_SN_SO_SP_EUlS12_E1_NS1_11comp_targetILNS1_3genE5ELNS1_11target_archE942ELNS1_3gpuE9ELNS1_3repE0EEENS1_36merge_oddeven_config_static_selectorELNS0_4arch9wavefront6targetE0EEEvSO_.num_agpr, 0
	.set _ZN7rocprim17ROCPRIM_400000_NS6detail17trampoline_kernelINS0_14default_configENS1_38merge_sort_block_merge_config_selectorIjN6thrust23THRUST_200600_302600_NS5tupleIffNS6_9null_typeES8_S8_S8_S8_S8_S8_S8_EEEEZZNS1_27merge_sort_block_merge_implIS3_NS6_6detail15normal_iteratorINS6_10device_ptrIjEEEENSD_INSE_IS9_EEEEjNS1_19radix_merge_compareILb0ELb1EjNS0_19identity_decomposerEEEEE10hipError_tT0_T1_T2_jT3_P12ihipStream_tbPNSt15iterator_traitsISN_E10value_typeEPNST_ISO_E10value_typeEPSP_NS1_7vsmem_tEENKUlT_SN_SO_SP_E_clIPjSG_PS9_SI_EESM_S12_SN_SO_SP_EUlS12_E1_NS1_11comp_targetILNS1_3genE5ELNS1_11target_archE942ELNS1_3gpuE9ELNS1_3repE0EEENS1_36merge_oddeven_config_static_selectorELNS0_4arch9wavefront6targetE0EEEvSO_.numbered_sgpr, 0
	.set _ZN7rocprim17ROCPRIM_400000_NS6detail17trampoline_kernelINS0_14default_configENS1_38merge_sort_block_merge_config_selectorIjN6thrust23THRUST_200600_302600_NS5tupleIffNS6_9null_typeES8_S8_S8_S8_S8_S8_S8_EEEEZZNS1_27merge_sort_block_merge_implIS3_NS6_6detail15normal_iteratorINS6_10device_ptrIjEEEENSD_INSE_IS9_EEEEjNS1_19radix_merge_compareILb0ELb1EjNS0_19identity_decomposerEEEEE10hipError_tT0_T1_T2_jT3_P12ihipStream_tbPNSt15iterator_traitsISN_E10value_typeEPNST_ISO_E10value_typeEPSP_NS1_7vsmem_tEENKUlT_SN_SO_SP_E_clIPjSG_PS9_SI_EESM_S12_SN_SO_SP_EUlS12_E1_NS1_11comp_targetILNS1_3genE5ELNS1_11target_archE942ELNS1_3gpuE9ELNS1_3repE0EEENS1_36merge_oddeven_config_static_selectorELNS0_4arch9wavefront6targetE0EEEvSO_.num_named_barrier, 0
	.set _ZN7rocprim17ROCPRIM_400000_NS6detail17trampoline_kernelINS0_14default_configENS1_38merge_sort_block_merge_config_selectorIjN6thrust23THRUST_200600_302600_NS5tupleIffNS6_9null_typeES8_S8_S8_S8_S8_S8_S8_EEEEZZNS1_27merge_sort_block_merge_implIS3_NS6_6detail15normal_iteratorINS6_10device_ptrIjEEEENSD_INSE_IS9_EEEEjNS1_19radix_merge_compareILb0ELb1EjNS0_19identity_decomposerEEEEE10hipError_tT0_T1_T2_jT3_P12ihipStream_tbPNSt15iterator_traitsISN_E10value_typeEPNST_ISO_E10value_typeEPSP_NS1_7vsmem_tEENKUlT_SN_SO_SP_E_clIPjSG_PS9_SI_EESM_S12_SN_SO_SP_EUlS12_E1_NS1_11comp_targetILNS1_3genE5ELNS1_11target_archE942ELNS1_3gpuE9ELNS1_3repE0EEENS1_36merge_oddeven_config_static_selectorELNS0_4arch9wavefront6targetE0EEEvSO_.private_seg_size, 0
	.set _ZN7rocprim17ROCPRIM_400000_NS6detail17trampoline_kernelINS0_14default_configENS1_38merge_sort_block_merge_config_selectorIjN6thrust23THRUST_200600_302600_NS5tupleIffNS6_9null_typeES8_S8_S8_S8_S8_S8_S8_EEEEZZNS1_27merge_sort_block_merge_implIS3_NS6_6detail15normal_iteratorINS6_10device_ptrIjEEEENSD_INSE_IS9_EEEEjNS1_19radix_merge_compareILb0ELb1EjNS0_19identity_decomposerEEEEE10hipError_tT0_T1_T2_jT3_P12ihipStream_tbPNSt15iterator_traitsISN_E10value_typeEPNST_ISO_E10value_typeEPSP_NS1_7vsmem_tEENKUlT_SN_SO_SP_E_clIPjSG_PS9_SI_EESM_S12_SN_SO_SP_EUlS12_E1_NS1_11comp_targetILNS1_3genE5ELNS1_11target_archE942ELNS1_3gpuE9ELNS1_3repE0EEENS1_36merge_oddeven_config_static_selectorELNS0_4arch9wavefront6targetE0EEEvSO_.uses_vcc, 0
	.set _ZN7rocprim17ROCPRIM_400000_NS6detail17trampoline_kernelINS0_14default_configENS1_38merge_sort_block_merge_config_selectorIjN6thrust23THRUST_200600_302600_NS5tupleIffNS6_9null_typeES8_S8_S8_S8_S8_S8_S8_EEEEZZNS1_27merge_sort_block_merge_implIS3_NS6_6detail15normal_iteratorINS6_10device_ptrIjEEEENSD_INSE_IS9_EEEEjNS1_19radix_merge_compareILb0ELb1EjNS0_19identity_decomposerEEEEE10hipError_tT0_T1_T2_jT3_P12ihipStream_tbPNSt15iterator_traitsISN_E10value_typeEPNST_ISO_E10value_typeEPSP_NS1_7vsmem_tEENKUlT_SN_SO_SP_E_clIPjSG_PS9_SI_EESM_S12_SN_SO_SP_EUlS12_E1_NS1_11comp_targetILNS1_3genE5ELNS1_11target_archE942ELNS1_3gpuE9ELNS1_3repE0EEENS1_36merge_oddeven_config_static_selectorELNS0_4arch9wavefront6targetE0EEEvSO_.uses_flat_scratch, 0
	.set _ZN7rocprim17ROCPRIM_400000_NS6detail17trampoline_kernelINS0_14default_configENS1_38merge_sort_block_merge_config_selectorIjN6thrust23THRUST_200600_302600_NS5tupleIffNS6_9null_typeES8_S8_S8_S8_S8_S8_S8_EEEEZZNS1_27merge_sort_block_merge_implIS3_NS6_6detail15normal_iteratorINS6_10device_ptrIjEEEENSD_INSE_IS9_EEEEjNS1_19radix_merge_compareILb0ELb1EjNS0_19identity_decomposerEEEEE10hipError_tT0_T1_T2_jT3_P12ihipStream_tbPNSt15iterator_traitsISN_E10value_typeEPNST_ISO_E10value_typeEPSP_NS1_7vsmem_tEENKUlT_SN_SO_SP_E_clIPjSG_PS9_SI_EESM_S12_SN_SO_SP_EUlS12_E1_NS1_11comp_targetILNS1_3genE5ELNS1_11target_archE942ELNS1_3gpuE9ELNS1_3repE0EEENS1_36merge_oddeven_config_static_selectorELNS0_4arch9wavefront6targetE0EEEvSO_.has_dyn_sized_stack, 0
	.set _ZN7rocprim17ROCPRIM_400000_NS6detail17trampoline_kernelINS0_14default_configENS1_38merge_sort_block_merge_config_selectorIjN6thrust23THRUST_200600_302600_NS5tupleIffNS6_9null_typeES8_S8_S8_S8_S8_S8_S8_EEEEZZNS1_27merge_sort_block_merge_implIS3_NS6_6detail15normal_iteratorINS6_10device_ptrIjEEEENSD_INSE_IS9_EEEEjNS1_19radix_merge_compareILb0ELb1EjNS0_19identity_decomposerEEEEE10hipError_tT0_T1_T2_jT3_P12ihipStream_tbPNSt15iterator_traitsISN_E10value_typeEPNST_ISO_E10value_typeEPSP_NS1_7vsmem_tEENKUlT_SN_SO_SP_E_clIPjSG_PS9_SI_EESM_S12_SN_SO_SP_EUlS12_E1_NS1_11comp_targetILNS1_3genE5ELNS1_11target_archE942ELNS1_3gpuE9ELNS1_3repE0EEENS1_36merge_oddeven_config_static_selectorELNS0_4arch9wavefront6targetE0EEEvSO_.has_recursion, 0
	.set _ZN7rocprim17ROCPRIM_400000_NS6detail17trampoline_kernelINS0_14default_configENS1_38merge_sort_block_merge_config_selectorIjN6thrust23THRUST_200600_302600_NS5tupleIffNS6_9null_typeES8_S8_S8_S8_S8_S8_S8_EEEEZZNS1_27merge_sort_block_merge_implIS3_NS6_6detail15normal_iteratorINS6_10device_ptrIjEEEENSD_INSE_IS9_EEEEjNS1_19radix_merge_compareILb0ELb1EjNS0_19identity_decomposerEEEEE10hipError_tT0_T1_T2_jT3_P12ihipStream_tbPNSt15iterator_traitsISN_E10value_typeEPNST_ISO_E10value_typeEPSP_NS1_7vsmem_tEENKUlT_SN_SO_SP_E_clIPjSG_PS9_SI_EESM_S12_SN_SO_SP_EUlS12_E1_NS1_11comp_targetILNS1_3genE5ELNS1_11target_archE942ELNS1_3gpuE9ELNS1_3repE0EEENS1_36merge_oddeven_config_static_selectorELNS0_4arch9wavefront6targetE0EEEvSO_.has_indirect_call, 0
	.section	.AMDGPU.csdata,"",@progbits
; Kernel info:
; codeLenInByte = 0
; TotalNumSgprs: 0
; NumVgprs: 0
; ScratchSize: 0
; MemoryBound: 0
; FloatMode: 240
; IeeeMode: 1
; LDSByteSize: 0 bytes/workgroup (compile time only)
; SGPRBlocks: 0
; VGPRBlocks: 0
; NumSGPRsForWavesPerEU: 1
; NumVGPRsForWavesPerEU: 1
; Occupancy: 16
; WaveLimiterHint : 0
; COMPUTE_PGM_RSRC2:SCRATCH_EN: 0
; COMPUTE_PGM_RSRC2:USER_SGPR: 6
; COMPUTE_PGM_RSRC2:TRAP_HANDLER: 0
; COMPUTE_PGM_RSRC2:TGID_X_EN: 1
; COMPUTE_PGM_RSRC2:TGID_Y_EN: 0
; COMPUTE_PGM_RSRC2:TGID_Z_EN: 0
; COMPUTE_PGM_RSRC2:TIDIG_COMP_CNT: 0
	.section	.text._ZN7rocprim17ROCPRIM_400000_NS6detail17trampoline_kernelINS0_14default_configENS1_38merge_sort_block_merge_config_selectorIjN6thrust23THRUST_200600_302600_NS5tupleIffNS6_9null_typeES8_S8_S8_S8_S8_S8_S8_EEEEZZNS1_27merge_sort_block_merge_implIS3_NS6_6detail15normal_iteratorINS6_10device_ptrIjEEEENSD_INSE_IS9_EEEEjNS1_19radix_merge_compareILb0ELb1EjNS0_19identity_decomposerEEEEE10hipError_tT0_T1_T2_jT3_P12ihipStream_tbPNSt15iterator_traitsISN_E10value_typeEPNST_ISO_E10value_typeEPSP_NS1_7vsmem_tEENKUlT_SN_SO_SP_E_clIPjSG_PS9_SI_EESM_S12_SN_SO_SP_EUlS12_E1_NS1_11comp_targetILNS1_3genE4ELNS1_11target_archE910ELNS1_3gpuE8ELNS1_3repE0EEENS1_36merge_oddeven_config_static_selectorELNS0_4arch9wavefront6targetE0EEEvSO_,"axG",@progbits,_ZN7rocprim17ROCPRIM_400000_NS6detail17trampoline_kernelINS0_14default_configENS1_38merge_sort_block_merge_config_selectorIjN6thrust23THRUST_200600_302600_NS5tupleIffNS6_9null_typeES8_S8_S8_S8_S8_S8_S8_EEEEZZNS1_27merge_sort_block_merge_implIS3_NS6_6detail15normal_iteratorINS6_10device_ptrIjEEEENSD_INSE_IS9_EEEEjNS1_19radix_merge_compareILb0ELb1EjNS0_19identity_decomposerEEEEE10hipError_tT0_T1_T2_jT3_P12ihipStream_tbPNSt15iterator_traitsISN_E10value_typeEPNST_ISO_E10value_typeEPSP_NS1_7vsmem_tEENKUlT_SN_SO_SP_E_clIPjSG_PS9_SI_EESM_S12_SN_SO_SP_EUlS12_E1_NS1_11comp_targetILNS1_3genE4ELNS1_11target_archE910ELNS1_3gpuE8ELNS1_3repE0EEENS1_36merge_oddeven_config_static_selectorELNS0_4arch9wavefront6targetE0EEEvSO_,comdat
	.protected	_ZN7rocprim17ROCPRIM_400000_NS6detail17trampoline_kernelINS0_14default_configENS1_38merge_sort_block_merge_config_selectorIjN6thrust23THRUST_200600_302600_NS5tupleIffNS6_9null_typeES8_S8_S8_S8_S8_S8_S8_EEEEZZNS1_27merge_sort_block_merge_implIS3_NS6_6detail15normal_iteratorINS6_10device_ptrIjEEEENSD_INSE_IS9_EEEEjNS1_19radix_merge_compareILb0ELb1EjNS0_19identity_decomposerEEEEE10hipError_tT0_T1_T2_jT3_P12ihipStream_tbPNSt15iterator_traitsISN_E10value_typeEPNST_ISO_E10value_typeEPSP_NS1_7vsmem_tEENKUlT_SN_SO_SP_E_clIPjSG_PS9_SI_EESM_S12_SN_SO_SP_EUlS12_E1_NS1_11comp_targetILNS1_3genE4ELNS1_11target_archE910ELNS1_3gpuE8ELNS1_3repE0EEENS1_36merge_oddeven_config_static_selectorELNS0_4arch9wavefront6targetE0EEEvSO_ ; -- Begin function _ZN7rocprim17ROCPRIM_400000_NS6detail17trampoline_kernelINS0_14default_configENS1_38merge_sort_block_merge_config_selectorIjN6thrust23THRUST_200600_302600_NS5tupleIffNS6_9null_typeES8_S8_S8_S8_S8_S8_S8_EEEEZZNS1_27merge_sort_block_merge_implIS3_NS6_6detail15normal_iteratorINS6_10device_ptrIjEEEENSD_INSE_IS9_EEEEjNS1_19radix_merge_compareILb0ELb1EjNS0_19identity_decomposerEEEEE10hipError_tT0_T1_T2_jT3_P12ihipStream_tbPNSt15iterator_traitsISN_E10value_typeEPNST_ISO_E10value_typeEPSP_NS1_7vsmem_tEENKUlT_SN_SO_SP_E_clIPjSG_PS9_SI_EESM_S12_SN_SO_SP_EUlS12_E1_NS1_11comp_targetILNS1_3genE4ELNS1_11target_archE910ELNS1_3gpuE8ELNS1_3repE0EEENS1_36merge_oddeven_config_static_selectorELNS0_4arch9wavefront6targetE0EEEvSO_
	.globl	_ZN7rocprim17ROCPRIM_400000_NS6detail17trampoline_kernelINS0_14default_configENS1_38merge_sort_block_merge_config_selectorIjN6thrust23THRUST_200600_302600_NS5tupleIffNS6_9null_typeES8_S8_S8_S8_S8_S8_S8_EEEEZZNS1_27merge_sort_block_merge_implIS3_NS6_6detail15normal_iteratorINS6_10device_ptrIjEEEENSD_INSE_IS9_EEEEjNS1_19radix_merge_compareILb0ELb1EjNS0_19identity_decomposerEEEEE10hipError_tT0_T1_T2_jT3_P12ihipStream_tbPNSt15iterator_traitsISN_E10value_typeEPNST_ISO_E10value_typeEPSP_NS1_7vsmem_tEENKUlT_SN_SO_SP_E_clIPjSG_PS9_SI_EESM_S12_SN_SO_SP_EUlS12_E1_NS1_11comp_targetILNS1_3genE4ELNS1_11target_archE910ELNS1_3gpuE8ELNS1_3repE0EEENS1_36merge_oddeven_config_static_selectorELNS0_4arch9wavefront6targetE0EEEvSO_
	.p2align	8
	.type	_ZN7rocprim17ROCPRIM_400000_NS6detail17trampoline_kernelINS0_14default_configENS1_38merge_sort_block_merge_config_selectorIjN6thrust23THRUST_200600_302600_NS5tupleIffNS6_9null_typeES8_S8_S8_S8_S8_S8_S8_EEEEZZNS1_27merge_sort_block_merge_implIS3_NS6_6detail15normal_iteratorINS6_10device_ptrIjEEEENSD_INSE_IS9_EEEEjNS1_19radix_merge_compareILb0ELb1EjNS0_19identity_decomposerEEEEE10hipError_tT0_T1_T2_jT3_P12ihipStream_tbPNSt15iterator_traitsISN_E10value_typeEPNST_ISO_E10value_typeEPSP_NS1_7vsmem_tEENKUlT_SN_SO_SP_E_clIPjSG_PS9_SI_EESM_S12_SN_SO_SP_EUlS12_E1_NS1_11comp_targetILNS1_3genE4ELNS1_11target_archE910ELNS1_3gpuE8ELNS1_3repE0EEENS1_36merge_oddeven_config_static_selectorELNS0_4arch9wavefront6targetE0EEEvSO_,@function
_ZN7rocprim17ROCPRIM_400000_NS6detail17trampoline_kernelINS0_14default_configENS1_38merge_sort_block_merge_config_selectorIjN6thrust23THRUST_200600_302600_NS5tupleIffNS6_9null_typeES8_S8_S8_S8_S8_S8_S8_EEEEZZNS1_27merge_sort_block_merge_implIS3_NS6_6detail15normal_iteratorINS6_10device_ptrIjEEEENSD_INSE_IS9_EEEEjNS1_19radix_merge_compareILb0ELb1EjNS0_19identity_decomposerEEEEE10hipError_tT0_T1_T2_jT3_P12ihipStream_tbPNSt15iterator_traitsISN_E10value_typeEPNST_ISO_E10value_typeEPSP_NS1_7vsmem_tEENKUlT_SN_SO_SP_E_clIPjSG_PS9_SI_EESM_S12_SN_SO_SP_EUlS12_E1_NS1_11comp_targetILNS1_3genE4ELNS1_11target_archE910ELNS1_3gpuE8ELNS1_3repE0EEENS1_36merge_oddeven_config_static_selectorELNS0_4arch9wavefront6targetE0EEEvSO_: ; @_ZN7rocprim17ROCPRIM_400000_NS6detail17trampoline_kernelINS0_14default_configENS1_38merge_sort_block_merge_config_selectorIjN6thrust23THRUST_200600_302600_NS5tupleIffNS6_9null_typeES8_S8_S8_S8_S8_S8_S8_EEEEZZNS1_27merge_sort_block_merge_implIS3_NS6_6detail15normal_iteratorINS6_10device_ptrIjEEEENSD_INSE_IS9_EEEEjNS1_19radix_merge_compareILb0ELb1EjNS0_19identity_decomposerEEEEE10hipError_tT0_T1_T2_jT3_P12ihipStream_tbPNSt15iterator_traitsISN_E10value_typeEPNST_ISO_E10value_typeEPSP_NS1_7vsmem_tEENKUlT_SN_SO_SP_E_clIPjSG_PS9_SI_EESM_S12_SN_SO_SP_EUlS12_E1_NS1_11comp_targetILNS1_3genE4ELNS1_11target_archE910ELNS1_3gpuE8ELNS1_3repE0EEENS1_36merge_oddeven_config_static_selectorELNS0_4arch9wavefront6targetE0EEEvSO_
; %bb.0:
	.section	.rodata,"a",@progbits
	.p2align	6, 0x0
	.amdhsa_kernel _ZN7rocprim17ROCPRIM_400000_NS6detail17trampoline_kernelINS0_14default_configENS1_38merge_sort_block_merge_config_selectorIjN6thrust23THRUST_200600_302600_NS5tupleIffNS6_9null_typeES8_S8_S8_S8_S8_S8_S8_EEEEZZNS1_27merge_sort_block_merge_implIS3_NS6_6detail15normal_iteratorINS6_10device_ptrIjEEEENSD_INSE_IS9_EEEEjNS1_19radix_merge_compareILb0ELb1EjNS0_19identity_decomposerEEEEE10hipError_tT0_T1_T2_jT3_P12ihipStream_tbPNSt15iterator_traitsISN_E10value_typeEPNST_ISO_E10value_typeEPSP_NS1_7vsmem_tEENKUlT_SN_SO_SP_E_clIPjSG_PS9_SI_EESM_S12_SN_SO_SP_EUlS12_E1_NS1_11comp_targetILNS1_3genE4ELNS1_11target_archE910ELNS1_3gpuE8ELNS1_3repE0EEENS1_36merge_oddeven_config_static_selectorELNS0_4arch9wavefront6targetE0EEEvSO_
		.amdhsa_group_segment_fixed_size 0
		.amdhsa_private_segment_fixed_size 0
		.amdhsa_kernarg_size 48
		.amdhsa_user_sgpr_count 6
		.amdhsa_user_sgpr_private_segment_buffer 1
		.amdhsa_user_sgpr_dispatch_ptr 0
		.amdhsa_user_sgpr_queue_ptr 0
		.amdhsa_user_sgpr_kernarg_segment_ptr 1
		.amdhsa_user_sgpr_dispatch_id 0
		.amdhsa_user_sgpr_flat_scratch_init 0
		.amdhsa_user_sgpr_private_segment_size 0
		.amdhsa_wavefront_size32 1
		.amdhsa_uses_dynamic_stack 0
		.amdhsa_system_sgpr_private_segment_wavefront_offset 0
		.amdhsa_system_sgpr_workgroup_id_x 1
		.amdhsa_system_sgpr_workgroup_id_y 0
		.amdhsa_system_sgpr_workgroup_id_z 0
		.amdhsa_system_sgpr_workgroup_info 0
		.amdhsa_system_vgpr_workitem_id 0
		.amdhsa_next_free_vgpr 1
		.amdhsa_next_free_sgpr 1
		.amdhsa_reserve_vcc 0
		.amdhsa_reserve_flat_scratch 0
		.amdhsa_float_round_mode_32 0
		.amdhsa_float_round_mode_16_64 0
		.amdhsa_float_denorm_mode_32 3
		.amdhsa_float_denorm_mode_16_64 3
		.amdhsa_dx10_clamp 1
		.amdhsa_ieee_mode 1
		.amdhsa_fp16_overflow 0
		.amdhsa_workgroup_processor_mode 1
		.amdhsa_memory_ordered 1
		.amdhsa_forward_progress 1
		.amdhsa_shared_vgpr_count 0
		.amdhsa_exception_fp_ieee_invalid_op 0
		.amdhsa_exception_fp_denorm_src 0
		.amdhsa_exception_fp_ieee_div_zero 0
		.amdhsa_exception_fp_ieee_overflow 0
		.amdhsa_exception_fp_ieee_underflow 0
		.amdhsa_exception_fp_ieee_inexact 0
		.amdhsa_exception_int_div_zero 0
	.end_amdhsa_kernel
	.section	.text._ZN7rocprim17ROCPRIM_400000_NS6detail17trampoline_kernelINS0_14default_configENS1_38merge_sort_block_merge_config_selectorIjN6thrust23THRUST_200600_302600_NS5tupleIffNS6_9null_typeES8_S8_S8_S8_S8_S8_S8_EEEEZZNS1_27merge_sort_block_merge_implIS3_NS6_6detail15normal_iteratorINS6_10device_ptrIjEEEENSD_INSE_IS9_EEEEjNS1_19radix_merge_compareILb0ELb1EjNS0_19identity_decomposerEEEEE10hipError_tT0_T1_T2_jT3_P12ihipStream_tbPNSt15iterator_traitsISN_E10value_typeEPNST_ISO_E10value_typeEPSP_NS1_7vsmem_tEENKUlT_SN_SO_SP_E_clIPjSG_PS9_SI_EESM_S12_SN_SO_SP_EUlS12_E1_NS1_11comp_targetILNS1_3genE4ELNS1_11target_archE910ELNS1_3gpuE8ELNS1_3repE0EEENS1_36merge_oddeven_config_static_selectorELNS0_4arch9wavefront6targetE0EEEvSO_,"axG",@progbits,_ZN7rocprim17ROCPRIM_400000_NS6detail17trampoline_kernelINS0_14default_configENS1_38merge_sort_block_merge_config_selectorIjN6thrust23THRUST_200600_302600_NS5tupleIffNS6_9null_typeES8_S8_S8_S8_S8_S8_S8_EEEEZZNS1_27merge_sort_block_merge_implIS3_NS6_6detail15normal_iteratorINS6_10device_ptrIjEEEENSD_INSE_IS9_EEEEjNS1_19radix_merge_compareILb0ELb1EjNS0_19identity_decomposerEEEEE10hipError_tT0_T1_T2_jT3_P12ihipStream_tbPNSt15iterator_traitsISN_E10value_typeEPNST_ISO_E10value_typeEPSP_NS1_7vsmem_tEENKUlT_SN_SO_SP_E_clIPjSG_PS9_SI_EESM_S12_SN_SO_SP_EUlS12_E1_NS1_11comp_targetILNS1_3genE4ELNS1_11target_archE910ELNS1_3gpuE8ELNS1_3repE0EEENS1_36merge_oddeven_config_static_selectorELNS0_4arch9wavefront6targetE0EEEvSO_,comdat
.Lfunc_end110:
	.size	_ZN7rocprim17ROCPRIM_400000_NS6detail17trampoline_kernelINS0_14default_configENS1_38merge_sort_block_merge_config_selectorIjN6thrust23THRUST_200600_302600_NS5tupleIffNS6_9null_typeES8_S8_S8_S8_S8_S8_S8_EEEEZZNS1_27merge_sort_block_merge_implIS3_NS6_6detail15normal_iteratorINS6_10device_ptrIjEEEENSD_INSE_IS9_EEEEjNS1_19radix_merge_compareILb0ELb1EjNS0_19identity_decomposerEEEEE10hipError_tT0_T1_T2_jT3_P12ihipStream_tbPNSt15iterator_traitsISN_E10value_typeEPNST_ISO_E10value_typeEPSP_NS1_7vsmem_tEENKUlT_SN_SO_SP_E_clIPjSG_PS9_SI_EESM_S12_SN_SO_SP_EUlS12_E1_NS1_11comp_targetILNS1_3genE4ELNS1_11target_archE910ELNS1_3gpuE8ELNS1_3repE0EEENS1_36merge_oddeven_config_static_selectorELNS0_4arch9wavefront6targetE0EEEvSO_, .Lfunc_end110-_ZN7rocprim17ROCPRIM_400000_NS6detail17trampoline_kernelINS0_14default_configENS1_38merge_sort_block_merge_config_selectorIjN6thrust23THRUST_200600_302600_NS5tupleIffNS6_9null_typeES8_S8_S8_S8_S8_S8_S8_EEEEZZNS1_27merge_sort_block_merge_implIS3_NS6_6detail15normal_iteratorINS6_10device_ptrIjEEEENSD_INSE_IS9_EEEEjNS1_19radix_merge_compareILb0ELb1EjNS0_19identity_decomposerEEEEE10hipError_tT0_T1_T2_jT3_P12ihipStream_tbPNSt15iterator_traitsISN_E10value_typeEPNST_ISO_E10value_typeEPSP_NS1_7vsmem_tEENKUlT_SN_SO_SP_E_clIPjSG_PS9_SI_EESM_S12_SN_SO_SP_EUlS12_E1_NS1_11comp_targetILNS1_3genE4ELNS1_11target_archE910ELNS1_3gpuE8ELNS1_3repE0EEENS1_36merge_oddeven_config_static_selectorELNS0_4arch9wavefront6targetE0EEEvSO_
                                        ; -- End function
	.set _ZN7rocprim17ROCPRIM_400000_NS6detail17trampoline_kernelINS0_14default_configENS1_38merge_sort_block_merge_config_selectorIjN6thrust23THRUST_200600_302600_NS5tupleIffNS6_9null_typeES8_S8_S8_S8_S8_S8_S8_EEEEZZNS1_27merge_sort_block_merge_implIS3_NS6_6detail15normal_iteratorINS6_10device_ptrIjEEEENSD_INSE_IS9_EEEEjNS1_19radix_merge_compareILb0ELb1EjNS0_19identity_decomposerEEEEE10hipError_tT0_T1_T2_jT3_P12ihipStream_tbPNSt15iterator_traitsISN_E10value_typeEPNST_ISO_E10value_typeEPSP_NS1_7vsmem_tEENKUlT_SN_SO_SP_E_clIPjSG_PS9_SI_EESM_S12_SN_SO_SP_EUlS12_E1_NS1_11comp_targetILNS1_3genE4ELNS1_11target_archE910ELNS1_3gpuE8ELNS1_3repE0EEENS1_36merge_oddeven_config_static_selectorELNS0_4arch9wavefront6targetE0EEEvSO_.num_vgpr, 0
	.set _ZN7rocprim17ROCPRIM_400000_NS6detail17trampoline_kernelINS0_14default_configENS1_38merge_sort_block_merge_config_selectorIjN6thrust23THRUST_200600_302600_NS5tupleIffNS6_9null_typeES8_S8_S8_S8_S8_S8_S8_EEEEZZNS1_27merge_sort_block_merge_implIS3_NS6_6detail15normal_iteratorINS6_10device_ptrIjEEEENSD_INSE_IS9_EEEEjNS1_19radix_merge_compareILb0ELb1EjNS0_19identity_decomposerEEEEE10hipError_tT0_T1_T2_jT3_P12ihipStream_tbPNSt15iterator_traitsISN_E10value_typeEPNST_ISO_E10value_typeEPSP_NS1_7vsmem_tEENKUlT_SN_SO_SP_E_clIPjSG_PS9_SI_EESM_S12_SN_SO_SP_EUlS12_E1_NS1_11comp_targetILNS1_3genE4ELNS1_11target_archE910ELNS1_3gpuE8ELNS1_3repE0EEENS1_36merge_oddeven_config_static_selectorELNS0_4arch9wavefront6targetE0EEEvSO_.num_agpr, 0
	.set _ZN7rocprim17ROCPRIM_400000_NS6detail17trampoline_kernelINS0_14default_configENS1_38merge_sort_block_merge_config_selectorIjN6thrust23THRUST_200600_302600_NS5tupleIffNS6_9null_typeES8_S8_S8_S8_S8_S8_S8_EEEEZZNS1_27merge_sort_block_merge_implIS3_NS6_6detail15normal_iteratorINS6_10device_ptrIjEEEENSD_INSE_IS9_EEEEjNS1_19radix_merge_compareILb0ELb1EjNS0_19identity_decomposerEEEEE10hipError_tT0_T1_T2_jT3_P12ihipStream_tbPNSt15iterator_traitsISN_E10value_typeEPNST_ISO_E10value_typeEPSP_NS1_7vsmem_tEENKUlT_SN_SO_SP_E_clIPjSG_PS9_SI_EESM_S12_SN_SO_SP_EUlS12_E1_NS1_11comp_targetILNS1_3genE4ELNS1_11target_archE910ELNS1_3gpuE8ELNS1_3repE0EEENS1_36merge_oddeven_config_static_selectorELNS0_4arch9wavefront6targetE0EEEvSO_.numbered_sgpr, 0
	.set _ZN7rocprim17ROCPRIM_400000_NS6detail17trampoline_kernelINS0_14default_configENS1_38merge_sort_block_merge_config_selectorIjN6thrust23THRUST_200600_302600_NS5tupleIffNS6_9null_typeES8_S8_S8_S8_S8_S8_S8_EEEEZZNS1_27merge_sort_block_merge_implIS3_NS6_6detail15normal_iteratorINS6_10device_ptrIjEEEENSD_INSE_IS9_EEEEjNS1_19radix_merge_compareILb0ELb1EjNS0_19identity_decomposerEEEEE10hipError_tT0_T1_T2_jT3_P12ihipStream_tbPNSt15iterator_traitsISN_E10value_typeEPNST_ISO_E10value_typeEPSP_NS1_7vsmem_tEENKUlT_SN_SO_SP_E_clIPjSG_PS9_SI_EESM_S12_SN_SO_SP_EUlS12_E1_NS1_11comp_targetILNS1_3genE4ELNS1_11target_archE910ELNS1_3gpuE8ELNS1_3repE0EEENS1_36merge_oddeven_config_static_selectorELNS0_4arch9wavefront6targetE0EEEvSO_.num_named_barrier, 0
	.set _ZN7rocprim17ROCPRIM_400000_NS6detail17trampoline_kernelINS0_14default_configENS1_38merge_sort_block_merge_config_selectorIjN6thrust23THRUST_200600_302600_NS5tupleIffNS6_9null_typeES8_S8_S8_S8_S8_S8_S8_EEEEZZNS1_27merge_sort_block_merge_implIS3_NS6_6detail15normal_iteratorINS6_10device_ptrIjEEEENSD_INSE_IS9_EEEEjNS1_19radix_merge_compareILb0ELb1EjNS0_19identity_decomposerEEEEE10hipError_tT0_T1_T2_jT3_P12ihipStream_tbPNSt15iterator_traitsISN_E10value_typeEPNST_ISO_E10value_typeEPSP_NS1_7vsmem_tEENKUlT_SN_SO_SP_E_clIPjSG_PS9_SI_EESM_S12_SN_SO_SP_EUlS12_E1_NS1_11comp_targetILNS1_3genE4ELNS1_11target_archE910ELNS1_3gpuE8ELNS1_3repE0EEENS1_36merge_oddeven_config_static_selectorELNS0_4arch9wavefront6targetE0EEEvSO_.private_seg_size, 0
	.set _ZN7rocprim17ROCPRIM_400000_NS6detail17trampoline_kernelINS0_14default_configENS1_38merge_sort_block_merge_config_selectorIjN6thrust23THRUST_200600_302600_NS5tupleIffNS6_9null_typeES8_S8_S8_S8_S8_S8_S8_EEEEZZNS1_27merge_sort_block_merge_implIS3_NS6_6detail15normal_iteratorINS6_10device_ptrIjEEEENSD_INSE_IS9_EEEEjNS1_19radix_merge_compareILb0ELb1EjNS0_19identity_decomposerEEEEE10hipError_tT0_T1_T2_jT3_P12ihipStream_tbPNSt15iterator_traitsISN_E10value_typeEPNST_ISO_E10value_typeEPSP_NS1_7vsmem_tEENKUlT_SN_SO_SP_E_clIPjSG_PS9_SI_EESM_S12_SN_SO_SP_EUlS12_E1_NS1_11comp_targetILNS1_3genE4ELNS1_11target_archE910ELNS1_3gpuE8ELNS1_3repE0EEENS1_36merge_oddeven_config_static_selectorELNS0_4arch9wavefront6targetE0EEEvSO_.uses_vcc, 0
	.set _ZN7rocprim17ROCPRIM_400000_NS6detail17trampoline_kernelINS0_14default_configENS1_38merge_sort_block_merge_config_selectorIjN6thrust23THRUST_200600_302600_NS5tupleIffNS6_9null_typeES8_S8_S8_S8_S8_S8_S8_EEEEZZNS1_27merge_sort_block_merge_implIS3_NS6_6detail15normal_iteratorINS6_10device_ptrIjEEEENSD_INSE_IS9_EEEEjNS1_19radix_merge_compareILb0ELb1EjNS0_19identity_decomposerEEEEE10hipError_tT0_T1_T2_jT3_P12ihipStream_tbPNSt15iterator_traitsISN_E10value_typeEPNST_ISO_E10value_typeEPSP_NS1_7vsmem_tEENKUlT_SN_SO_SP_E_clIPjSG_PS9_SI_EESM_S12_SN_SO_SP_EUlS12_E1_NS1_11comp_targetILNS1_3genE4ELNS1_11target_archE910ELNS1_3gpuE8ELNS1_3repE0EEENS1_36merge_oddeven_config_static_selectorELNS0_4arch9wavefront6targetE0EEEvSO_.uses_flat_scratch, 0
	.set _ZN7rocprim17ROCPRIM_400000_NS6detail17trampoline_kernelINS0_14default_configENS1_38merge_sort_block_merge_config_selectorIjN6thrust23THRUST_200600_302600_NS5tupleIffNS6_9null_typeES8_S8_S8_S8_S8_S8_S8_EEEEZZNS1_27merge_sort_block_merge_implIS3_NS6_6detail15normal_iteratorINS6_10device_ptrIjEEEENSD_INSE_IS9_EEEEjNS1_19radix_merge_compareILb0ELb1EjNS0_19identity_decomposerEEEEE10hipError_tT0_T1_T2_jT3_P12ihipStream_tbPNSt15iterator_traitsISN_E10value_typeEPNST_ISO_E10value_typeEPSP_NS1_7vsmem_tEENKUlT_SN_SO_SP_E_clIPjSG_PS9_SI_EESM_S12_SN_SO_SP_EUlS12_E1_NS1_11comp_targetILNS1_3genE4ELNS1_11target_archE910ELNS1_3gpuE8ELNS1_3repE0EEENS1_36merge_oddeven_config_static_selectorELNS0_4arch9wavefront6targetE0EEEvSO_.has_dyn_sized_stack, 0
	.set _ZN7rocprim17ROCPRIM_400000_NS6detail17trampoline_kernelINS0_14default_configENS1_38merge_sort_block_merge_config_selectorIjN6thrust23THRUST_200600_302600_NS5tupleIffNS6_9null_typeES8_S8_S8_S8_S8_S8_S8_EEEEZZNS1_27merge_sort_block_merge_implIS3_NS6_6detail15normal_iteratorINS6_10device_ptrIjEEEENSD_INSE_IS9_EEEEjNS1_19radix_merge_compareILb0ELb1EjNS0_19identity_decomposerEEEEE10hipError_tT0_T1_T2_jT3_P12ihipStream_tbPNSt15iterator_traitsISN_E10value_typeEPNST_ISO_E10value_typeEPSP_NS1_7vsmem_tEENKUlT_SN_SO_SP_E_clIPjSG_PS9_SI_EESM_S12_SN_SO_SP_EUlS12_E1_NS1_11comp_targetILNS1_3genE4ELNS1_11target_archE910ELNS1_3gpuE8ELNS1_3repE0EEENS1_36merge_oddeven_config_static_selectorELNS0_4arch9wavefront6targetE0EEEvSO_.has_recursion, 0
	.set _ZN7rocprim17ROCPRIM_400000_NS6detail17trampoline_kernelINS0_14default_configENS1_38merge_sort_block_merge_config_selectorIjN6thrust23THRUST_200600_302600_NS5tupleIffNS6_9null_typeES8_S8_S8_S8_S8_S8_S8_EEEEZZNS1_27merge_sort_block_merge_implIS3_NS6_6detail15normal_iteratorINS6_10device_ptrIjEEEENSD_INSE_IS9_EEEEjNS1_19radix_merge_compareILb0ELb1EjNS0_19identity_decomposerEEEEE10hipError_tT0_T1_T2_jT3_P12ihipStream_tbPNSt15iterator_traitsISN_E10value_typeEPNST_ISO_E10value_typeEPSP_NS1_7vsmem_tEENKUlT_SN_SO_SP_E_clIPjSG_PS9_SI_EESM_S12_SN_SO_SP_EUlS12_E1_NS1_11comp_targetILNS1_3genE4ELNS1_11target_archE910ELNS1_3gpuE8ELNS1_3repE0EEENS1_36merge_oddeven_config_static_selectorELNS0_4arch9wavefront6targetE0EEEvSO_.has_indirect_call, 0
	.section	.AMDGPU.csdata,"",@progbits
; Kernel info:
; codeLenInByte = 0
; TotalNumSgprs: 0
; NumVgprs: 0
; ScratchSize: 0
; MemoryBound: 0
; FloatMode: 240
; IeeeMode: 1
; LDSByteSize: 0 bytes/workgroup (compile time only)
; SGPRBlocks: 0
; VGPRBlocks: 0
; NumSGPRsForWavesPerEU: 1
; NumVGPRsForWavesPerEU: 1
; Occupancy: 16
; WaveLimiterHint : 0
; COMPUTE_PGM_RSRC2:SCRATCH_EN: 0
; COMPUTE_PGM_RSRC2:USER_SGPR: 6
; COMPUTE_PGM_RSRC2:TRAP_HANDLER: 0
; COMPUTE_PGM_RSRC2:TGID_X_EN: 1
; COMPUTE_PGM_RSRC2:TGID_Y_EN: 0
; COMPUTE_PGM_RSRC2:TGID_Z_EN: 0
; COMPUTE_PGM_RSRC2:TIDIG_COMP_CNT: 0
	.section	.text._ZN7rocprim17ROCPRIM_400000_NS6detail17trampoline_kernelINS0_14default_configENS1_38merge_sort_block_merge_config_selectorIjN6thrust23THRUST_200600_302600_NS5tupleIffNS6_9null_typeES8_S8_S8_S8_S8_S8_S8_EEEEZZNS1_27merge_sort_block_merge_implIS3_NS6_6detail15normal_iteratorINS6_10device_ptrIjEEEENSD_INSE_IS9_EEEEjNS1_19radix_merge_compareILb0ELb1EjNS0_19identity_decomposerEEEEE10hipError_tT0_T1_T2_jT3_P12ihipStream_tbPNSt15iterator_traitsISN_E10value_typeEPNST_ISO_E10value_typeEPSP_NS1_7vsmem_tEENKUlT_SN_SO_SP_E_clIPjSG_PS9_SI_EESM_S12_SN_SO_SP_EUlS12_E1_NS1_11comp_targetILNS1_3genE3ELNS1_11target_archE908ELNS1_3gpuE7ELNS1_3repE0EEENS1_36merge_oddeven_config_static_selectorELNS0_4arch9wavefront6targetE0EEEvSO_,"axG",@progbits,_ZN7rocprim17ROCPRIM_400000_NS6detail17trampoline_kernelINS0_14default_configENS1_38merge_sort_block_merge_config_selectorIjN6thrust23THRUST_200600_302600_NS5tupleIffNS6_9null_typeES8_S8_S8_S8_S8_S8_S8_EEEEZZNS1_27merge_sort_block_merge_implIS3_NS6_6detail15normal_iteratorINS6_10device_ptrIjEEEENSD_INSE_IS9_EEEEjNS1_19radix_merge_compareILb0ELb1EjNS0_19identity_decomposerEEEEE10hipError_tT0_T1_T2_jT3_P12ihipStream_tbPNSt15iterator_traitsISN_E10value_typeEPNST_ISO_E10value_typeEPSP_NS1_7vsmem_tEENKUlT_SN_SO_SP_E_clIPjSG_PS9_SI_EESM_S12_SN_SO_SP_EUlS12_E1_NS1_11comp_targetILNS1_3genE3ELNS1_11target_archE908ELNS1_3gpuE7ELNS1_3repE0EEENS1_36merge_oddeven_config_static_selectorELNS0_4arch9wavefront6targetE0EEEvSO_,comdat
	.protected	_ZN7rocprim17ROCPRIM_400000_NS6detail17trampoline_kernelINS0_14default_configENS1_38merge_sort_block_merge_config_selectorIjN6thrust23THRUST_200600_302600_NS5tupleIffNS6_9null_typeES8_S8_S8_S8_S8_S8_S8_EEEEZZNS1_27merge_sort_block_merge_implIS3_NS6_6detail15normal_iteratorINS6_10device_ptrIjEEEENSD_INSE_IS9_EEEEjNS1_19radix_merge_compareILb0ELb1EjNS0_19identity_decomposerEEEEE10hipError_tT0_T1_T2_jT3_P12ihipStream_tbPNSt15iterator_traitsISN_E10value_typeEPNST_ISO_E10value_typeEPSP_NS1_7vsmem_tEENKUlT_SN_SO_SP_E_clIPjSG_PS9_SI_EESM_S12_SN_SO_SP_EUlS12_E1_NS1_11comp_targetILNS1_3genE3ELNS1_11target_archE908ELNS1_3gpuE7ELNS1_3repE0EEENS1_36merge_oddeven_config_static_selectorELNS0_4arch9wavefront6targetE0EEEvSO_ ; -- Begin function _ZN7rocprim17ROCPRIM_400000_NS6detail17trampoline_kernelINS0_14default_configENS1_38merge_sort_block_merge_config_selectorIjN6thrust23THRUST_200600_302600_NS5tupleIffNS6_9null_typeES8_S8_S8_S8_S8_S8_S8_EEEEZZNS1_27merge_sort_block_merge_implIS3_NS6_6detail15normal_iteratorINS6_10device_ptrIjEEEENSD_INSE_IS9_EEEEjNS1_19radix_merge_compareILb0ELb1EjNS0_19identity_decomposerEEEEE10hipError_tT0_T1_T2_jT3_P12ihipStream_tbPNSt15iterator_traitsISN_E10value_typeEPNST_ISO_E10value_typeEPSP_NS1_7vsmem_tEENKUlT_SN_SO_SP_E_clIPjSG_PS9_SI_EESM_S12_SN_SO_SP_EUlS12_E1_NS1_11comp_targetILNS1_3genE3ELNS1_11target_archE908ELNS1_3gpuE7ELNS1_3repE0EEENS1_36merge_oddeven_config_static_selectorELNS0_4arch9wavefront6targetE0EEEvSO_
	.globl	_ZN7rocprim17ROCPRIM_400000_NS6detail17trampoline_kernelINS0_14default_configENS1_38merge_sort_block_merge_config_selectorIjN6thrust23THRUST_200600_302600_NS5tupleIffNS6_9null_typeES8_S8_S8_S8_S8_S8_S8_EEEEZZNS1_27merge_sort_block_merge_implIS3_NS6_6detail15normal_iteratorINS6_10device_ptrIjEEEENSD_INSE_IS9_EEEEjNS1_19radix_merge_compareILb0ELb1EjNS0_19identity_decomposerEEEEE10hipError_tT0_T1_T2_jT3_P12ihipStream_tbPNSt15iterator_traitsISN_E10value_typeEPNST_ISO_E10value_typeEPSP_NS1_7vsmem_tEENKUlT_SN_SO_SP_E_clIPjSG_PS9_SI_EESM_S12_SN_SO_SP_EUlS12_E1_NS1_11comp_targetILNS1_3genE3ELNS1_11target_archE908ELNS1_3gpuE7ELNS1_3repE0EEENS1_36merge_oddeven_config_static_selectorELNS0_4arch9wavefront6targetE0EEEvSO_
	.p2align	8
	.type	_ZN7rocprim17ROCPRIM_400000_NS6detail17trampoline_kernelINS0_14default_configENS1_38merge_sort_block_merge_config_selectorIjN6thrust23THRUST_200600_302600_NS5tupleIffNS6_9null_typeES8_S8_S8_S8_S8_S8_S8_EEEEZZNS1_27merge_sort_block_merge_implIS3_NS6_6detail15normal_iteratorINS6_10device_ptrIjEEEENSD_INSE_IS9_EEEEjNS1_19radix_merge_compareILb0ELb1EjNS0_19identity_decomposerEEEEE10hipError_tT0_T1_T2_jT3_P12ihipStream_tbPNSt15iterator_traitsISN_E10value_typeEPNST_ISO_E10value_typeEPSP_NS1_7vsmem_tEENKUlT_SN_SO_SP_E_clIPjSG_PS9_SI_EESM_S12_SN_SO_SP_EUlS12_E1_NS1_11comp_targetILNS1_3genE3ELNS1_11target_archE908ELNS1_3gpuE7ELNS1_3repE0EEENS1_36merge_oddeven_config_static_selectorELNS0_4arch9wavefront6targetE0EEEvSO_,@function
_ZN7rocprim17ROCPRIM_400000_NS6detail17trampoline_kernelINS0_14default_configENS1_38merge_sort_block_merge_config_selectorIjN6thrust23THRUST_200600_302600_NS5tupleIffNS6_9null_typeES8_S8_S8_S8_S8_S8_S8_EEEEZZNS1_27merge_sort_block_merge_implIS3_NS6_6detail15normal_iteratorINS6_10device_ptrIjEEEENSD_INSE_IS9_EEEEjNS1_19radix_merge_compareILb0ELb1EjNS0_19identity_decomposerEEEEE10hipError_tT0_T1_T2_jT3_P12ihipStream_tbPNSt15iterator_traitsISN_E10value_typeEPNST_ISO_E10value_typeEPSP_NS1_7vsmem_tEENKUlT_SN_SO_SP_E_clIPjSG_PS9_SI_EESM_S12_SN_SO_SP_EUlS12_E1_NS1_11comp_targetILNS1_3genE3ELNS1_11target_archE908ELNS1_3gpuE7ELNS1_3repE0EEENS1_36merge_oddeven_config_static_selectorELNS0_4arch9wavefront6targetE0EEEvSO_: ; @_ZN7rocprim17ROCPRIM_400000_NS6detail17trampoline_kernelINS0_14default_configENS1_38merge_sort_block_merge_config_selectorIjN6thrust23THRUST_200600_302600_NS5tupleIffNS6_9null_typeES8_S8_S8_S8_S8_S8_S8_EEEEZZNS1_27merge_sort_block_merge_implIS3_NS6_6detail15normal_iteratorINS6_10device_ptrIjEEEENSD_INSE_IS9_EEEEjNS1_19radix_merge_compareILb0ELb1EjNS0_19identity_decomposerEEEEE10hipError_tT0_T1_T2_jT3_P12ihipStream_tbPNSt15iterator_traitsISN_E10value_typeEPNST_ISO_E10value_typeEPSP_NS1_7vsmem_tEENKUlT_SN_SO_SP_E_clIPjSG_PS9_SI_EESM_S12_SN_SO_SP_EUlS12_E1_NS1_11comp_targetILNS1_3genE3ELNS1_11target_archE908ELNS1_3gpuE7ELNS1_3repE0EEENS1_36merge_oddeven_config_static_selectorELNS0_4arch9wavefront6targetE0EEEvSO_
; %bb.0:
	.section	.rodata,"a",@progbits
	.p2align	6, 0x0
	.amdhsa_kernel _ZN7rocprim17ROCPRIM_400000_NS6detail17trampoline_kernelINS0_14default_configENS1_38merge_sort_block_merge_config_selectorIjN6thrust23THRUST_200600_302600_NS5tupleIffNS6_9null_typeES8_S8_S8_S8_S8_S8_S8_EEEEZZNS1_27merge_sort_block_merge_implIS3_NS6_6detail15normal_iteratorINS6_10device_ptrIjEEEENSD_INSE_IS9_EEEEjNS1_19radix_merge_compareILb0ELb1EjNS0_19identity_decomposerEEEEE10hipError_tT0_T1_T2_jT3_P12ihipStream_tbPNSt15iterator_traitsISN_E10value_typeEPNST_ISO_E10value_typeEPSP_NS1_7vsmem_tEENKUlT_SN_SO_SP_E_clIPjSG_PS9_SI_EESM_S12_SN_SO_SP_EUlS12_E1_NS1_11comp_targetILNS1_3genE3ELNS1_11target_archE908ELNS1_3gpuE7ELNS1_3repE0EEENS1_36merge_oddeven_config_static_selectorELNS0_4arch9wavefront6targetE0EEEvSO_
		.amdhsa_group_segment_fixed_size 0
		.amdhsa_private_segment_fixed_size 0
		.amdhsa_kernarg_size 48
		.amdhsa_user_sgpr_count 6
		.amdhsa_user_sgpr_private_segment_buffer 1
		.amdhsa_user_sgpr_dispatch_ptr 0
		.amdhsa_user_sgpr_queue_ptr 0
		.amdhsa_user_sgpr_kernarg_segment_ptr 1
		.amdhsa_user_sgpr_dispatch_id 0
		.amdhsa_user_sgpr_flat_scratch_init 0
		.amdhsa_user_sgpr_private_segment_size 0
		.amdhsa_wavefront_size32 1
		.amdhsa_uses_dynamic_stack 0
		.amdhsa_system_sgpr_private_segment_wavefront_offset 0
		.amdhsa_system_sgpr_workgroup_id_x 1
		.amdhsa_system_sgpr_workgroup_id_y 0
		.amdhsa_system_sgpr_workgroup_id_z 0
		.amdhsa_system_sgpr_workgroup_info 0
		.amdhsa_system_vgpr_workitem_id 0
		.amdhsa_next_free_vgpr 1
		.amdhsa_next_free_sgpr 1
		.amdhsa_reserve_vcc 0
		.amdhsa_reserve_flat_scratch 0
		.amdhsa_float_round_mode_32 0
		.amdhsa_float_round_mode_16_64 0
		.amdhsa_float_denorm_mode_32 3
		.amdhsa_float_denorm_mode_16_64 3
		.amdhsa_dx10_clamp 1
		.amdhsa_ieee_mode 1
		.amdhsa_fp16_overflow 0
		.amdhsa_workgroup_processor_mode 1
		.amdhsa_memory_ordered 1
		.amdhsa_forward_progress 1
		.amdhsa_shared_vgpr_count 0
		.amdhsa_exception_fp_ieee_invalid_op 0
		.amdhsa_exception_fp_denorm_src 0
		.amdhsa_exception_fp_ieee_div_zero 0
		.amdhsa_exception_fp_ieee_overflow 0
		.amdhsa_exception_fp_ieee_underflow 0
		.amdhsa_exception_fp_ieee_inexact 0
		.amdhsa_exception_int_div_zero 0
	.end_amdhsa_kernel
	.section	.text._ZN7rocprim17ROCPRIM_400000_NS6detail17trampoline_kernelINS0_14default_configENS1_38merge_sort_block_merge_config_selectorIjN6thrust23THRUST_200600_302600_NS5tupleIffNS6_9null_typeES8_S8_S8_S8_S8_S8_S8_EEEEZZNS1_27merge_sort_block_merge_implIS3_NS6_6detail15normal_iteratorINS6_10device_ptrIjEEEENSD_INSE_IS9_EEEEjNS1_19radix_merge_compareILb0ELb1EjNS0_19identity_decomposerEEEEE10hipError_tT0_T1_T2_jT3_P12ihipStream_tbPNSt15iterator_traitsISN_E10value_typeEPNST_ISO_E10value_typeEPSP_NS1_7vsmem_tEENKUlT_SN_SO_SP_E_clIPjSG_PS9_SI_EESM_S12_SN_SO_SP_EUlS12_E1_NS1_11comp_targetILNS1_3genE3ELNS1_11target_archE908ELNS1_3gpuE7ELNS1_3repE0EEENS1_36merge_oddeven_config_static_selectorELNS0_4arch9wavefront6targetE0EEEvSO_,"axG",@progbits,_ZN7rocprim17ROCPRIM_400000_NS6detail17trampoline_kernelINS0_14default_configENS1_38merge_sort_block_merge_config_selectorIjN6thrust23THRUST_200600_302600_NS5tupleIffNS6_9null_typeES8_S8_S8_S8_S8_S8_S8_EEEEZZNS1_27merge_sort_block_merge_implIS3_NS6_6detail15normal_iteratorINS6_10device_ptrIjEEEENSD_INSE_IS9_EEEEjNS1_19radix_merge_compareILb0ELb1EjNS0_19identity_decomposerEEEEE10hipError_tT0_T1_T2_jT3_P12ihipStream_tbPNSt15iterator_traitsISN_E10value_typeEPNST_ISO_E10value_typeEPSP_NS1_7vsmem_tEENKUlT_SN_SO_SP_E_clIPjSG_PS9_SI_EESM_S12_SN_SO_SP_EUlS12_E1_NS1_11comp_targetILNS1_3genE3ELNS1_11target_archE908ELNS1_3gpuE7ELNS1_3repE0EEENS1_36merge_oddeven_config_static_selectorELNS0_4arch9wavefront6targetE0EEEvSO_,comdat
.Lfunc_end111:
	.size	_ZN7rocprim17ROCPRIM_400000_NS6detail17trampoline_kernelINS0_14default_configENS1_38merge_sort_block_merge_config_selectorIjN6thrust23THRUST_200600_302600_NS5tupleIffNS6_9null_typeES8_S8_S8_S8_S8_S8_S8_EEEEZZNS1_27merge_sort_block_merge_implIS3_NS6_6detail15normal_iteratorINS6_10device_ptrIjEEEENSD_INSE_IS9_EEEEjNS1_19radix_merge_compareILb0ELb1EjNS0_19identity_decomposerEEEEE10hipError_tT0_T1_T2_jT3_P12ihipStream_tbPNSt15iterator_traitsISN_E10value_typeEPNST_ISO_E10value_typeEPSP_NS1_7vsmem_tEENKUlT_SN_SO_SP_E_clIPjSG_PS9_SI_EESM_S12_SN_SO_SP_EUlS12_E1_NS1_11comp_targetILNS1_3genE3ELNS1_11target_archE908ELNS1_3gpuE7ELNS1_3repE0EEENS1_36merge_oddeven_config_static_selectorELNS0_4arch9wavefront6targetE0EEEvSO_, .Lfunc_end111-_ZN7rocprim17ROCPRIM_400000_NS6detail17trampoline_kernelINS0_14default_configENS1_38merge_sort_block_merge_config_selectorIjN6thrust23THRUST_200600_302600_NS5tupleIffNS6_9null_typeES8_S8_S8_S8_S8_S8_S8_EEEEZZNS1_27merge_sort_block_merge_implIS3_NS6_6detail15normal_iteratorINS6_10device_ptrIjEEEENSD_INSE_IS9_EEEEjNS1_19radix_merge_compareILb0ELb1EjNS0_19identity_decomposerEEEEE10hipError_tT0_T1_T2_jT3_P12ihipStream_tbPNSt15iterator_traitsISN_E10value_typeEPNST_ISO_E10value_typeEPSP_NS1_7vsmem_tEENKUlT_SN_SO_SP_E_clIPjSG_PS9_SI_EESM_S12_SN_SO_SP_EUlS12_E1_NS1_11comp_targetILNS1_3genE3ELNS1_11target_archE908ELNS1_3gpuE7ELNS1_3repE0EEENS1_36merge_oddeven_config_static_selectorELNS0_4arch9wavefront6targetE0EEEvSO_
                                        ; -- End function
	.set _ZN7rocprim17ROCPRIM_400000_NS6detail17trampoline_kernelINS0_14default_configENS1_38merge_sort_block_merge_config_selectorIjN6thrust23THRUST_200600_302600_NS5tupleIffNS6_9null_typeES8_S8_S8_S8_S8_S8_S8_EEEEZZNS1_27merge_sort_block_merge_implIS3_NS6_6detail15normal_iteratorINS6_10device_ptrIjEEEENSD_INSE_IS9_EEEEjNS1_19radix_merge_compareILb0ELb1EjNS0_19identity_decomposerEEEEE10hipError_tT0_T1_T2_jT3_P12ihipStream_tbPNSt15iterator_traitsISN_E10value_typeEPNST_ISO_E10value_typeEPSP_NS1_7vsmem_tEENKUlT_SN_SO_SP_E_clIPjSG_PS9_SI_EESM_S12_SN_SO_SP_EUlS12_E1_NS1_11comp_targetILNS1_3genE3ELNS1_11target_archE908ELNS1_3gpuE7ELNS1_3repE0EEENS1_36merge_oddeven_config_static_selectorELNS0_4arch9wavefront6targetE0EEEvSO_.num_vgpr, 0
	.set _ZN7rocprim17ROCPRIM_400000_NS6detail17trampoline_kernelINS0_14default_configENS1_38merge_sort_block_merge_config_selectorIjN6thrust23THRUST_200600_302600_NS5tupleIffNS6_9null_typeES8_S8_S8_S8_S8_S8_S8_EEEEZZNS1_27merge_sort_block_merge_implIS3_NS6_6detail15normal_iteratorINS6_10device_ptrIjEEEENSD_INSE_IS9_EEEEjNS1_19radix_merge_compareILb0ELb1EjNS0_19identity_decomposerEEEEE10hipError_tT0_T1_T2_jT3_P12ihipStream_tbPNSt15iterator_traitsISN_E10value_typeEPNST_ISO_E10value_typeEPSP_NS1_7vsmem_tEENKUlT_SN_SO_SP_E_clIPjSG_PS9_SI_EESM_S12_SN_SO_SP_EUlS12_E1_NS1_11comp_targetILNS1_3genE3ELNS1_11target_archE908ELNS1_3gpuE7ELNS1_3repE0EEENS1_36merge_oddeven_config_static_selectorELNS0_4arch9wavefront6targetE0EEEvSO_.num_agpr, 0
	.set _ZN7rocprim17ROCPRIM_400000_NS6detail17trampoline_kernelINS0_14default_configENS1_38merge_sort_block_merge_config_selectorIjN6thrust23THRUST_200600_302600_NS5tupleIffNS6_9null_typeES8_S8_S8_S8_S8_S8_S8_EEEEZZNS1_27merge_sort_block_merge_implIS3_NS6_6detail15normal_iteratorINS6_10device_ptrIjEEEENSD_INSE_IS9_EEEEjNS1_19radix_merge_compareILb0ELb1EjNS0_19identity_decomposerEEEEE10hipError_tT0_T1_T2_jT3_P12ihipStream_tbPNSt15iterator_traitsISN_E10value_typeEPNST_ISO_E10value_typeEPSP_NS1_7vsmem_tEENKUlT_SN_SO_SP_E_clIPjSG_PS9_SI_EESM_S12_SN_SO_SP_EUlS12_E1_NS1_11comp_targetILNS1_3genE3ELNS1_11target_archE908ELNS1_3gpuE7ELNS1_3repE0EEENS1_36merge_oddeven_config_static_selectorELNS0_4arch9wavefront6targetE0EEEvSO_.numbered_sgpr, 0
	.set _ZN7rocprim17ROCPRIM_400000_NS6detail17trampoline_kernelINS0_14default_configENS1_38merge_sort_block_merge_config_selectorIjN6thrust23THRUST_200600_302600_NS5tupleIffNS6_9null_typeES8_S8_S8_S8_S8_S8_S8_EEEEZZNS1_27merge_sort_block_merge_implIS3_NS6_6detail15normal_iteratorINS6_10device_ptrIjEEEENSD_INSE_IS9_EEEEjNS1_19radix_merge_compareILb0ELb1EjNS0_19identity_decomposerEEEEE10hipError_tT0_T1_T2_jT3_P12ihipStream_tbPNSt15iterator_traitsISN_E10value_typeEPNST_ISO_E10value_typeEPSP_NS1_7vsmem_tEENKUlT_SN_SO_SP_E_clIPjSG_PS9_SI_EESM_S12_SN_SO_SP_EUlS12_E1_NS1_11comp_targetILNS1_3genE3ELNS1_11target_archE908ELNS1_3gpuE7ELNS1_3repE0EEENS1_36merge_oddeven_config_static_selectorELNS0_4arch9wavefront6targetE0EEEvSO_.num_named_barrier, 0
	.set _ZN7rocprim17ROCPRIM_400000_NS6detail17trampoline_kernelINS0_14default_configENS1_38merge_sort_block_merge_config_selectorIjN6thrust23THRUST_200600_302600_NS5tupleIffNS6_9null_typeES8_S8_S8_S8_S8_S8_S8_EEEEZZNS1_27merge_sort_block_merge_implIS3_NS6_6detail15normal_iteratorINS6_10device_ptrIjEEEENSD_INSE_IS9_EEEEjNS1_19radix_merge_compareILb0ELb1EjNS0_19identity_decomposerEEEEE10hipError_tT0_T1_T2_jT3_P12ihipStream_tbPNSt15iterator_traitsISN_E10value_typeEPNST_ISO_E10value_typeEPSP_NS1_7vsmem_tEENKUlT_SN_SO_SP_E_clIPjSG_PS9_SI_EESM_S12_SN_SO_SP_EUlS12_E1_NS1_11comp_targetILNS1_3genE3ELNS1_11target_archE908ELNS1_3gpuE7ELNS1_3repE0EEENS1_36merge_oddeven_config_static_selectorELNS0_4arch9wavefront6targetE0EEEvSO_.private_seg_size, 0
	.set _ZN7rocprim17ROCPRIM_400000_NS6detail17trampoline_kernelINS0_14default_configENS1_38merge_sort_block_merge_config_selectorIjN6thrust23THRUST_200600_302600_NS5tupleIffNS6_9null_typeES8_S8_S8_S8_S8_S8_S8_EEEEZZNS1_27merge_sort_block_merge_implIS3_NS6_6detail15normal_iteratorINS6_10device_ptrIjEEEENSD_INSE_IS9_EEEEjNS1_19radix_merge_compareILb0ELb1EjNS0_19identity_decomposerEEEEE10hipError_tT0_T1_T2_jT3_P12ihipStream_tbPNSt15iterator_traitsISN_E10value_typeEPNST_ISO_E10value_typeEPSP_NS1_7vsmem_tEENKUlT_SN_SO_SP_E_clIPjSG_PS9_SI_EESM_S12_SN_SO_SP_EUlS12_E1_NS1_11comp_targetILNS1_3genE3ELNS1_11target_archE908ELNS1_3gpuE7ELNS1_3repE0EEENS1_36merge_oddeven_config_static_selectorELNS0_4arch9wavefront6targetE0EEEvSO_.uses_vcc, 0
	.set _ZN7rocprim17ROCPRIM_400000_NS6detail17trampoline_kernelINS0_14default_configENS1_38merge_sort_block_merge_config_selectorIjN6thrust23THRUST_200600_302600_NS5tupleIffNS6_9null_typeES8_S8_S8_S8_S8_S8_S8_EEEEZZNS1_27merge_sort_block_merge_implIS3_NS6_6detail15normal_iteratorINS6_10device_ptrIjEEEENSD_INSE_IS9_EEEEjNS1_19radix_merge_compareILb0ELb1EjNS0_19identity_decomposerEEEEE10hipError_tT0_T1_T2_jT3_P12ihipStream_tbPNSt15iterator_traitsISN_E10value_typeEPNST_ISO_E10value_typeEPSP_NS1_7vsmem_tEENKUlT_SN_SO_SP_E_clIPjSG_PS9_SI_EESM_S12_SN_SO_SP_EUlS12_E1_NS1_11comp_targetILNS1_3genE3ELNS1_11target_archE908ELNS1_3gpuE7ELNS1_3repE0EEENS1_36merge_oddeven_config_static_selectorELNS0_4arch9wavefront6targetE0EEEvSO_.uses_flat_scratch, 0
	.set _ZN7rocprim17ROCPRIM_400000_NS6detail17trampoline_kernelINS0_14default_configENS1_38merge_sort_block_merge_config_selectorIjN6thrust23THRUST_200600_302600_NS5tupleIffNS6_9null_typeES8_S8_S8_S8_S8_S8_S8_EEEEZZNS1_27merge_sort_block_merge_implIS3_NS6_6detail15normal_iteratorINS6_10device_ptrIjEEEENSD_INSE_IS9_EEEEjNS1_19radix_merge_compareILb0ELb1EjNS0_19identity_decomposerEEEEE10hipError_tT0_T1_T2_jT3_P12ihipStream_tbPNSt15iterator_traitsISN_E10value_typeEPNST_ISO_E10value_typeEPSP_NS1_7vsmem_tEENKUlT_SN_SO_SP_E_clIPjSG_PS9_SI_EESM_S12_SN_SO_SP_EUlS12_E1_NS1_11comp_targetILNS1_3genE3ELNS1_11target_archE908ELNS1_3gpuE7ELNS1_3repE0EEENS1_36merge_oddeven_config_static_selectorELNS0_4arch9wavefront6targetE0EEEvSO_.has_dyn_sized_stack, 0
	.set _ZN7rocprim17ROCPRIM_400000_NS6detail17trampoline_kernelINS0_14default_configENS1_38merge_sort_block_merge_config_selectorIjN6thrust23THRUST_200600_302600_NS5tupleIffNS6_9null_typeES8_S8_S8_S8_S8_S8_S8_EEEEZZNS1_27merge_sort_block_merge_implIS3_NS6_6detail15normal_iteratorINS6_10device_ptrIjEEEENSD_INSE_IS9_EEEEjNS1_19radix_merge_compareILb0ELb1EjNS0_19identity_decomposerEEEEE10hipError_tT0_T1_T2_jT3_P12ihipStream_tbPNSt15iterator_traitsISN_E10value_typeEPNST_ISO_E10value_typeEPSP_NS1_7vsmem_tEENKUlT_SN_SO_SP_E_clIPjSG_PS9_SI_EESM_S12_SN_SO_SP_EUlS12_E1_NS1_11comp_targetILNS1_3genE3ELNS1_11target_archE908ELNS1_3gpuE7ELNS1_3repE0EEENS1_36merge_oddeven_config_static_selectorELNS0_4arch9wavefront6targetE0EEEvSO_.has_recursion, 0
	.set _ZN7rocprim17ROCPRIM_400000_NS6detail17trampoline_kernelINS0_14default_configENS1_38merge_sort_block_merge_config_selectorIjN6thrust23THRUST_200600_302600_NS5tupleIffNS6_9null_typeES8_S8_S8_S8_S8_S8_S8_EEEEZZNS1_27merge_sort_block_merge_implIS3_NS6_6detail15normal_iteratorINS6_10device_ptrIjEEEENSD_INSE_IS9_EEEEjNS1_19radix_merge_compareILb0ELb1EjNS0_19identity_decomposerEEEEE10hipError_tT0_T1_T2_jT3_P12ihipStream_tbPNSt15iterator_traitsISN_E10value_typeEPNST_ISO_E10value_typeEPSP_NS1_7vsmem_tEENKUlT_SN_SO_SP_E_clIPjSG_PS9_SI_EESM_S12_SN_SO_SP_EUlS12_E1_NS1_11comp_targetILNS1_3genE3ELNS1_11target_archE908ELNS1_3gpuE7ELNS1_3repE0EEENS1_36merge_oddeven_config_static_selectorELNS0_4arch9wavefront6targetE0EEEvSO_.has_indirect_call, 0
	.section	.AMDGPU.csdata,"",@progbits
; Kernel info:
; codeLenInByte = 0
; TotalNumSgprs: 0
; NumVgprs: 0
; ScratchSize: 0
; MemoryBound: 0
; FloatMode: 240
; IeeeMode: 1
; LDSByteSize: 0 bytes/workgroup (compile time only)
; SGPRBlocks: 0
; VGPRBlocks: 0
; NumSGPRsForWavesPerEU: 1
; NumVGPRsForWavesPerEU: 1
; Occupancy: 16
; WaveLimiterHint : 0
; COMPUTE_PGM_RSRC2:SCRATCH_EN: 0
; COMPUTE_PGM_RSRC2:USER_SGPR: 6
; COMPUTE_PGM_RSRC2:TRAP_HANDLER: 0
; COMPUTE_PGM_RSRC2:TGID_X_EN: 1
; COMPUTE_PGM_RSRC2:TGID_Y_EN: 0
; COMPUTE_PGM_RSRC2:TGID_Z_EN: 0
; COMPUTE_PGM_RSRC2:TIDIG_COMP_CNT: 0
	.section	.text._ZN7rocprim17ROCPRIM_400000_NS6detail17trampoline_kernelINS0_14default_configENS1_38merge_sort_block_merge_config_selectorIjN6thrust23THRUST_200600_302600_NS5tupleIffNS6_9null_typeES8_S8_S8_S8_S8_S8_S8_EEEEZZNS1_27merge_sort_block_merge_implIS3_NS6_6detail15normal_iteratorINS6_10device_ptrIjEEEENSD_INSE_IS9_EEEEjNS1_19radix_merge_compareILb0ELb1EjNS0_19identity_decomposerEEEEE10hipError_tT0_T1_T2_jT3_P12ihipStream_tbPNSt15iterator_traitsISN_E10value_typeEPNST_ISO_E10value_typeEPSP_NS1_7vsmem_tEENKUlT_SN_SO_SP_E_clIPjSG_PS9_SI_EESM_S12_SN_SO_SP_EUlS12_E1_NS1_11comp_targetILNS1_3genE2ELNS1_11target_archE906ELNS1_3gpuE6ELNS1_3repE0EEENS1_36merge_oddeven_config_static_selectorELNS0_4arch9wavefront6targetE0EEEvSO_,"axG",@progbits,_ZN7rocprim17ROCPRIM_400000_NS6detail17trampoline_kernelINS0_14default_configENS1_38merge_sort_block_merge_config_selectorIjN6thrust23THRUST_200600_302600_NS5tupleIffNS6_9null_typeES8_S8_S8_S8_S8_S8_S8_EEEEZZNS1_27merge_sort_block_merge_implIS3_NS6_6detail15normal_iteratorINS6_10device_ptrIjEEEENSD_INSE_IS9_EEEEjNS1_19radix_merge_compareILb0ELb1EjNS0_19identity_decomposerEEEEE10hipError_tT0_T1_T2_jT3_P12ihipStream_tbPNSt15iterator_traitsISN_E10value_typeEPNST_ISO_E10value_typeEPSP_NS1_7vsmem_tEENKUlT_SN_SO_SP_E_clIPjSG_PS9_SI_EESM_S12_SN_SO_SP_EUlS12_E1_NS1_11comp_targetILNS1_3genE2ELNS1_11target_archE906ELNS1_3gpuE6ELNS1_3repE0EEENS1_36merge_oddeven_config_static_selectorELNS0_4arch9wavefront6targetE0EEEvSO_,comdat
	.protected	_ZN7rocprim17ROCPRIM_400000_NS6detail17trampoline_kernelINS0_14default_configENS1_38merge_sort_block_merge_config_selectorIjN6thrust23THRUST_200600_302600_NS5tupleIffNS6_9null_typeES8_S8_S8_S8_S8_S8_S8_EEEEZZNS1_27merge_sort_block_merge_implIS3_NS6_6detail15normal_iteratorINS6_10device_ptrIjEEEENSD_INSE_IS9_EEEEjNS1_19radix_merge_compareILb0ELb1EjNS0_19identity_decomposerEEEEE10hipError_tT0_T1_T2_jT3_P12ihipStream_tbPNSt15iterator_traitsISN_E10value_typeEPNST_ISO_E10value_typeEPSP_NS1_7vsmem_tEENKUlT_SN_SO_SP_E_clIPjSG_PS9_SI_EESM_S12_SN_SO_SP_EUlS12_E1_NS1_11comp_targetILNS1_3genE2ELNS1_11target_archE906ELNS1_3gpuE6ELNS1_3repE0EEENS1_36merge_oddeven_config_static_selectorELNS0_4arch9wavefront6targetE0EEEvSO_ ; -- Begin function _ZN7rocprim17ROCPRIM_400000_NS6detail17trampoline_kernelINS0_14default_configENS1_38merge_sort_block_merge_config_selectorIjN6thrust23THRUST_200600_302600_NS5tupleIffNS6_9null_typeES8_S8_S8_S8_S8_S8_S8_EEEEZZNS1_27merge_sort_block_merge_implIS3_NS6_6detail15normal_iteratorINS6_10device_ptrIjEEEENSD_INSE_IS9_EEEEjNS1_19radix_merge_compareILb0ELb1EjNS0_19identity_decomposerEEEEE10hipError_tT0_T1_T2_jT3_P12ihipStream_tbPNSt15iterator_traitsISN_E10value_typeEPNST_ISO_E10value_typeEPSP_NS1_7vsmem_tEENKUlT_SN_SO_SP_E_clIPjSG_PS9_SI_EESM_S12_SN_SO_SP_EUlS12_E1_NS1_11comp_targetILNS1_3genE2ELNS1_11target_archE906ELNS1_3gpuE6ELNS1_3repE0EEENS1_36merge_oddeven_config_static_selectorELNS0_4arch9wavefront6targetE0EEEvSO_
	.globl	_ZN7rocprim17ROCPRIM_400000_NS6detail17trampoline_kernelINS0_14default_configENS1_38merge_sort_block_merge_config_selectorIjN6thrust23THRUST_200600_302600_NS5tupleIffNS6_9null_typeES8_S8_S8_S8_S8_S8_S8_EEEEZZNS1_27merge_sort_block_merge_implIS3_NS6_6detail15normal_iteratorINS6_10device_ptrIjEEEENSD_INSE_IS9_EEEEjNS1_19radix_merge_compareILb0ELb1EjNS0_19identity_decomposerEEEEE10hipError_tT0_T1_T2_jT3_P12ihipStream_tbPNSt15iterator_traitsISN_E10value_typeEPNST_ISO_E10value_typeEPSP_NS1_7vsmem_tEENKUlT_SN_SO_SP_E_clIPjSG_PS9_SI_EESM_S12_SN_SO_SP_EUlS12_E1_NS1_11comp_targetILNS1_3genE2ELNS1_11target_archE906ELNS1_3gpuE6ELNS1_3repE0EEENS1_36merge_oddeven_config_static_selectorELNS0_4arch9wavefront6targetE0EEEvSO_
	.p2align	8
	.type	_ZN7rocprim17ROCPRIM_400000_NS6detail17trampoline_kernelINS0_14default_configENS1_38merge_sort_block_merge_config_selectorIjN6thrust23THRUST_200600_302600_NS5tupleIffNS6_9null_typeES8_S8_S8_S8_S8_S8_S8_EEEEZZNS1_27merge_sort_block_merge_implIS3_NS6_6detail15normal_iteratorINS6_10device_ptrIjEEEENSD_INSE_IS9_EEEEjNS1_19radix_merge_compareILb0ELb1EjNS0_19identity_decomposerEEEEE10hipError_tT0_T1_T2_jT3_P12ihipStream_tbPNSt15iterator_traitsISN_E10value_typeEPNST_ISO_E10value_typeEPSP_NS1_7vsmem_tEENKUlT_SN_SO_SP_E_clIPjSG_PS9_SI_EESM_S12_SN_SO_SP_EUlS12_E1_NS1_11comp_targetILNS1_3genE2ELNS1_11target_archE906ELNS1_3gpuE6ELNS1_3repE0EEENS1_36merge_oddeven_config_static_selectorELNS0_4arch9wavefront6targetE0EEEvSO_,@function
_ZN7rocprim17ROCPRIM_400000_NS6detail17trampoline_kernelINS0_14default_configENS1_38merge_sort_block_merge_config_selectorIjN6thrust23THRUST_200600_302600_NS5tupleIffNS6_9null_typeES8_S8_S8_S8_S8_S8_S8_EEEEZZNS1_27merge_sort_block_merge_implIS3_NS6_6detail15normal_iteratorINS6_10device_ptrIjEEEENSD_INSE_IS9_EEEEjNS1_19radix_merge_compareILb0ELb1EjNS0_19identity_decomposerEEEEE10hipError_tT0_T1_T2_jT3_P12ihipStream_tbPNSt15iterator_traitsISN_E10value_typeEPNST_ISO_E10value_typeEPSP_NS1_7vsmem_tEENKUlT_SN_SO_SP_E_clIPjSG_PS9_SI_EESM_S12_SN_SO_SP_EUlS12_E1_NS1_11comp_targetILNS1_3genE2ELNS1_11target_archE906ELNS1_3gpuE6ELNS1_3repE0EEENS1_36merge_oddeven_config_static_selectorELNS0_4arch9wavefront6targetE0EEEvSO_: ; @_ZN7rocprim17ROCPRIM_400000_NS6detail17trampoline_kernelINS0_14default_configENS1_38merge_sort_block_merge_config_selectorIjN6thrust23THRUST_200600_302600_NS5tupleIffNS6_9null_typeES8_S8_S8_S8_S8_S8_S8_EEEEZZNS1_27merge_sort_block_merge_implIS3_NS6_6detail15normal_iteratorINS6_10device_ptrIjEEEENSD_INSE_IS9_EEEEjNS1_19radix_merge_compareILb0ELb1EjNS0_19identity_decomposerEEEEE10hipError_tT0_T1_T2_jT3_P12ihipStream_tbPNSt15iterator_traitsISN_E10value_typeEPNST_ISO_E10value_typeEPSP_NS1_7vsmem_tEENKUlT_SN_SO_SP_E_clIPjSG_PS9_SI_EESM_S12_SN_SO_SP_EUlS12_E1_NS1_11comp_targetILNS1_3genE2ELNS1_11target_archE906ELNS1_3gpuE6ELNS1_3repE0EEENS1_36merge_oddeven_config_static_selectorELNS0_4arch9wavefront6targetE0EEEvSO_
; %bb.0:
	.section	.rodata,"a",@progbits
	.p2align	6, 0x0
	.amdhsa_kernel _ZN7rocprim17ROCPRIM_400000_NS6detail17trampoline_kernelINS0_14default_configENS1_38merge_sort_block_merge_config_selectorIjN6thrust23THRUST_200600_302600_NS5tupleIffNS6_9null_typeES8_S8_S8_S8_S8_S8_S8_EEEEZZNS1_27merge_sort_block_merge_implIS3_NS6_6detail15normal_iteratorINS6_10device_ptrIjEEEENSD_INSE_IS9_EEEEjNS1_19radix_merge_compareILb0ELb1EjNS0_19identity_decomposerEEEEE10hipError_tT0_T1_T2_jT3_P12ihipStream_tbPNSt15iterator_traitsISN_E10value_typeEPNST_ISO_E10value_typeEPSP_NS1_7vsmem_tEENKUlT_SN_SO_SP_E_clIPjSG_PS9_SI_EESM_S12_SN_SO_SP_EUlS12_E1_NS1_11comp_targetILNS1_3genE2ELNS1_11target_archE906ELNS1_3gpuE6ELNS1_3repE0EEENS1_36merge_oddeven_config_static_selectorELNS0_4arch9wavefront6targetE0EEEvSO_
		.amdhsa_group_segment_fixed_size 0
		.amdhsa_private_segment_fixed_size 0
		.amdhsa_kernarg_size 48
		.amdhsa_user_sgpr_count 6
		.amdhsa_user_sgpr_private_segment_buffer 1
		.amdhsa_user_sgpr_dispatch_ptr 0
		.amdhsa_user_sgpr_queue_ptr 0
		.amdhsa_user_sgpr_kernarg_segment_ptr 1
		.amdhsa_user_sgpr_dispatch_id 0
		.amdhsa_user_sgpr_flat_scratch_init 0
		.amdhsa_user_sgpr_private_segment_size 0
		.amdhsa_wavefront_size32 1
		.amdhsa_uses_dynamic_stack 0
		.amdhsa_system_sgpr_private_segment_wavefront_offset 0
		.amdhsa_system_sgpr_workgroup_id_x 1
		.amdhsa_system_sgpr_workgroup_id_y 0
		.amdhsa_system_sgpr_workgroup_id_z 0
		.amdhsa_system_sgpr_workgroup_info 0
		.amdhsa_system_vgpr_workitem_id 0
		.amdhsa_next_free_vgpr 1
		.amdhsa_next_free_sgpr 1
		.amdhsa_reserve_vcc 0
		.amdhsa_reserve_flat_scratch 0
		.amdhsa_float_round_mode_32 0
		.amdhsa_float_round_mode_16_64 0
		.amdhsa_float_denorm_mode_32 3
		.amdhsa_float_denorm_mode_16_64 3
		.amdhsa_dx10_clamp 1
		.amdhsa_ieee_mode 1
		.amdhsa_fp16_overflow 0
		.amdhsa_workgroup_processor_mode 1
		.amdhsa_memory_ordered 1
		.amdhsa_forward_progress 1
		.amdhsa_shared_vgpr_count 0
		.amdhsa_exception_fp_ieee_invalid_op 0
		.amdhsa_exception_fp_denorm_src 0
		.amdhsa_exception_fp_ieee_div_zero 0
		.amdhsa_exception_fp_ieee_overflow 0
		.amdhsa_exception_fp_ieee_underflow 0
		.amdhsa_exception_fp_ieee_inexact 0
		.amdhsa_exception_int_div_zero 0
	.end_amdhsa_kernel
	.section	.text._ZN7rocprim17ROCPRIM_400000_NS6detail17trampoline_kernelINS0_14default_configENS1_38merge_sort_block_merge_config_selectorIjN6thrust23THRUST_200600_302600_NS5tupleIffNS6_9null_typeES8_S8_S8_S8_S8_S8_S8_EEEEZZNS1_27merge_sort_block_merge_implIS3_NS6_6detail15normal_iteratorINS6_10device_ptrIjEEEENSD_INSE_IS9_EEEEjNS1_19radix_merge_compareILb0ELb1EjNS0_19identity_decomposerEEEEE10hipError_tT0_T1_T2_jT3_P12ihipStream_tbPNSt15iterator_traitsISN_E10value_typeEPNST_ISO_E10value_typeEPSP_NS1_7vsmem_tEENKUlT_SN_SO_SP_E_clIPjSG_PS9_SI_EESM_S12_SN_SO_SP_EUlS12_E1_NS1_11comp_targetILNS1_3genE2ELNS1_11target_archE906ELNS1_3gpuE6ELNS1_3repE0EEENS1_36merge_oddeven_config_static_selectorELNS0_4arch9wavefront6targetE0EEEvSO_,"axG",@progbits,_ZN7rocprim17ROCPRIM_400000_NS6detail17trampoline_kernelINS0_14default_configENS1_38merge_sort_block_merge_config_selectorIjN6thrust23THRUST_200600_302600_NS5tupleIffNS6_9null_typeES8_S8_S8_S8_S8_S8_S8_EEEEZZNS1_27merge_sort_block_merge_implIS3_NS6_6detail15normal_iteratorINS6_10device_ptrIjEEEENSD_INSE_IS9_EEEEjNS1_19radix_merge_compareILb0ELb1EjNS0_19identity_decomposerEEEEE10hipError_tT0_T1_T2_jT3_P12ihipStream_tbPNSt15iterator_traitsISN_E10value_typeEPNST_ISO_E10value_typeEPSP_NS1_7vsmem_tEENKUlT_SN_SO_SP_E_clIPjSG_PS9_SI_EESM_S12_SN_SO_SP_EUlS12_E1_NS1_11comp_targetILNS1_3genE2ELNS1_11target_archE906ELNS1_3gpuE6ELNS1_3repE0EEENS1_36merge_oddeven_config_static_selectorELNS0_4arch9wavefront6targetE0EEEvSO_,comdat
.Lfunc_end112:
	.size	_ZN7rocprim17ROCPRIM_400000_NS6detail17trampoline_kernelINS0_14default_configENS1_38merge_sort_block_merge_config_selectorIjN6thrust23THRUST_200600_302600_NS5tupleIffNS6_9null_typeES8_S8_S8_S8_S8_S8_S8_EEEEZZNS1_27merge_sort_block_merge_implIS3_NS6_6detail15normal_iteratorINS6_10device_ptrIjEEEENSD_INSE_IS9_EEEEjNS1_19radix_merge_compareILb0ELb1EjNS0_19identity_decomposerEEEEE10hipError_tT0_T1_T2_jT3_P12ihipStream_tbPNSt15iterator_traitsISN_E10value_typeEPNST_ISO_E10value_typeEPSP_NS1_7vsmem_tEENKUlT_SN_SO_SP_E_clIPjSG_PS9_SI_EESM_S12_SN_SO_SP_EUlS12_E1_NS1_11comp_targetILNS1_3genE2ELNS1_11target_archE906ELNS1_3gpuE6ELNS1_3repE0EEENS1_36merge_oddeven_config_static_selectorELNS0_4arch9wavefront6targetE0EEEvSO_, .Lfunc_end112-_ZN7rocprim17ROCPRIM_400000_NS6detail17trampoline_kernelINS0_14default_configENS1_38merge_sort_block_merge_config_selectorIjN6thrust23THRUST_200600_302600_NS5tupleIffNS6_9null_typeES8_S8_S8_S8_S8_S8_S8_EEEEZZNS1_27merge_sort_block_merge_implIS3_NS6_6detail15normal_iteratorINS6_10device_ptrIjEEEENSD_INSE_IS9_EEEEjNS1_19radix_merge_compareILb0ELb1EjNS0_19identity_decomposerEEEEE10hipError_tT0_T1_T2_jT3_P12ihipStream_tbPNSt15iterator_traitsISN_E10value_typeEPNST_ISO_E10value_typeEPSP_NS1_7vsmem_tEENKUlT_SN_SO_SP_E_clIPjSG_PS9_SI_EESM_S12_SN_SO_SP_EUlS12_E1_NS1_11comp_targetILNS1_3genE2ELNS1_11target_archE906ELNS1_3gpuE6ELNS1_3repE0EEENS1_36merge_oddeven_config_static_selectorELNS0_4arch9wavefront6targetE0EEEvSO_
                                        ; -- End function
	.set _ZN7rocprim17ROCPRIM_400000_NS6detail17trampoline_kernelINS0_14default_configENS1_38merge_sort_block_merge_config_selectorIjN6thrust23THRUST_200600_302600_NS5tupleIffNS6_9null_typeES8_S8_S8_S8_S8_S8_S8_EEEEZZNS1_27merge_sort_block_merge_implIS3_NS6_6detail15normal_iteratorINS6_10device_ptrIjEEEENSD_INSE_IS9_EEEEjNS1_19radix_merge_compareILb0ELb1EjNS0_19identity_decomposerEEEEE10hipError_tT0_T1_T2_jT3_P12ihipStream_tbPNSt15iterator_traitsISN_E10value_typeEPNST_ISO_E10value_typeEPSP_NS1_7vsmem_tEENKUlT_SN_SO_SP_E_clIPjSG_PS9_SI_EESM_S12_SN_SO_SP_EUlS12_E1_NS1_11comp_targetILNS1_3genE2ELNS1_11target_archE906ELNS1_3gpuE6ELNS1_3repE0EEENS1_36merge_oddeven_config_static_selectorELNS0_4arch9wavefront6targetE0EEEvSO_.num_vgpr, 0
	.set _ZN7rocprim17ROCPRIM_400000_NS6detail17trampoline_kernelINS0_14default_configENS1_38merge_sort_block_merge_config_selectorIjN6thrust23THRUST_200600_302600_NS5tupleIffNS6_9null_typeES8_S8_S8_S8_S8_S8_S8_EEEEZZNS1_27merge_sort_block_merge_implIS3_NS6_6detail15normal_iteratorINS6_10device_ptrIjEEEENSD_INSE_IS9_EEEEjNS1_19radix_merge_compareILb0ELb1EjNS0_19identity_decomposerEEEEE10hipError_tT0_T1_T2_jT3_P12ihipStream_tbPNSt15iterator_traitsISN_E10value_typeEPNST_ISO_E10value_typeEPSP_NS1_7vsmem_tEENKUlT_SN_SO_SP_E_clIPjSG_PS9_SI_EESM_S12_SN_SO_SP_EUlS12_E1_NS1_11comp_targetILNS1_3genE2ELNS1_11target_archE906ELNS1_3gpuE6ELNS1_3repE0EEENS1_36merge_oddeven_config_static_selectorELNS0_4arch9wavefront6targetE0EEEvSO_.num_agpr, 0
	.set _ZN7rocprim17ROCPRIM_400000_NS6detail17trampoline_kernelINS0_14default_configENS1_38merge_sort_block_merge_config_selectorIjN6thrust23THRUST_200600_302600_NS5tupleIffNS6_9null_typeES8_S8_S8_S8_S8_S8_S8_EEEEZZNS1_27merge_sort_block_merge_implIS3_NS6_6detail15normal_iteratorINS6_10device_ptrIjEEEENSD_INSE_IS9_EEEEjNS1_19radix_merge_compareILb0ELb1EjNS0_19identity_decomposerEEEEE10hipError_tT0_T1_T2_jT3_P12ihipStream_tbPNSt15iterator_traitsISN_E10value_typeEPNST_ISO_E10value_typeEPSP_NS1_7vsmem_tEENKUlT_SN_SO_SP_E_clIPjSG_PS9_SI_EESM_S12_SN_SO_SP_EUlS12_E1_NS1_11comp_targetILNS1_3genE2ELNS1_11target_archE906ELNS1_3gpuE6ELNS1_3repE0EEENS1_36merge_oddeven_config_static_selectorELNS0_4arch9wavefront6targetE0EEEvSO_.numbered_sgpr, 0
	.set _ZN7rocprim17ROCPRIM_400000_NS6detail17trampoline_kernelINS0_14default_configENS1_38merge_sort_block_merge_config_selectorIjN6thrust23THRUST_200600_302600_NS5tupleIffNS6_9null_typeES8_S8_S8_S8_S8_S8_S8_EEEEZZNS1_27merge_sort_block_merge_implIS3_NS6_6detail15normal_iteratorINS6_10device_ptrIjEEEENSD_INSE_IS9_EEEEjNS1_19radix_merge_compareILb0ELb1EjNS0_19identity_decomposerEEEEE10hipError_tT0_T1_T2_jT3_P12ihipStream_tbPNSt15iterator_traitsISN_E10value_typeEPNST_ISO_E10value_typeEPSP_NS1_7vsmem_tEENKUlT_SN_SO_SP_E_clIPjSG_PS9_SI_EESM_S12_SN_SO_SP_EUlS12_E1_NS1_11comp_targetILNS1_3genE2ELNS1_11target_archE906ELNS1_3gpuE6ELNS1_3repE0EEENS1_36merge_oddeven_config_static_selectorELNS0_4arch9wavefront6targetE0EEEvSO_.num_named_barrier, 0
	.set _ZN7rocprim17ROCPRIM_400000_NS6detail17trampoline_kernelINS0_14default_configENS1_38merge_sort_block_merge_config_selectorIjN6thrust23THRUST_200600_302600_NS5tupleIffNS6_9null_typeES8_S8_S8_S8_S8_S8_S8_EEEEZZNS1_27merge_sort_block_merge_implIS3_NS6_6detail15normal_iteratorINS6_10device_ptrIjEEEENSD_INSE_IS9_EEEEjNS1_19radix_merge_compareILb0ELb1EjNS0_19identity_decomposerEEEEE10hipError_tT0_T1_T2_jT3_P12ihipStream_tbPNSt15iterator_traitsISN_E10value_typeEPNST_ISO_E10value_typeEPSP_NS1_7vsmem_tEENKUlT_SN_SO_SP_E_clIPjSG_PS9_SI_EESM_S12_SN_SO_SP_EUlS12_E1_NS1_11comp_targetILNS1_3genE2ELNS1_11target_archE906ELNS1_3gpuE6ELNS1_3repE0EEENS1_36merge_oddeven_config_static_selectorELNS0_4arch9wavefront6targetE0EEEvSO_.private_seg_size, 0
	.set _ZN7rocprim17ROCPRIM_400000_NS6detail17trampoline_kernelINS0_14default_configENS1_38merge_sort_block_merge_config_selectorIjN6thrust23THRUST_200600_302600_NS5tupleIffNS6_9null_typeES8_S8_S8_S8_S8_S8_S8_EEEEZZNS1_27merge_sort_block_merge_implIS3_NS6_6detail15normal_iteratorINS6_10device_ptrIjEEEENSD_INSE_IS9_EEEEjNS1_19radix_merge_compareILb0ELb1EjNS0_19identity_decomposerEEEEE10hipError_tT0_T1_T2_jT3_P12ihipStream_tbPNSt15iterator_traitsISN_E10value_typeEPNST_ISO_E10value_typeEPSP_NS1_7vsmem_tEENKUlT_SN_SO_SP_E_clIPjSG_PS9_SI_EESM_S12_SN_SO_SP_EUlS12_E1_NS1_11comp_targetILNS1_3genE2ELNS1_11target_archE906ELNS1_3gpuE6ELNS1_3repE0EEENS1_36merge_oddeven_config_static_selectorELNS0_4arch9wavefront6targetE0EEEvSO_.uses_vcc, 0
	.set _ZN7rocprim17ROCPRIM_400000_NS6detail17trampoline_kernelINS0_14default_configENS1_38merge_sort_block_merge_config_selectorIjN6thrust23THRUST_200600_302600_NS5tupleIffNS6_9null_typeES8_S8_S8_S8_S8_S8_S8_EEEEZZNS1_27merge_sort_block_merge_implIS3_NS6_6detail15normal_iteratorINS6_10device_ptrIjEEEENSD_INSE_IS9_EEEEjNS1_19radix_merge_compareILb0ELb1EjNS0_19identity_decomposerEEEEE10hipError_tT0_T1_T2_jT3_P12ihipStream_tbPNSt15iterator_traitsISN_E10value_typeEPNST_ISO_E10value_typeEPSP_NS1_7vsmem_tEENKUlT_SN_SO_SP_E_clIPjSG_PS9_SI_EESM_S12_SN_SO_SP_EUlS12_E1_NS1_11comp_targetILNS1_3genE2ELNS1_11target_archE906ELNS1_3gpuE6ELNS1_3repE0EEENS1_36merge_oddeven_config_static_selectorELNS0_4arch9wavefront6targetE0EEEvSO_.uses_flat_scratch, 0
	.set _ZN7rocprim17ROCPRIM_400000_NS6detail17trampoline_kernelINS0_14default_configENS1_38merge_sort_block_merge_config_selectorIjN6thrust23THRUST_200600_302600_NS5tupleIffNS6_9null_typeES8_S8_S8_S8_S8_S8_S8_EEEEZZNS1_27merge_sort_block_merge_implIS3_NS6_6detail15normal_iteratorINS6_10device_ptrIjEEEENSD_INSE_IS9_EEEEjNS1_19radix_merge_compareILb0ELb1EjNS0_19identity_decomposerEEEEE10hipError_tT0_T1_T2_jT3_P12ihipStream_tbPNSt15iterator_traitsISN_E10value_typeEPNST_ISO_E10value_typeEPSP_NS1_7vsmem_tEENKUlT_SN_SO_SP_E_clIPjSG_PS9_SI_EESM_S12_SN_SO_SP_EUlS12_E1_NS1_11comp_targetILNS1_3genE2ELNS1_11target_archE906ELNS1_3gpuE6ELNS1_3repE0EEENS1_36merge_oddeven_config_static_selectorELNS0_4arch9wavefront6targetE0EEEvSO_.has_dyn_sized_stack, 0
	.set _ZN7rocprim17ROCPRIM_400000_NS6detail17trampoline_kernelINS0_14default_configENS1_38merge_sort_block_merge_config_selectorIjN6thrust23THRUST_200600_302600_NS5tupleIffNS6_9null_typeES8_S8_S8_S8_S8_S8_S8_EEEEZZNS1_27merge_sort_block_merge_implIS3_NS6_6detail15normal_iteratorINS6_10device_ptrIjEEEENSD_INSE_IS9_EEEEjNS1_19radix_merge_compareILb0ELb1EjNS0_19identity_decomposerEEEEE10hipError_tT0_T1_T2_jT3_P12ihipStream_tbPNSt15iterator_traitsISN_E10value_typeEPNST_ISO_E10value_typeEPSP_NS1_7vsmem_tEENKUlT_SN_SO_SP_E_clIPjSG_PS9_SI_EESM_S12_SN_SO_SP_EUlS12_E1_NS1_11comp_targetILNS1_3genE2ELNS1_11target_archE906ELNS1_3gpuE6ELNS1_3repE0EEENS1_36merge_oddeven_config_static_selectorELNS0_4arch9wavefront6targetE0EEEvSO_.has_recursion, 0
	.set _ZN7rocprim17ROCPRIM_400000_NS6detail17trampoline_kernelINS0_14default_configENS1_38merge_sort_block_merge_config_selectorIjN6thrust23THRUST_200600_302600_NS5tupleIffNS6_9null_typeES8_S8_S8_S8_S8_S8_S8_EEEEZZNS1_27merge_sort_block_merge_implIS3_NS6_6detail15normal_iteratorINS6_10device_ptrIjEEEENSD_INSE_IS9_EEEEjNS1_19radix_merge_compareILb0ELb1EjNS0_19identity_decomposerEEEEE10hipError_tT0_T1_T2_jT3_P12ihipStream_tbPNSt15iterator_traitsISN_E10value_typeEPNST_ISO_E10value_typeEPSP_NS1_7vsmem_tEENKUlT_SN_SO_SP_E_clIPjSG_PS9_SI_EESM_S12_SN_SO_SP_EUlS12_E1_NS1_11comp_targetILNS1_3genE2ELNS1_11target_archE906ELNS1_3gpuE6ELNS1_3repE0EEENS1_36merge_oddeven_config_static_selectorELNS0_4arch9wavefront6targetE0EEEvSO_.has_indirect_call, 0
	.section	.AMDGPU.csdata,"",@progbits
; Kernel info:
; codeLenInByte = 0
; TotalNumSgprs: 0
; NumVgprs: 0
; ScratchSize: 0
; MemoryBound: 0
; FloatMode: 240
; IeeeMode: 1
; LDSByteSize: 0 bytes/workgroup (compile time only)
; SGPRBlocks: 0
; VGPRBlocks: 0
; NumSGPRsForWavesPerEU: 1
; NumVGPRsForWavesPerEU: 1
; Occupancy: 16
; WaveLimiterHint : 0
; COMPUTE_PGM_RSRC2:SCRATCH_EN: 0
; COMPUTE_PGM_RSRC2:USER_SGPR: 6
; COMPUTE_PGM_RSRC2:TRAP_HANDLER: 0
; COMPUTE_PGM_RSRC2:TGID_X_EN: 1
; COMPUTE_PGM_RSRC2:TGID_Y_EN: 0
; COMPUTE_PGM_RSRC2:TGID_Z_EN: 0
; COMPUTE_PGM_RSRC2:TIDIG_COMP_CNT: 0
	.section	.text._ZN7rocprim17ROCPRIM_400000_NS6detail17trampoline_kernelINS0_14default_configENS1_38merge_sort_block_merge_config_selectorIjN6thrust23THRUST_200600_302600_NS5tupleIffNS6_9null_typeES8_S8_S8_S8_S8_S8_S8_EEEEZZNS1_27merge_sort_block_merge_implIS3_NS6_6detail15normal_iteratorINS6_10device_ptrIjEEEENSD_INSE_IS9_EEEEjNS1_19radix_merge_compareILb0ELb1EjNS0_19identity_decomposerEEEEE10hipError_tT0_T1_T2_jT3_P12ihipStream_tbPNSt15iterator_traitsISN_E10value_typeEPNST_ISO_E10value_typeEPSP_NS1_7vsmem_tEENKUlT_SN_SO_SP_E_clIPjSG_PS9_SI_EESM_S12_SN_SO_SP_EUlS12_E1_NS1_11comp_targetILNS1_3genE9ELNS1_11target_archE1100ELNS1_3gpuE3ELNS1_3repE0EEENS1_36merge_oddeven_config_static_selectorELNS0_4arch9wavefront6targetE0EEEvSO_,"axG",@progbits,_ZN7rocprim17ROCPRIM_400000_NS6detail17trampoline_kernelINS0_14default_configENS1_38merge_sort_block_merge_config_selectorIjN6thrust23THRUST_200600_302600_NS5tupleIffNS6_9null_typeES8_S8_S8_S8_S8_S8_S8_EEEEZZNS1_27merge_sort_block_merge_implIS3_NS6_6detail15normal_iteratorINS6_10device_ptrIjEEEENSD_INSE_IS9_EEEEjNS1_19radix_merge_compareILb0ELb1EjNS0_19identity_decomposerEEEEE10hipError_tT0_T1_T2_jT3_P12ihipStream_tbPNSt15iterator_traitsISN_E10value_typeEPNST_ISO_E10value_typeEPSP_NS1_7vsmem_tEENKUlT_SN_SO_SP_E_clIPjSG_PS9_SI_EESM_S12_SN_SO_SP_EUlS12_E1_NS1_11comp_targetILNS1_3genE9ELNS1_11target_archE1100ELNS1_3gpuE3ELNS1_3repE0EEENS1_36merge_oddeven_config_static_selectorELNS0_4arch9wavefront6targetE0EEEvSO_,comdat
	.protected	_ZN7rocprim17ROCPRIM_400000_NS6detail17trampoline_kernelINS0_14default_configENS1_38merge_sort_block_merge_config_selectorIjN6thrust23THRUST_200600_302600_NS5tupleIffNS6_9null_typeES8_S8_S8_S8_S8_S8_S8_EEEEZZNS1_27merge_sort_block_merge_implIS3_NS6_6detail15normal_iteratorINS6_10device_ptrIjEEEENSD_INSE_IS9_EEEEjNS1_19radix_merge_compareILb0ELb1EjNS0_19identity_decomposerEEEEE10hipError_tT0_T1_T2_jT3_P12ihipStream_tbPNSt15iterator_traitsISN_E10value_typeEPNST_ISO_E10value_typeEPSP_NS1_7vsmem_tEENKUlT_SN_SO_SP_E_clIPjSG_PS9_SI_EESM_S12_SN_SO_SP_EUlS12_E1_NS1_11comp_targetILNS1_3genE9ELNS1_11target_archE1100ELNS1_3gpuE3ELNS1_3repE0EEENS1_36merge_oddeven_config_static_selectorELNS0_4arch9wavefront6targetE0EEEvSO_ ; -- Begin function _ZN7rocprim17ROCPRIM_400000_NS6detail17trampoline_kernelINS0_14default_configENS1_38merge_sort_block_merge_config_selectorIjN6thrust23THRUST_200600_302600_NS5tupleIffNS6_9null_typeES8_S8_S8_S8_S8_S8_S8_EEEEZZNS1_27merge_sort_block_merge_implIS3_NS6_6detail15normal_iteratorINS6_10device_ptrIjEEEENSD_INSE_IS9_EEEEjNS1_19radix_merge_compareILb0ELb1EjNS0_19identity_decomposerEEEEE10hipError_tT0_T1_T2_jT3_P12ihipStream_tbPNSt15iterator_traitsISN_E10value_typeEPNST_ISO_E10value_typeEPSP_NS1_7vsmem_tEENKUlT_SN_SO_SP_E_clIPjSG_PS9_SI_EESM_S12_SN_SO_SP_EUlS12_E1_NS1_11comp_targetILNS1_3genE9ELNS1_11target_archE1100ELNS1_3gpuE3ELNS1_3repE0EEENS1_36merge_oddeven_config_static_selectorELNS0_4arch9wavefront6targetE0EEEvSO_
	.globl	_ZN7rocprim17ROCPRIM_400000_NS6detail17trampoline_kernelINS0_14default_configENS1_38merge_sort_block_merge_config_selectorIjN6thrust23THRUST_200600_302600_NS5tupleIffNS6_9null_typeES8_S8_S8_S8_S8_S8_S8_EEEEZZNS1_27merge_sort_block_merge_implIS3_NS6_6detail15normal_iteratorINS6_10device_ptrIjEEEENSD_INSE_IS9_EEEEjNS1_19radix_merge_compareILb0ELb1EjNS0_19identity_decomposerEEEEE10hipError_tT0_T1_T2_jT3_P12ihipStream_tbPNSt15iterator_traitsISN_E10value_typeEPNST_ISO_E10value_typeEPSP_NS1_7vsmem_tEENKUlT_SN_SO_SP_E_clIPjSG_PS9_SI_EESM_S12_SN_SO_SP_EUlS12_E1_NS1_11comp_targetILNS1_3genE9ELNS1_11target_archE1100ELNS1_3gpuE3ELNS1_3repE0EEENS1_36merge_oddeven_config_static_selectorELNS0_4arch9wavefront6targetE0EEEvSO_
	.p2align	8
	.type	_ZN7rocprim17ROCPRIM_400000_NS6detail17trampoline_kernelINS0_14default_configENS1_38merge_sort_block_merge_config_selectorIjN6thrust23THRUST_200600_302600_NS5tupleIffNS6_9null_typeES8_S8_S8_S8_S8_S8_S8_EEEEZZNS1_27merge_sort_block_merge_implIS3_NS6_6detail15normal_iteratorINS6_10device_ptrIjEEEENSD_INSE_IS9_EEEEjNS1_19radix_merge_compareILb0ELb1EjNS0_19identity_decomposerEEEEE10hipError_tT0_T1_T2_jT3_P12ihipStream_tbPNSt15iterator_traitsISN_E10value_typeEPNST_ISO_E10value_typeEPSP_NS1_7vsmem_tEENKUlT_SN_SO_SP_E_clIPjSG_PS9_SI_EESM_S12_SN_SO_SP_EUlS12_E1_NS1_11comp_targetILNS1_3genE9ELNS1_11target_archE1100ELNS1_3gpuE3ELNS1_3repE0EEENS1_36merge_oddeven_config_static_selectorELNS0_4arch9wavefront6targetE0EEEvSO_,@function
_ZN7rocprim17ROCPRIM_400000_NS6detail17trampoline_kernelINS0_14default_configENS1_38merge_sort_block_merge_config_selectorIjN6thrust23THRUST_200600_302600_NS5tupleIffNS6_9null_typeES8_S8_S8_S8_S8_S8_S8_EEEEZZNS1_27merge_sort_block_merge_implIS3_NS6_6detail15normal_iteratorINS6_10device_ptrIjEEEENSD_INSE_IS9_EEEEjNS1_19radix_merge_compareILb0ELb1EjNS0_19identity_decomposerEEEEE10hipError_tT0_T1_T2_jT3_P12ihipStream_tbPNSt15iterator_traitsISN_E10value_typeEPNST_ISO_E10value_typeEPSP_NS1_7vsmem_tEENKUlT_SN_SO_SP_E_clIPjSG_PS9_SI_EESM_S12_SN_SO_SP_EUlS12_E1_NS1_11comp_targetILNS1_3genE9ELNS1_11target_archE1100ELNS1_3gpuE3ELNS1_3repE0EEENS1_36merge_oddeven_config_static_selectorELNS0_4arch9wavefront6targetE0EEEvSO_: ; @_ZN7rocprim17ROCPRIM_400000_NS6detail17trampoline_kernelINS0_14default_configENS1_38merge_sort_block_merge_config_selectorIjN6thrust23THRUST_200600_302600_NS5tupleIffNS6_9null_typeES8_S8_S8_S8_S8_S8_S8_EEEEZZNS1_27merge_sort_block_merge_implIS3_NS6_6detail15normal_iteratorINS6_10device_ptrIjEEEENSD_INSE_IS9_EEEEjNS1_19radix_merge_compareILb0ELb1EjNS0_19identity_decomposerEEEEE10hipError_tT0_T1_T2_jT3_P12ihipStream_tbPNSt15iterator_traitsISN_E10value_typeEPNST_ISO_E10value_typeEPSP_NS1_7vsmem_tEENKUlT_SN_SO_SP_E_clIPjSG_PS9_SI_EESM_S12_SN_SO_SP_EUlS12_E1_NS1_11comp_targetILNS1_3genE9ELNS1_11target_archE1100ELNS1_3gpuE3ELNS1_3repE0EEENS1_36merge_oddeven_config_static_selectorELNS0_4arch9wavefront6targetE0EEEvSO_
; %bb.0:
	.section	.rodata,"a",@progbits
	.p2align	6, 0x0
	.amdhsa_kernel _ZN7rocprim17ROCPRIM_400000_NS6detail17trampoline_kernelINS0_14default_configENS1_38merge_sort_block_merge_config_selectorIjN6thrust23THRUST_200600_302600_NS5tupleIffNS6_9null_typeES8_S8_S8_S8_S8_S8_S8_EEEEZZNS1_27merge_sort_block_merge_implIS3_NS6_6detail15normal_iteratorINS6_10device_ptrIjEEEENSD_INSE_IS9_EEEEjNS1_19radix_merge_compareILb0ELb1EjNS0_19identity_decomposerEEEEE10hipError_tT0_T1_T2_jT3_P12ihipStream_tbPNSt15iterator_traitsISN_E10value_typeEPNST_ISO_E10value_typeEPSP_NS1_7vsmem_tEENKUlT_SN_SO_SP_E_clIPjSG_PS9_SI_EESM_S12_SN_SO_SP_EUlS12_E1_NS1_11comp_targetILNS1_3genE9ELNS1_11target_archE1100ELNS1_3gpuE3ELNS1_3repE0EEENS1_36merge_oddeven_config_static_selectorELNS0_4arch9wavefront6targetE0EEEvSO_
		.amdhsa_group_segment_fixed_size 0
		.amdhsa_private_segment_fixed_size 0
		.amdhsa_kernarg_size 48
		.amdhsa_user_sgpr_count 6
		.amdhsa_user_sgpr_private_segment_buffer 1
		.amdhsa_user_sgpr_dispatch_ptr 0
		.amdhsa_user_sgpr_queue_ptr 0
		.amdhsa_user_sgpr_kernarg_segment_ptr 1
		.amdhsa_user_sgpr_dispatch_id 0
		.amdhsa_user_sgpr_flat_scratch_init 0
		.amdhsa_user_sgpr_private_segment_size 0
		.amdhsa_wavefront_size32 1
		.amdhsa_uses_dynamic_stack 0
		.amdhsa_system_sgpr_private_segment_wavefront_offset 0
		.amdhsa_system_sgpr_workgroup_id_x 1
		.amdhsa_system_sgpr_workgroup_id_y 0
		.amdhsa_system_sgpr_workgroup_id_z 0
		.amdhsa_system_sgpr_workgroup_info 0
		.amdhsa_system_vgpr_workitem_id 0
		.amdhsa_next_free_vgpr 1
		.amdhsa_next_free_sgpr 1
		.amdhsa_reserve_vcc 0
		.amdhsa_reserve_flat_scratch 0
		.amdhsa_float_round_mode_32 0
		.amdhsa_float_round_mode_16_64 0
		.amdhsa_float_denorm_mode_32 3
		.amdhsa_float_denorm_mode_16_64 3
		.amdhsa_dx10_clamp 1
		.amdhsa_ieee_mode 1
		.amdhsa_fp16_overflow 0
		.amdhsa_workgroup_processor_mode 1
		.amdhsa_memory_ordered 1
		.amdhsa_forward_progress 1
		.amdhsa_shared_vgpr_count 0
		.amdhsa_exception_fp_ieee_invalid_op 0
		.amdhsa_exception_fp_denorm_src 0
		.amdhsa_exception_fp_ieee_div_zero 0
		.amdhsa_exception_fp_ieee_overflow 0
		.amdhsa_exception_fp_ieee_underflow 0
		.amdhsa_exception_fp_ieee_inexact 0
		.amdhsa_exception_int_div_zero 0
	.end_amdhsa_kernel
	.section	.text._ZN7rocprim17ROCPRIM_400000_NS6detail17trampoline_kernelINS0_14default_configENS1_38merge_sort_block_merge_config_selectorIjN6thrust23THRUST_200600_302600_NS5tupleIffNS6_9null_typeES8_S8_S8_S8_S8_S8_S8_EEEEZZNS1_27merge_sort_block_merge_implIS3_NS6_6detail15normal_iteratorINS6_10device_ptrIjEEEENSD_INSE_IS9_EEEEjNS1_19radix_merge_compareILb0ELb1EjNS0_19identity_decomposerEEEEE10hipError_tT0_T1_T2_jT3_P12ihipStream_tbPNSt15iterator_traitsISN_E10value_typeEPNST_ISO_E10value_typeEPSP_NS1_7vsmem_tEENKUlT_SN_SO_SP_E_clIPjSG_PS9_SI_EESM_S12_SN_SO_SP_EUlS12_E1_NS1_11comp_targetILNS1_3genE9ELNS1_11target_archE1100ELNS1_3gpuE3ELNS1_3repE0EEENS1_36merge_oddeven_config_static_selectorELNS0_4arch9wavefront6targetE0EEEvSO_,"axG",@progbits,_ZN7rocprim17ROCPRIM_400000_NS6detail17trampoline_kernelINS0_14default_configENS1_38merge_sort_block_merge_config_selectorIjN6thrust23THRUST_200600_302600_NS5tupleIffNS6_9null_typeES8_S8_S8_S8_S8_S8_S8_EEEEZZNS1_27merge_sort_block_merge_implIS3_NS6_6detail15normal_iteratorINS6_10device_ptrIjEEEENSD_INSE_IS9_EEEEjNS1_19radix_merge_compareILb0ELb1EjNS0_19identity_decomposerEEEEE10hipError_tT0_T1_T2_jT3_P12ihipStream_tbPNSt15iterator_traitsISN_E10value_typeEPNST_ISO_E10value_typeEPSP_NS1_7vsmem_tEENKUlT_SN_SO_SP_E_clIPjSG_PS9_SI_EESM_S12_SN_SO_SP_EUlS12_E1_NS1_11comp_targetILNS1_3genE9ELNS1_11target_archE1100ELNS1_3gpuE3ELNS1_3repE0EEENS1_36merge_oddeven_config_static_selectorELNS0_4arch9wavefront6targetE0EEEvSO_,comdat
.Lfunc_end113:
	.size	_ZN7rocprim17ROCPRIM_400000_NS6detail17trampoline_kernelINS0_14default_configENS1_38merge_sort_block_merge_config_selectorIjN6thrust23THRUST_200600_302600_NS5tupleIffNS6_9null_typeES8_S8_S8_S8_S8_S8_S8_EEEEZZNS1_27merge_sort_block_merge_implIS3_NS6_6detail15normal_iteratorINS6_10device_ptrIjEEEENSD_INSE_IS9_EEEEjNS1_19radix_merge_compareILb0ELb1EjNS0_19identity_decomposerEEEEE10hipError_tT0_T1_T2_jT3_P12ihipStream_tbPNSt15iterator_traitsISN_E10value_typeEPNST_ISO_E10value_typeEPSP_NS1_7vsmem_tEENKUlT_SN_SO_SP_E_clIPjSG_PS9_SI_EESM_S12_SN_SO_SP_EUlS12_E1_NS1_11comp_targetILNS1_3genE9ELNS1_11target_archE1100ELNS1_3gpuE3ELNS1_3repE0EEENS1_36merge_oddeven_config_static_selectorELNS0_4arch9wavefront6targetE0EEEvSO_, .Lfunc_end113-_ZN7rocprim17ROCPRIM_400000_NS6detail17trampoline_kernelINS0_14default_configENS1_38merge_sort_block_merge_config_selectorIjN6thrust23THRUST_200600_302600_NS5tupleIffNS6_9null_typeES8_S8_S8_S8_S8_S8_S8_EEEEZZNS1_27merge_sort_block_merge_implIS3_NS6_6detail15normal_iteratorINS6_10device_ptrIjEEEENSD_INSE_IS9_EEEEjNS1_19radix_merge_compareILb0ELb1EjNS0_19identity_decomposerEEEEE10hipError_tT0_T1_T2_jT3_P12ihipStream_tbPNSt15iterator_traitsISN_E10value_typeEPNST_ISO_E10value_typeEPSP_NS1_7vsmem_tEENKUlT_SN_SO_SP_E_clIPjSG_PS9_SI_EESM_S12_SN_SO_SP_EUlS12_E1_NS1_11comp_targetILNS1_3genE9ELNS1_11target_archE1100ELNS1_3gpuE3ELNS1_3repE0EEENS1_36merge_oddeven_config_static_selectorELNS0_4arch9wavefront6targetE0EEEvSO_
                                        ; -- End function
	.set _ZN7rocprim17ROCPRIM_400000_NS6detail17trampoline_kernelINS0_14default_configENS1_38merge_sort_block_merge_config_selectorIjN6thrust23THRUST_200600_302600_NS5tupleIffNS6_9null_typeES8_S8_S8_S8_S8_S8_S8_EEEEZZNS1_27merge_sort_block_merge_implIS3_NS6_6detail15normal_iteratorINS6_10device_ptrIjEEEENSD_INSE_IS9_EEEEjNS1_19radix_merge_compareILb0ELb1EjNS0_19identity_decomposerEEEEE10hipError_tT0_T1_T2_jT3_P12ihipStream_tbPNSt15iterator_traitsISN_E10value_typeEPNST_ISO_E10value_typeEPSP_NS1_7vsmem_tEENKUlT_SN_SO_SP_E_clIPjSG_PS9_SI_EESM_S12_SN_SO_SP_EUlS12_E1_NS1_11comp_targetILNS1_3genE9ELNS1_11target_archE1100ELNS1_3gpuE3ELNS1_3repE0EEENS1_36merge_oddeven_config_static_selectorELNS0_4arch9wavefront6targetE0EEEvSO_.num_vgpr, 0
	.set _ZN7rocprim17ROCPRIM_400000_NS6detail17trampoline_kernelINS0_14default_configENS1_38merge_sort_block_merge_config_selectorIjN6thrust23THRUST_200600_302600_NS5tupleIffNS6_9null_typeES8_S8_S8_S8_S8_S8_S8_EEEEZZNS1_27merge_sort_block_merge_implIS3_NS6_6detail15normal_iteratorINS6_10device_ptrIjEEEENSD_INSE_IS9_EEEEjNS1_19radix_merge_compareILb0ELb1EjNS0_19identity_decomposerEEEEE10hipError_tT0_T1_T2_jT3_P12ihipStream_tbPNSt15iterator_traitsISN_E10value_typeEPNST_ISO_E10value_typeEPSP_NS1_7vsmem_tEENKUlT_SN_SO_SP_E_clIPjSG_PS9_SI_EESM_S12_SN_SO_SP_EUlS12_E1_NS1_11comp_targetILNS1_3genE9ELNS1_11target_archE1100ELNS1_3gpuE3ELNS1_3repE0EEENS1_36merge_oddeven_config_static_selectorELNS0_4arch9wavefront6targetE0EEEvSO_.num_agpr, 0
	.set _ZN7rocprim17ROCPRIM_400000_NS6detail17trampoline_kernelINS0_14default_configENS1_38merge_sort_block_merge_config_selectorIjN6thrust23THRUST_200600_302600_NS5tupleIffNS6_9null_typeES8_S8_S8_S8_S8_S8_S8_EEEEZZNS1_27merge_sort_block_merge_implIS3_NS6_6detail15normal_iteratorINS6_10device_ptrIjEEEENSD_INSE_IS9_EEEEjNS1_19radix_merge_compareILb0ELb1EjNS0_19identity_decomposerEEEEE10hipError_tT0_T1_T2_jT3_P12ihipStream_tbPNSt15iterator_traitsISN_E10value_typeEPNST_ISO_E10value_typeEPSP_NS1_7vsmem_tEENKUlT_SN_SO_SP_E_clIPjSG_PS9_SI_EESM_S12_SN_SO_SP_EUlS12_E1_NS1_11comp_targetILNS1_3genE9ELNS1_11target_archE1100ELNS1_3gpuE3ELNS1_3repE0EEENS1_36merge_oddeven_config_static_selectorELNS0_4arch9wavefront6targetE0EEEvSO_.numbered_sgpr, 0
	.set _ZN7rocprim17ROCPRIM_400000_NS6detail17trampoline_kernelINS0_14default_configENS1_38merge_sort_block_merge_config_selectorIjN6thrust23THRUST_200600_302600_NS5tupleIffNS6_9null_typeES8_S8_S8_S8_S8_S8_S8_EEEEZZNS1_27merge_sort_block_merge_implIS3_NS6_6detail15normal_iteratorINS6_10device_ptrIjEEEENSD_INSE_IS9_EEEEjNS1_19radix_merge_compareILb0ELb1EjNS0_19identity_decomposerEEEEE10hipError_tT0_T1_T2_jT3_P12ihipStream_tbPNSt15iterator_traitsISN_E10value_typeEPNST_ISO_E10value_typeEPSP_NS1_7vsmem_tEENKUlT_SN_SO_SP_E_clIPjSG_PS9_SI_EESM_S12_SN_SO_SP_EUlS12_E1_NS1_11comp_targetILNS1_3genE9ELNS1_11target_archE1100ELNS1_3gpuE3ELNS1_3repE0EEENS1_36merge_oddeven_config_static_selectorELNS0_4arch9wavefront6targetE0EEEvSO_.num_named_barrier, 0
	.set _ZN7rocprim17ROCPRIM_400000_NS6detail17trampoline_kernelINS0_14default_configENS1_38merge_sort_block_merge_config_selectorIjN6thrust23THRUST_200600_302600_NS5tupleIffNS6_9null_typeES8_S8_S8_S8_S8_S8_S8_EEEEZZNS1_27merge_sort_block_merge_implIS3_NS6_6detail15normal_iteratorINS6_10device_ptrIjEEEENSD_INSE_IS9_EEEEjNS1_19radix_merge_compareILb0ELb1EjNS0_19identity_decomposerEEEEE10hipError_tT0_T1_T2_jT3_P12ihipStream_tbPNSt15iterator_traitsISN_E10value_typeEPNST_ISO_E10value_typeEPSP_NS1_7vsmem_tEENKUlT_SN_SO_SP_E_clIPjSG_PS9_SI_EESM_S12_SN_SO_SP_EUlS12_E1_NS1_11comp_targetILNS1_3genE9ELNS1_11target_archE1100ELNS1_3gpuE3ELNS1_3repE0EEENS1_36merge_oddeven_config_static_selectorELNS0_4arch9wavefront6targetE0EEEvSO_.private_seg_size, 0
	.set _ZN7rocprim17ROCPRIM_400000_NS6detail17trampoline_kernelINS0_14default_configENS1_38merge_sort_block_merge_config_selectorIjN6thrust23THRUST_200600_302600_NS5tupleIffNS6_9null_typeES8_S8_S8_S8_S8_S8_S8_EEEEZZNS1_27merge_sort_block_merge_implIS3_NS6_6detail15normal_iteratorINS6_10device_ptrIjEEEENSD_INSE_IS9_EEEEjNS1_19radix_merge_compareILb0ELb1EjNS0_19identity_decomposerEEEEE10hipError_tT0_T1_T2_jT3_P12ihipStream_tbPNSt15iterator_traitsISN_E10value_typeEPNST_ISO_E10value_typeEPSP_NS1_7vsmem_tEENKUlT_SN_SO_SP_E_clIPjSG_PS9_SI_EESM_S12_SN_SO_SP_EUlS12_E1_NS1_11comp_targetILNS1_3genE9ELNS1_11target_archE1100ELNS1_3gpuE3ELNS1_3repE0EEENS1_36merge_oddeven_config_static_selectorELNS0_4arch9wavefront6targetE0EEEvSO_.uses_vcc, 0
	.set _ZN7rocprim17ROCPRIM_400000_NS6detail17trampoline_kernelINS0_14default_configENS1_38merge_sort_block_merge_config_selectorIjN6thrust23THRUST_200600_302600_NS5tupleIffNS6_9null_typeES8_S8_S8_S8_S8_S8_S8_EEEEZZNS1_27merge_sort_block_merge_implIS3_NS6_6detail15normal_iteratorINS6_10device_ptrIjEEEENSD_INSE_IS9_EEEEjNS1_19radix_merge_compareILb0ELb1EjNS0_19identity_decomposerEEEEE10hipError_tT0_T1_T2_jT3_P12ihipStream_tbPNSt15iterator_traitsISN_E10value_typeEPNST_ISO_E10value_typeEPSP_NS1_7vsmem_tEENKUlT_SN_SO_SP_E_clIPjSG_PS9_SI_EESM_S12_SN_SO_SP_EUlS12_E1_NS1_11comp_targetILNS1_3genE9ELNS1_11target_archE1100ELNS1_3gpuE3ELNS1_3repE0EEENS1_36merge_oddeven_config_static_selectorELNS0_4arch9wavefront6targetE0EEEvSO_.uses_flat_scratch, 0
	.set _ZN7rocprim17ROCPRIM_400000_NS6detail17trampoline_kernelINS0_14default_configENS1_38merge_sort_block_merge_config_selectorIjN6thrust23THRUST_200600_302600_NS5tupleIffNS6_9null_typeES8_S8_S8_S8_S8_S8_S8_EEEEZZNS1_27merge_sort_block_merge_implIS3_NS6_6detail15normal_iteratorINS6_10device_ptrIjEEEENSD_INSE_IS9_EEEEjNS1_19radix_merge_compareILb0ELb1EjNS0_19identity_decomposerEEEEE10hipError_tT0_T1_T2_jT3_P12ihipStream_tbPNSt15iterator_traitsISN_E10value_typeEPNST_ISO_E10value_typeEPSP_NS1_7vsmem_tEENKUlT_SN_SO_SP_E_clIPjSG_PS9_SI_EESM_S12_SN_SO_SP_EUlS12_E1_NS1_11comp_targetILNS1_3genE9ELNS1_11target_archE1100ELNS1_3gpuE3ELNS1_3repE0EEENS1_36merge_oddeven_config_static_selectorELNS0_4arch9wavefront6targetE0EEEvSO_.has_dyn_sized_stack, 0
	.set _ZN7rocprim17ROCPRIM_400000_NS6detail17trampoline_kernelINS0_14default_configENS1_38merge_sort_block_merge_config_selectorIjN6thrust23THRUST_200600_302600_NS5tupleIffNS6_9null_typeES8_S8_S8_S8_S8_S8_S8_EEEEZZNS1_27merge_sort_block_merge_implIS3_NS6_6detail15normal_iteratorINS6_10device_ptrIjEEEENSD_INSE_IS9_EEEEjNS1_19radix_merge_compareILb0ELb1EjNS0_19identity_decomposerEEEEE10hipError_tT0_T1_T2_jT3_P12ihipStream_tbPNSt15iterator_traitsISN_E10value_typeEPNST_ISO_E10value_typeEPSP_NS1_7vsmem_tEENKUlT_SN_SO_SP_E_clIPjSG_PS9_SI_EESM_S12_SN_SO_SP_EUlS12_E1_NS1_11comp_targetILNS1_3genE9ELNS1_11target_archE1100ELNS1_3gpuE3ELNS1_3repE0EEENS1_36merge_oddeven_config_static_selectorELNS0_4arch9wavefront6targetE0EEEvSO_.has_recursion, 0
	.set _ZN7rocprim17ROCPRIM_400000_NS6detail17trampoline_kernelINS0_14default_configENS1_38merge_sort_block_merge_config_selectorIjN6thrust23THRUST_200600_302600_NS5tupleIffNS6_9null_typeES8_S8_S8_S8_S8_S8_S8_EEEEZZNS1_27merge_sort_block_merge_implIS3_NS6_6detail15normal_iteratorINS6_10device_ptrIjEEEENSD_INSE_IS9_EEEEjNS1_19radix_merge_compareILb0ELb1EjNS0_19identity_decomposerEEEEE10hipError_tT0_T1_T2_jT3_P12ihipStream_tbPNSt15iterator_traitsISN_E10value_typeEPNST_ISO_E10value_typeEPSP_NS1_7vsmem_tEENKUlT_SN_SO_SP_E_clIPjSG_PS9_SI_EESM_S12_SN_SO_SP_EUlS12_E1_NS1_11comp_targetILNS1_3genE9ELNS1_11target_archE1100ELNS1_3gpuE3ELNS1_3repE0EEENS1_36merge_oddeven_config_static_selectorELNS0_4arch9wavefront6targetE0EEEvSO_.has_indirect_call, 0
	.section	.AMDGPU.csdata,"",@progbits
; Kernel info:
; codeLenInByte = 0
; TotalNumSgprs: 0
; NumVgprs: 0
; ScratchSize: 0
; MemoryBound: 0
; FloatMode: 240
; IeeeMode: 1
; LDSByteSize: 0 bytes/workgroup (compile time only)
; SGPRBlocks: 0
; VGPRBlocks: 0
; NumSGPRsForWavesPerEU: 1
; NumVGPRsForWavesPerEU: 1
; Occupancy: 16
; WaveLimiterHint : 0
; COMPUTE_PGM_RSRC2:SCRATCH_EN: 0
; COMPUTE_PGM_RSRC2:USER_SGPR: 6
; COMPUTE_PGM_RSRC2:TRAP_HANDLER: 0
; COMPUTE_PGM_RSRC2:TGID_X_EN: 1
; COMPUTE_PGM_RSRC2:TGID_Y_EN: 0
; COMPUTE_PGM_RSRC2:TGID_Z_EN: 0
; COMPUTE_PGM_RSRC2:TIDIG_COMP_CNT: 0
	.section	.text._ZN7rocprim17ROCPRIM_400000_NS6detail17trampoline_kernelINS0_14default_configENS1_38merge_sort_block_merge_config_selectorIjN6thrust23THRUST_200600_302600_NS5tupleIffNS6_9null_typeES8_S8_S8_S8_S8_S8_S8_EEEEZZNS1_27merge_sort_block_merge_implIS3_NS6_6detail15normal_iteratorINS6_10device_ptrIjEEEENSD_INSE_IS9_EEEEjNS1_19radix_merge_compareILb0ELb1EjNS0_19identity_decomposerEEEEE10hipError_tT0_T1_T2_jT3_P12ihipStream_tbPNSt15iterator_traitsISN_E10value_typeEPNST_ISO_E10value_typeEPSP_NS1_7vsmem_tEENKUlT_SN_SO_SP_E_clIPjSG_PS9_SI_EESM_S12_SN_SO_SP_EUlS12_E1_NS1_11comp_targetILNS1_3genE8ELNS1_11target_archE1030ELNS1_3gpuE2ELNS1_3repE0EEENS1_36merge_oddeven_config_static_selectorELNS0_4arch9wavefront6targetE0EEEvSO_,"axG",@progbits,_ZN7rocprim17ROCPRIM_400000_NS6detail17trampoline_kernelINS0_14default_configENS1_38merge_sort_block_merge_config_selectorIjN6thrust23THRUST_200600_302600_NS5tupleIffNS6_9null_typeES8_S8_S8_S8_S8_S8_S8_EEEEZZNS1_27merge_sort_block_merge_implIS3_NS6_6detail15normal_iteratorINS6_10device_ptrIjEEEENSD_INSE_IS9_EEEEjNS1_19radix_merge_compareILb0ELb1EjNS0_19identity_decomposerEEEEE10hipError_tT0_T1_T2_jT3_P12ihipStream_tbPNSt15iterator_traitsISN_E10value_typeEPNST_ISO_E10value_typeEPSP_NS1_7vsmem_tEENKUlT_SN_SO_SP_E_clIPjSG_PS9_SI_EESM_S12_SN_SO_SP_EUlS12_E1_NS1_11comp_targetILNS1_3genE8ELNS1_11target_archE1030ELNS1_3gpuE2ELNS1_3repE0EEENS1_36merge_oddeven_config_static_selectorELNS0_4arch9wavefront6targetE0EEEvSO_,comdat
	.protected	_ZN7rocprim17ROCPRIM_400000_NS6detail17trampoline_kernelINS0_14default_configENS1_38merge_sort_block_merge_config_selectorIjN6thrust23THRUST_200600_302600_NS5tupleIffNS6_9null_typeES8_S8_S8_S8_S8_S8_S8_EEEEZZNS1_27merge_sort_block_merge_implIS3_NS6_6detail15normal_iteratorINS6_10device_ptrIjEEEENSD_INSE_IS9_EEEEjNS1_19radix_merge_compareILb0ELb1EjNS0_19identity_decomposerEEEEE10hipError_tT0_T1_T2_jT3_P12ihipStream_tbPNSt15iterator_traitsISN_E10value_typeEPNST_ISO_E10value_typeEPSP_NS1_7vsmem_tEENKUlT_SN_SO_SP_E_clIPjSG_PS9_SI_EESM_S12_SN_SO_SP_EUlS12_E1_NS1_11comp_targetILNS1_3genE8ELNS1_11target_archE1030ELNS1_3gpuE2ELNS1_3repE0EEENS1_36merge_oddeven_config_static_selectorELNS0_4arch9wavefront6targetE0EEEvSO_ ; -- Begin function _ZN7rocprim17ROCPRIM_400000_NS6detail17trampoline_kernelINS0_14default_configENS1_38merge_sort_block_merge_config_selectorIjN6thrust23THRUST_200600_302600_NS5tupleIffNS6_9null_typeES8_S8_S8_S8_S8_S8_S8_EEEEZZNS1_27merge_sort_block_merge_implIS3_NS6_6detail15normal_iteratorINS6_10device_ptrIjEEEENSD_INSE_IS9_EEEEjNS1_19radix_merge_compareILb0ELb1EjNS0_19identity_decomposerEEEEE10hipError_tT0_T1_T2_jT3_P12ihipStream_tbPNSt15iterator_traitsISN_E10value_typeEPNST_ISO_E10value_typeEPSP_NS1_7vsmem_tEENKUlT_SN_SO_SP_E_clIPjSG_PS9_SI_EESM_S12_SN_SO_SP_EUlS12_E1_NS1_11comp_targetILNS1_3genE8ELNS1_11target_archE1030ELNS1_3gpuE2ELNS1_3repE0EEENS1_36merge_oddeven_config_static_selectorELNS0_4arch9wavefront6targetE0EEEvSO_
	.globl	_ZN7rocprim17ROCPRIM_400000_NS6detail17trampoline_kernelINS0_14default_configENS1_38merge_sort_block_merge_config_selectorIjN6thrust23THRUST_200600_302600_NS5tupleIffNS6_9null_typeES8_S8_S8_S8_S8_S8_S8_EEEEZZNS1_27merge_sort_block_merge_implIS3_NS6_6detail15normal_iteratorINS6_10device_ptrIjEEEENSD_INSE_IS9_EEEEjNS1_19radix_merge_compareILb0ELb1EjNS0_19identity_decomposerEEEEE10hipError_tT0_T1_T2_jT3_P12ihipStream_tbPNSt15iterator_traitsISN_E10value_typeEPNST_ISO_E10value_typeEPSP_NS1_7vsmem_tEENKUlT_SN_SO_SP_E_clIPjSG_PS9_SI_EESM_S12_SN_SO_SP_EUlS12_E1_NS1_11comp_targetILNS1_3genE8ELNS1_11target_archE1030ELNS1_3gpuE2ELNS1_3repE0EEENS1_36merge_oddeven_config_static_selectorELNS0_4arch9wavefront6targetE0EEEvSO_
	.p2align	8
	.type	_ZN7rocprim17ROCPRIM_400000_NS6detail17trampoline_kernelINS0_14default_configENS1_38merge_sort_block_merge_config_selectorIjN6thrust23THRUST_200600_302600_NS5tupleIffNS6_9null_typeES8_S8_S8_S8_S8_S8_S8_EEEEZZNS1_27merge_sort_block_merge_implIS3_NS6_6detail15normal_iteratorINS6_10device_ptrIjEEEENSD_INSE_IS9_EEEEjNS1_19radix_merge_compareILb0ELb1EjNS0_19identity_decomposerEEEEE10hipError_tT0_T1_T2_jT3_P12ihipStream_tbPNSt15iterator_traitsISN_E10value_typeEPNST_ISO_E10value_typeEPSP_NS1_7vsmem_tEENKUlT_SN_SO_SP_E_clIPjSG_PS9_SI_EESM_S12_SN_SO_SP_EUlS12_E1_NS1_11comp_targetILNS1_3genE8ELNS1_11target_archE1030ELNS1_3gpuE2ELNS1_3repE0EEENS1_36merge_oddeven_config_static_selectorELNS0_4arch9wavefront6targetE0EEEvSO_,@function
_ZN7rocprim17ROCPRIM_400000_NS6detail17trampoline_kernelINS0_14default_configENS1_38merge_sort_block_merge_config_selectorIjN6thrust23THRUST_200600_302600_NS5tupleIffNS6_9null_typeES8_S8_S8_S8_S8_S8_S8_EEEEZZNS1_27merge_sort_block_merge_implIS3_NS6_6detail15normal_iteratorINS6_10device_ptrIjEEEENSD_INSE_IS9_EEEEjNS1_19radix_merge_compareILb0ELb1EjNS0_19identity_decomposerEEEEE10hipError_tT0_T1_T2_jT3_P12ihipStream_tbPNSt15iterator_traitsISN_E10value_typeEPNST_ISO_E10value_typeEPSP_NS1_7vsmem_tEENKUlT_SN_SO_SP_E_clIPjSG_PS9_SI_EESM_S12_SN_SO_SP_EUlS12_E1_NS1_11comp_targetILNS1_3genE8ELNS1_11target_archE1030ELNS1_3gpuE2ELNS1_3repE0EEENS1_36merge_oddeven_config_static_selectorELNS0_4arch9wavefront6targetE0EEEvSO_: ; @_ZN7rocprim17ROCPRIM_400000_NS6detail17trampoline_kernelINS0_14default_configENS1_38merge_sort_block_merge_config_selectorIjN6thrust23THRUST_200600_302600_NS5tupleIffNS6_9null_typeES8_S8_S8_S8_S8_S8_S8_EEEEZZNS1_27merge_sort_block_merge_implIS3_NS6_6detail15normal_iteratorINS6_10device_ptrIjEEEENSD_INSE_IS9_EEEEjNS1_19radix_merge_compareILb0ELb1EjNS0_19identity_decomposerEEEEE10hipError_tT0_T1_T2_jT3_P12ihipStream_tbPNSt15iterator_traitsISN_E10value_typeEPNST_ISO_E10value_typeEPSP_NS1_7vsmem_tEENKUlT_SN_SO_SP_E_clIPjSG_PS9_SI_EESM_S12_SN_SO_SP_EUlS12_E1_NS1_11comp_targetILNS1_3genE8ELNS1_11target_archE1030ELNS1_3gpuE2ELNS1_3repE0EEENS1_36merge_oddeven_config_static_selectorELNS0_4arch9wavefront6targetE0EEEvSO_
; %bb.0:
	s_load_dword s7, s[4:5], 0x20
	s_lshl_b32 s2, s6, 8
	s_waitcnt lgkmcnt(0)
	s_lshr_b32 s0, s7, 8
	s_cmp_eq_u32 s6, s0
	s_cselect_b32 s16, -1, 0
	s_cmp_lg_u32 s6, s0
	s_cselect_b32 s0, -1, 0
	s_sub_i32 s1, s7, s2
	v_cmp_gt_u32_e64 s1, s1, v0
	s_or_b32 s0, s0, s1
	s_and_saveexec_b32 s3, s0
	s_cbranch_execz .LBB114_24
; %bb.1:
	s_load_dwordx8 s[8:15], s[4:5], 0x0
	s_mov_b32 s3, 0
	v_lshlrev_b32_e32 v1, 2, v0
	s_lshl_b64 s[18:19], s[2:3], 2
	v_lshlrev_b32_e32 v2, 3, v0
	v_add_nc_u32_e32 v3, s2, v0
	s_waitcnt lgkmcnt(0)
	s_add_u32 s18, s8, s18
	s_addc_u32 s19, s9, s19
	s_lshl_b64 s[20:21], s[2:3], 3
	s_mov_b32 s2, -1
	s_add_u32 s12, s12, s20
	s_addc_u32 s13, s13, s21
	global_load_dword v5, v1, s[18:19]
	global_load_dwordx2 v[1:2], v2, s[12:13]
	s_load_dword s12, s[4:5], 0x24
	s_waitcnt lgkmcnt(0)
	s_lshr_b32 s0, s12, 8
	s_sub_i32 s3, 0, s0
	s_and_b32 s3, s6, s3
	s_and_b32 s0, s3, s0
	s_lshl_b32 s6, s3, 8
	s_sub_i32 s3, 0, s12
	s_cmp_eq_u32 s0, 0
	s_cselect_b32 s0, -1, 0
	s_and_b32 s13, s0, exec_lo
	s_cselect_b32 s3, s12, s3
	s_add_i32 s3, s3, s6
	s_cmp_gt_u32 s7, s3
	s_cbranch_scc1 .LBB114_9
; %bb.2:
	s_and_b32 vcc_lo, exec_lo, s16
	s_cbranch_vccz .LBB114_6
; %bb.3:
	s_mov_b32 s2, exec_lo
	v_cmpx_gt_u32_e64 s7, v3
	s_cbranch_execz .LBB114_5
; %bb.4:
	v_mov_b32_e32 v4, 0
	v_lshlrev_b64 v[6:7], 2, v[3:4]
	v_lshlrev_b64 v[8:9], 3, v[3:4]
	v_add_co_u32 v6, vcc_lo, s10, v6
	v_add_co_ci_u32_e64 v7, null, s11, v7, vcc_lo
	v_add_co_u32 v8, vcc_lo, s14, v8
	v_add_co_ci_u32_e64 v9, null, s15, v9, vcc_lo
	s_waitcnt vmcnt(1)
	global_store_dword v[6:7], v5, off
	s_waitcnt vmcnt(0)
	global_store_dwordx2 v[8:9], v[1:2], off
.LBB114_5:
	s_or_b32 exec_lo, exec_lo, s2
	s_mov_b32 s2, 0
.LBB114_6:
	s_andn2_b32 vcc_lo, exec_lo, s2
	s_cbranch_vccnz .LBB114_8
; %bb.7:
	v_mov_b32_e32 v4, 0
	v_lshlrev_b64 v[6:7], 2, v[3:4]
	v_lshlrev_b64 v[8:9], 3, v[3:4]
	v_add_co_u32 v6, vcc_lo, s10, v6
	v_add_co_ci_u32_e64 v7, null, s11, v7, vcc_lo
	v_add_co_u32 v8, vcc_lo, s14, v8
	v_add_co_ci_u32_e64 v9, null, s15, v9, vcc_lo
	s_waitcnt vmcnt(1)
	global_store_dword v[6:7], v5, off
	s_waitcnt vmcnt(0)
	global_store_dwordx2 v[8:9], v[1:2], off
.LBB114_8:
	s_mov_b32 s2, 0
.LBB114_9:
	s_andn2_b32 vcc_lo, exec_lo, s2
	s_cbranch_vccnz .LBB114_24
; %bb.10:
	s_load_dword s2, s[4:5], 0x28
	s_min_u32 s4, s3, s7
	s_and_b32 vcc_lo, exec_lo, s16
	s_add_i32 s5, s6, s4
	s_min_u32 s6, s6, s4
	v_subrev_nc_u32_e32 v0, s5, v3
	s_add_i32 s5, s4, s12
	s_min_u32 s5, s5, s7
	v_add_nc_u32_e32 v0, s6, v0
	s_mov_b32 s6, -1
	s_waitcnt vmcnt(1) lgkmcnt(0)
	v_and_b32_e32 v6, s2, v5
	s_cbranch_vccz .LBB114_18
; %bb.11:
	s_and_saveexec_b32 s6, s1
	s_cbranch_execz .LBB114_17
; %bb.12:
	v_mov_b32_e32 v7, s4
	s_cmp_ge_u32 s3, s5
	s_cbranch_scc1 .LBB114_16
; %bb.13:
	v_mov_b32_e32 v8, s5
	v_mov_b32_e32 v7, s4
	v_mov_b32_e32 v4, 0
	s_mov_b32 s1, 0
	.p2align	6
.LBB114_14:                             ; =>This Inner Loop Header: Depth=1
	v_add_nc_u32_e32 v3, v7, v8
	v_lshrrev_b32_e32 v3, 1, v3
	v_lshlrev_b64 v[9:10], 2, v[3:4]
	v_add_co_u32 v9, vcc_lo, s8, v9
	v_add_co_ci_u32_e64 v10, null, s9, v10, vcc_lo
	global_load_dword v9, v[9:10], off
	s_waitcnt vmcnt(0)
	v_and_b32_e32 v9, s2, v9
	v_cmp_gt_u32_e32 vcc_lo, v6, v9
	v_cndmask_b32_e64 v10, 0, 1, vcc_lo
	v_cmp_le_u32_e32 vcc_lo, v9, v6
	v_cndmask_b32_e64 v9, 0, 1, vcc_lo
	v_cndmask_b32_e64 v9, v9, v10, s0
	v_add_nc_u32_e32 v10, 1, v3
	v_and_b32_e32 v9, 1, v9
	v_cmp_eq_u32_e32 vcc_lo, 1, v9
	v_cndmask_b32_e32 v8, v3, v8, vcc_lo
	v_cndmask_b32_e32 v7, v7, v10, vcc_lo
	v_cmp_ge_u32_e32 vcc_lo, v7, v8
	s_or_b32 s1, vcc_lo, s1
	s_andn2_b32 exec_lo, exec_lo, s1
	s_cbranch_execnz .LBB114_14
; %bb.15:
	s_or_b32 exec_lo, exec_lo, s1
.LBB114_16:
	v_add_nc_u32_e32 v3, v7, v0
	v_mov_b32_e32 v4, 0
	v_lshlrev_b64 v[7:8], 2, v[3:4]
	v_lshlrev_b64 v[3:4], 3, v[3:4]
	v_add_co_u32 v7, vcc_lo, s10, v7
	v_add_co_ci_u32_e64 v8, null, s11, v8, vcc_lo
	v_add_co_u32 v3, vcc_lo, s14, v3
	v_add_co_ci_u32_e64 v4, null, s15, v4, vcc_lo
	global_store_dword v[7:8], v5, off
	s_waitcnt vmcnt(0)
	global_store_dwordx2 v[3:4], v[1:2], off
.LBB114_17:
	s_or_b32 exec_lo, exec_lo, s6
	s_mov_b32 s6, 0
.LBB114_18:
	s_andn2_b32 vcc_lo, exec_lo, s6
	s_cbranch_vccnz .LBB114_24
; %bb.19:
	v_mov_b32_e32 v7, s4
	s_cmp_ge_u32 s3, s5
	s_cbranch_scc1 .LBB114_23
; %bb.20:
	v_mov_b32_e32 v8, s5
	v_mov_b32_e32 v7, s4
	;; [unrolled: 1-line block ×3, first 2 shown]
	s_mov_b32 s1, 0
	.p2align	6
.LBB114_21:                             ; =>This Inner Loop Header: Depth=1
	v_add_nc_u32_e32 v3, v7, v8
	v_lshrrev_b32_e32 v3, 1, v3
	v_lshlrev_b64 v[9:10], 2, v[3:4]
	v_add_co_u32 v9, vcc_lo, s8, v9
	v_add_co_ci_u32_e64 v10, null, s9, v10, vcc_lo
	global_load_dword v9, v[9:10], off
	s_waitcnt vmcnt(0)
	v_and_b32_e32 v9, s2, v9
	v_cmp_gt_u32_e32 vcc_lo, v6, v9
	v_cndmask_b32_e64 v10, 0, 1, vcc_lo
	v_cmp_le_u32_e32 vcc_lo, v9, v6
	v_cndmask_b32_e64 v9, 0, 1, vcc_lo
	v_cndmask_b32_e64 v9, v9, v10, s0
	v_add_nc_u32_e32 v10, 1, v3
	v_and_b32_e32 v9, 1, v9
	v_cmp_eq_u32_e32 vcc_lo, 1, v9
	v_cndmask_b32_e32 v8, v3, v8, vcc_lo
	v_cndmask_b32_e32 v7, v7, v10, vcc_lo
	v_cmp_ge_u32_e32 vcc_lo, v7, v8
	s_or_b32 s1, vcc_lo, s1
	s_andn2_b32 exec_lo, exec_lo, s1
	s_cbranch_execnz .LBB114_21
; %bb.22:
	s_or_b32 exec_lo, exec_lo, s1
.LBB114_23:
	v_add_nc_u32_e32 v3, v7, v0
	v_mov_b32_e32 v4, 0
	v_lshlrev_b64 v[6:7], 2, v[3:4]
	v_lshlrev_b64 v[3:4], 3, v[3:4]
	v_add_co_u32 v6, vcc_lo, s10, v6
	v_add_co_ci_u32_e64 v7, null, s11, v7, vcc_lo
	v_add_co_u32 v3, vcc_lo, s14, v3
	v_add_co_ci_u32_e64 v4, null, s15, v4, vcc_lo
	global_store_dword v[6:7], v5, off
	s_waitcnt vmcnt(0)
	global_store_dwordx2 v[3:4], v[1:2], off
.LBB114_24:
	s_endpgm
	.section	.rodata,"a",@progbits
	.p2align	6, 0x0
	.amdhsa_kernel _ZN7rocprim17ROCPRIM_400000_NS6detail17trampoline_kernelINS0_14default_configENS1_38merge_sort_block_merge_config_selectorIjN6thrust23THRUST_200600_302600_NS5tupleIffNS6_9null_typeES8_S8_S8_S8_S8_S8_S8_EEEEZZNS1_27merge_sort_block_merge_implIS3_NS6_6detail15normal_iteratorINS6_10device_ptrIjEEEENSD_INSE_IS9_EEEEjNS1_19radix_merge_compareILb0ELb1EjNS0_19identity_decomposerEEEEE10hipError_tT0_T1_T2_jT3_P12ihipStream_tbPNSt15iterator_traitsISN_E10value_typeEPNST_ISO_E10value_typeEPSP_NS1_7vsmem_tEENKUlT_SN_SO_SP_E_clIPjSG_PS9_SI_EESM_S12_SN_SO_SP_EUlS12_E1_NS1_11comp_targetILNS1_3genE8ELNS1_11target_archE1030ELNS1_3gpuE2ELNS1_3repE0EEENS1_36merge_oddeven_config_static_selectorELNS0_4arch9wavefront6targetE0EEEvSO_
		.amdhsa_group_segment_fixed_size 0
		.amdhsa_private_segment_fixed_size 0
		.amdhsa_kernarg_size 48
		.amdhsa_user_sgpr_count 6
		.amdhsa_user_sgpr_private_segment_buffer 1
		.amdhsa_user_sgpr_dispatch_ptr 0
		.amdhsa_user_sgpr_queue_ptr 0
		.amdhsa_user_sgpr_kernarg_segment_ptr 1
		.amdhsa_user_sgpr_dispatch_id 0
		.amdhsa_user_sgpr_flat_scratch_init 0
		.amdhsa_user_sgpr_private_segment_size 0
		.amdhsa_wavefront_size32 1
		.amdhsa_uses_dynamic_stack 0
		.amdhsa_system_sgpr_private_segment_wavefront_offset 0
		.amdhsa_system_sgpr_workgroup_id_x 1
		.amdhsa_system_sgpr_workgroup_id_y 0
		.amdhsa_system_sgpr_workgroup_id_z 0
		.amdhsa_system_sgpr_workgroup_info 0
		.amdhsa_system_vgpr_workitem_id 0
		.amdhsa_next_free_vgpr 11
		.amdhsa_next_free_sgpr 22
		.amdhsa_reserve_vcc 1
		.amdhsa_reserve_flat_scratch 0
		.amdhsa_float_round_mode_32 0
		.amdhsa_float_round_mode_16_64 0
		.amdhsa_float_denorm_mode_32 3
		.amdhsa_float_denorm_mode_16_64 3
		.amdhsa_dx10_clamp 1
		.amdhsa_ieee_mode 1
		.amdhsa_fp16_overflow 0
		.amdhsa_workgroup_processor_mode 1
		.amdhsa_memory_ordered 1
		.amdhsa_forward_progress 1
		.amdhsa_shared_vgpr_count 0
		.amdhsa_exception_fp_ieee_invalid_op 0
		.amdhsa_exception_fp_denorm_src 0
		.amdhsa_exception_fp_ieee_div_zero 0
		.amdhsa_exception_fp_ieee_overflow 0
		.amdhsa_exception_fp_ieee_underflow 0
		.amdhsa_exception_fp_ieee_inexact 0
		.amdhsa_exception_int_div_zero 0
	.end_amdhsa_kernel
	.section	.text._ZN7rocprim17ROCPRIM_400000_NS6detail17trampoline_kernelINS0_14default_configENS1_38merge_sort_block_merge_config_selectorIjN6thrust23THRUST_200600_302600_NS5tupleIffNS6_9null_typeES8_S8_S8_S8_S8_S8_S8_EEEEZZNS1_27merge_sort_block_merge_implIS3_NS6_6detail15normal_iteratorINS6_10device_ptrIjEEEENSD_INSE_IS9_EEEEjNS1_19radix_merge_compareILb0ELb1EjNS0_19identity_decomposerEEEEE10hipError_tT0_T1_T2_jT3_P12ihipStream_tbPNSt15iterator_traitsISN_E10value_typeEPNST_ISO_E10value_typeEPSP_NS1_7vsmem_tEENKUlT_SN_SO_SP_E_clIPjSG_PS9_SI_EESM_S12_SN_SO_SP_EUlS12_E1_NS1_11comp_targetILNS1_3genE8ELNS1_11target_archE1030ELNS1_3gpuE2ELNS1_3repE0EEENS1_36merge_oddeven_config_static_selectorELNS0_4arch9wavefront6targetE0EEEvSO_,"axG",@progbits,_ZN7rocprim17ROCPRIM_400000_NS6detail17trampoline_kernelINS0_14default_configENS1_38merge_sort_block_merge_config_selectorIjN6thrust23THRUST_200600_302600_NS5tupleIffNS6_9null_typeES8_S8_S8_S8_S8_S8_S8_EEEEZZNS1_27merge_sort_block_merge_implIS3_NS6_6detail15normal_iteratorINS6_10device_ptrIjEEEENSD_INSE_IS9_EEEEjNS1_19radix_merge_compareILb0ELb1EjNS0_19identity_decomposerEEEEE10hipError_tT0_T1_T2_jT3_P12ihipStream_tbPNSt15iterator_traitsISN_E10value_typeEPNST_ISO_E10value_typeEPSP_NS1_7vsmem_tEENKUlT_SN_SO_SP_E_clIPjSG_PS9_SI_EESM_S12_SN_SO_SP_EUlS12_E1_NS1_11comp_targetILNS1_3genE8ELNS1_11target_archE1030ELNS1_3gpuE2ELNS1_3repE0EEENS1_36merge_oddeven_config_static_selectorELNS0_4arch9wavefront6targetE0EEEvSO_,comdat
.Lfunc_end114:
	.size	_ZN7rocprim17ROCPRIM_400000_NS6detail17trampoline_kernelINS0_14default_configENS1_38merge_sort_block_merge_config_selectorIjN6thrust23THRUST_200600_302600_NS5tupleIffNS6_9null_typeES8_S8_S8_S8_S8_S8_S8_EEEEZZNS1_27merge_sort_block_merge_implIS3_NS6_6detail15normal_iteratorINS6_10device_ptrIjEEEENSD_INSE_IS9_EEEEjNS1_19radix_merge_compareILb0ELb1EjNS0_19identity_decomposerEEEEE10hipError_tT0_T1_T2_jT3_P12ihipStream_tbPNSt15iterator_traitsISN_E10value_typeEPNST_ISO_E10value_typeEPSP_NS1_7vsmem_tEENKUlT_SN_SO_SP_E_clIPjSG_PS9_SI_EESM_S12_SN_SO_SP_EUlS12_E1_NS1_11comp_targetILNS1_3genE8ELNS1_11target_archE1030ELNS1_3gpuE2ELNS1_3repE0EEENS1_36merge_oddeven_config_static_selectorELNS0_4arch9wavefront6targetE0EEEvSO_, .Lfunc_end114-_ZN7rocprim17ROCPRIM_400000_NS6detail17trampoline_kernelINS0_14default_configENS1_38merge_sort_block_merge_config_selectorIjN6thrust23THRUST_200600_302600_NS5tupleIffNS6_9null_typeES8_S8_S8_S8_S8_S8_S8_EEEEZZNS1_27merge_sort_block_merge_implIS3_NS6_6detail15normal_iteratorINS6_10device_ptrIjEEEENSD_INSE_IS9_EEEEjNS1_19radix_merge_compareILb0ELb1EjNS0_19identity_decomposerEEEEE10hipError_tT0_T1_T2_jT3_P12ihipStream_tbPNSt15iterator_traitsISN_E10value_typeEPNST_ISO_E10value_typeEPSP_NS1_7vsmem_tEENKUlT_SN_SO_SP_E_clIPjSG_PS9_SI_EESM_S12_SN_SO_SP_EUlS12_E1_NS1_11comp_targetILNS1_3genE8ELNS1_11target_archE1030ELNS1_3gpuE2ELNS1_3repE0EEENS1_36merge_oddeven_config_static_selectorELNS0_4arch9wavefront6targetE0EEEvSO_
                                        ; -- End function
	.set _ZN7rocprim17ROCPRIM_400000_NS6detail17trampoline_kernelINS0_14default_configENS1_38merge_sort_block_merge_config_selectorIjN6thrust23THRUST_200600_302600_NS5tupleIffNS6_9null_typeES8_S8_S8_S8_S8_S8_S8_EEEEZZNS1_27merge_sort_block_merge_implIS3_NS6_6detail15normal_iteratorINS6_10device_ptrIjEEEENSD_INSE_IS9_EEEEjNS1_19radix_merge_compareILb0ELb1EjNS0_19identity_decomposerEEEEE10hipError_tT0_T1_T2_jT3_P12ihipStream_tbPNSt15iterator_traitsISN_E10value_typeEPNST_ISO_E10value_typeEPSP_NS1_7vsmem_tEENKUlT_SN_SO_SP_E_clIPjSG_PS9_SI_EESM_S12_SN_SO_SP_EUlS12_E1_NS1_11comp_targetILNS1_3genE8ELNS1_11target_archE1030ELNS1_3gpuE2ELNS1_3repE0EEENS1_36merge_oddeven_config_static_selectorELNS0_4arch9wavefront6targetE0EEEvSO_.num_vgpr, 11
	.set _ZN7rocprim17ROCPRIM_400000_NS6detail17trampoline_kernelINS0_14default_configENS1_38merge_sort_block_merge_config_selectorIjN6thrust23THRUST_200600_302600_NS5tupleIffNS6_9null_typeES8_S8_S8_S8_S8_S8_S8_EEEEZZNS1_27merge_sort_block_merge_implIS3_NS6_6detail15normal_iteratorINS6_10device_ptrIjEEEENSD_INSE_IS9_EEEEjNS1_19radix_merge_compareILb0ELb1EjNS0_19identity_decomposerEEEEE10hipError_tT0_T1_T2_jT3_P12ihipStream_tbPNSt15iterator_traitsISN_E10value_typeEPNST_ISO_E10value_typeEPSP_NS1_7vsmem_tEENKUlT_SN_SO_SP_E_clIPjSG_PS9_SI_EESM_S12_SN_SO_SP_EUlS12_E1_NS1_11comp_targetILNS1_3genE8ELNS1_11target_archE1030ELNS1_3gpuE2ELNS1_3repE0EEENS1_36merge_oddeven_config_static_selectorELNS0_4arch9wavefront6targetE0EEEvSO_.num_agpr, 0
	.set _ZN7rocprim17ROCPRIM_400000_NS6detail17trampoline_kernelINS0_14default_configENS1_38merge_sort_block_merge_config_selectorIjN6thrust23THRUST_200600_302600_NS5tupleIffNS6_9null_typeES8_S8_S8_S8_S8_S8_S8_EEEEZZNS1_27merge_sort_block_merge_implIS3_NS6_6detail15normal_iteratorINS6_10device_ptrIjEEEENSD_INSE_IS9_EEEEjNS1_19radix_merge_compareILb0ELb1EjNS0_19identity_decomposerEEEEE10hipError_tT0_T1_T2_jT3_P12ihipStream_tbPNSt15iterator_traitsISN_E10value_typeEPNST_ISO_E10value_typeEPSP_NS1_7vsmem_tEENKUlT_SN_SO_SP_E_clIPjSG_PS9_SI_EESM_S12_SN_SO_SP_EUlS12_E1_NS1_11comp_targetILNS1_3genE8ELNS1_11target_archE1030ELNS1_3gpuE2ELNS1_3repE0EEENS1_36merge_oddeven_config_static_selectorELNS0_4arch9wavefront6targetE0EEEvSO_.numbered_sgpr, 22
	.set _ZN7rocprim17ROCPRIM_400000_NS6detail17trampoline_kernelINS0_14default_configENS1_38merge_sort_block_merge_config_selectorIjN6thrust23THRUST_200600_302600_NS5tupleIffNS6_9null_typeES8_S8_S8_S8_S8_S8_S8_EEEEZZNS1_27merge_sort_block_merge_implIS3_NS6_6detail15normal_iteratorINS6_10device_ptrIjEEEENSD_INSE_IS9_EEEEjNS1_19radix_merge_compareILb0ELb1EjNS0_19identity_decomposerEEEEE10hipError_tT0_T1_T2_jT3_P12ihipStream_tbPNSt15iterator_traitsISN_E10value_typeEPNST_ISO_E10value_typeEPSP_NS1_7vsmem_tEENKUlT_SN_SO_SP_E_clIPjSG_PS9_SI_EESM_S12_SN_SO_SP_EUlS12_E1_NS1_11comp_targetILNS1_3genE8ELNS1_11target_archE1030ELNS1_3gpuE2ELNS1_3repE0EEENS1_36merge_oddeven_config_static_selectorELNS0_4arch9wavefront6targetE0EEEvSO_.num_named_barrier, 0
	.set _ZN7rocprim17ROCPRIM_400000_NS6detail17trampoline_kernelINS0_14default_configENS1_38merge_sort_block_merge_config_selectorIjN6thrust23THRUST_200600_302600_NS5tupleIffNS6_9null_typeES8_S8_S8_S8_S8_S8_S8_EEEEZZNS1_27merge_sort_block_merge_implIS3_NS6_6detail15normal_iteratorINS6_10device_ptrIjEEEENSD_INSE_IS9_EEEEjNS1_19radix_merge_compareILb0ELb1EjNS0_19identity_decomposerEEEEE10hipError_tT0_T1_T2_jT3_P12ihipStream_tbPNSt15iterator_traitsISN_E10value_typeEPNST_ISO_E10value_typeEPSP_NS1_7vsmem_tEENKUlT_SN_SO_SP_E_clIPjSG_PS9_SI_EESM_S12_SN_SO_SP_EUlS12_E1_NS1_11comp_targetILNS1_3genE8ELNS1_11target_archE1030ELNS1_3gpuE2ELNS1_3repE0EEENS1_36merge_oddeven_config_static_selectorELNS0_4arch9wavefront6targetE0EEEvSO_.private_seg_size, 0
	.set _ZN7rocprim17ROCPRIM_400000_NS6detail17trampoline_kernelINS0_14default_configENS1_38merge_sort_block_merge_config_selectorIjN6thrust23THRUST_200600_302600_NS5tupleIffNS6_9null_typeES8_S8_S8_S8_S8_S8_S8_EEEEZZNS1_27merge_sort_block_merge_implIS3_NS6_6detail15normal_iteratorINS6_10device_ptrIjEEEENSD_INSE_IS9_EEEEjNS1_19radix_merge_compareILb0ELb1EjNS0_19identity_decomposerEEEEE10hipError_tT0_T1_T2_jT3_P12ihipStream_tbPNSt15iterator_traitsISN_E10value_typeEPNST_ISO_E10value_typeEPSP_NS1_7vsmem_tEENKUlT_SN_SO_SP_E_clIPjSG_PS9_SI_EESM_S12_SN_SO_SP_EUlS12_E1_NS1_11comp_targetILNS1_3genE8ELNS1_11target_archE1030ELNS1_3gpuE2ELNS1_3repE0EEENS1_36merge_oddeven_config_static_selectorELNS0_4arch9wavefront6targetE0EEEvSO_.uses_vcc, 1
	.set _ZN7rocprim17ROCPRIM_400000_NS6detail17trampoline_kernelINS0_14default_configENS1_38merge_sort_block_merge_config_selectorIjN6thrust23THRUST_200600_302600_NS5tupleIffNS6_9null_typeES8_S8_S8_S8_S8_S8_S8_EEEEZZNS1_27merge_sort_block_merge_implIS3_NS6_6detail15normal_iteratorINS6_10device_ptrIjEEEENSD_INSE_IS9_EEEEjNS1_19radix_merge_compareILb0ELb1EjNS0_19identity_decomposerEEEEE10hipError_tT0_T1_T2_jT3_P12ihipStream_tbPNSt15iterator_traitsISN_E10value_typeEPNST_ISO_E10value_typeEPSP_NS1_7vsmem_tEENKUlT_SN_SO_SP_E_clIPjSG_PS9_SI_EESM_S12_SN_SO_SP_EUlS12_E1_NS1_11comp_targetILNS1_3genE8ELNS1_11target_archE1030ELNS1_3gpuE2ELNS1_3repE0EEENS1_36merge_oddeven_config_static_selectorELNS0_4arch9wavefront6targetE0EEEvSO_.uses_flat_scratch, 0
	.set _ZN7rocprim17ROCPRIM_400000_NS6detail17trampoline_kernelINS0_14default_configENS1_38merge_sort_block_merge_config_selectorIjN6thrust23THRUST_200600_302600_NS5tupleIffNS6_9null_typeES8_S8_S8_S8_S8_S8_S8_EEEEZZNS1_27merge_sort_block_merge_implIS3_NS6_6detail15normal_iteratorINS6_10device_ptrIjEEEENSD_INSE_IS9_EEEEjNS1_19radix_merge_compareILb0ELb1EjNS0_19identity_decomposerEEEEE10hipError_tT0_T1_T2_jT3_P12ihipStream_tbPNSt15iterator_traitsISN_E10value_typeEPNST_ISO_E10value_typeEPSP_NS1_7vsmem_tEENKUlT_SN_SO_SP_E_clIPjSG_PS9_SI_EESM_S12_SN_SO_SP_EUlS12_E1_NS1_11comp_targetILNS1_3genE8ELNS1_11target_archE1030ELNS1_3gpuE2ELNS1_3repE0EEENS1_36merge_oddeven_config_static_selectorELNS0_4arch9wavefront6targetE0EEEvSO_.has_dyn_sized_stack, 0
	.set _ZN7rocprim17ROCPRIM_400000_NS6detail17trampoline_kernelINS0_14default_configENS1_38merge_sort_block_merge_config_selectorIjN6thrust23THRUST_200600_302600_NS5tupleIffNS6_9null_typeES8_S8_S8_S8_S8_S8_S8_EEEEZZNS1_27merge_sort_block_merge_implIS3_NS6_6detail15normal_iteratorINS6_10device_ptrIjEEEENSD_INSE_IS9_EEEEjNS1_19radix_merge_compareILb0ELb1EjNS0_19identity_decomposerEEEEE10hipError_tT0_T1_T2_jT3_P12ihipStream_tbPNSt15iterator_traitsISN_E10value_typeEPNST_ISO_E10value_typeEPSP_NS1_7vsmem_tEENKUlT_SN_SO_SP_E_clIPjSG_PS9_SI_EESM_S12_SN_SO_SP_EUlS12_E1_NS1_11comp_targetILNS1_3genE8ELNS1_11target_archE1030ELNS1_3gpuE2ELNS1_3repE0EEENS1_36merge_oddeven_config_static_selectorELNS0_4arch9wavefront6targetE0EEEvSO_.has_recursion, 0
	.set _ZN7rocprim17ROCPRIM_400000_NS6detail17trampoline_kernelINS0_14default_configENS1_38merge_sort_block_merge_config_selectorIjN6thrust23THRUST_200600_302600_NS5tupleIffNS6_9null_typeES8_S8_S8_S8_S8_S8_S8_EEEEZZNS1_27merge_sort_block_merge_implIS3_NS6_6detail15normal_iteratorINS6_10device_ptrIjEEEENSD_INSE_IS9_EEEEjNS1_19radix_merge_compareILb0ELb1EjNS0_19identity_decomposerEEEEE10hipError_tT0_T1_T2_jT3_P12ihipStream_tbPNSt15iterator_traitsISN_E10value_typeEPNST_ISO_E10value_typeEPSP_NS1_7vsmem_tEENKUlT_SN_SO_SP_E_clIPjSG_PS9_SI_EESM_S12_SN_SO_SP_EUlS12_E1_NS1_11comp_targetILNS1_3genE8ELNS1_11target_archE1030ELNS1_3gpuE2ELNS1_3repE0EEENS1_36merge_oddeven_config_static_selectorELNS0_4arch9wavefront6targetE0EEEvSO_.has_indirect_call, 0
	.section	.AMDGPU.csdata,"",@progbits
; Kernel info:
; codeLenInByte = 968
; TotalNumSgprs: 24
; NumVgprs: 11
; ScratchSize: 0
; MemoryBound: 0
; FloatMode: 240
; IeeeMode: 1
; LDSByteSize: 0 bytes/workgroup (compile time only)
; SGPRBlocks: 0
; VGPRBlocks: 1
; NumSGPRsForWavesPerEU: 24
; NumVGPRsForWavesPerEU: 11
; Occupancy: 16
; WaveLimiterHint : 0
; COMPUTE_PGM_RSRC2:SCRATCH_EN: 0
; COMPUTE_PGM_RSRC2:USER_SGPR: 6
; COMPUTE_PGM_RSRC2:TRAP_HANDLER: 0
; COMPUTE_PGM_RSRC2:TGID_X_EN: 1
; COMPUTE_PGM_RSRC2:TGID_Y_EN: 0
; COMPUTE_PGM_RSRC2:TGID_Z_EN: 0
; COMPUTE_PGM_RSRC2:TIDIG_COMP_CNT: 0
	.section	.text._ZN7rocprim17ROCPRIM_400000_NS6detail17trampoline_kernelINS0_14default_configENS1_38merge_sort_block_merge_config_selectorIjN6thrust23THRUST_200600_302600_NS5tupleIffNS6_9null_typeES8_S8_S8_S8_S8_S8_S8_EEEEZZNS1_27merge_sort_block_merge_implIS3_NS6_6detail15normal_iteratorINS6_10device_ptrIjEEEENSD_INSE_IS9_EEEEjNS1_19radix_merge_compareILb0ELb1EjNS0_19identity_decomposerEEEEE10hipError_tT0_T1_T2_jT3_P12ihipStream_tbPNSt15iterator_traitsISN_E10value_typeEPNST_ISO_E10value_typeEPSP_NS1_7vsmem_tEENKUlT_SN_SO_SP_E_clISG_PjSI_PS9_EESM_S12_SN_SO_SP_EUlS12_E_NS1_11comp_targetILNS1_3genE0ELNS1_11target_archE4294967295ELNS1_3gpuE0ELNS1_3repE0EEENS1_48merge_mergepath_partition_config_static_selectorELNS0_4arch9wavefront6targetE0EEEvSO_,"axG",@progbits,_ZN7rocprim17ROCPRIM_400000_NS6detail17trampoline_kernelINS0_14default_configENS1_38merge_sort_block_merge_config_selectorIjN6thrust23THRUST_200600_302600_NS5tupleIffNS6_9null_typeES8_S8_S8_S8_S8_S8_S8_EEEEZZNS1_27merge_sort_block_merge_implIS3_NS6_6detail15normal_iteratorINS6_10device_ptrIjEEEENSD_INSE_IS9_EEEEjNS1_19radix_merge_compareILb0ELb1EjNS0_19identity_decomposerEEEEE10hipError_tT0_T1_T2_jT3_P12ihipStream_tbPNSt15iterator_traitsISN_E10value_typeEPNST_ISO_E10value_typeEPSP_NS1_7vsmem_tEENKUlT_SN_SO_SP_E_clISG_PjSI_PS9_EESM_S12_SN_SO_SP_EUlS12_E_NS1_11comp_targetILNS1_3genE0ELNS1_11target_archE4294967295ELNS1_3gpuE0ELNS1_3repE0EEENS1_48merge_mergepath_partition_config_static_selectorELNS0_4arch9wavefront6targetE0EEEvSO_,comdat
	.protected	_ZN7rocprim17ROCPRIM_400000_NS6detail17trampoline_kernelINS0_14default_configENS1_38merge_sort_block_merge_config_selectorIjN6thrust23THRUST_200600_302600_NS5tupleIffNS6_9null_typeES8_S8_S8_S8_S8_S8_S8_EEEEZZNS1_27merge_sort_block_merge_implIS3_NS6_6detail15normal_iteratorINS6_10device_ptrIjEEEENSD_INSE_IS9_EEEEjNS1_19radix_merge_compareILb0ELb1EjNS0_19identity_decomposerEEEEE10hipError_tT0_T1_T2_jT3_P12ihipStream_tbPNSt15iterator_traitsISN_E10value_typeEPNST_ISO_E10value_typeEPSP_NS1_7vsmem_tEENKUlT_SN_SO_SP_E_clISG_PjSI_PS9_EESM_S12_SN_SO_SP_EUlS12_E_NS1_11comp_targetILNS1_3genE0ELNS1_11target_archE4294967295ELNS1_3gpuE0ELNS1_3repE0EEENS1_48merge_mergepath_partition_config_static_selectorELNS0_4arch9wavefront6targetE0EEEvSO_ ; -- Begin function _ZN7rocprim17ROCPRIM_400000_NS6detail17trampoline_kernelINS0_14default_configENS1_38merge_sort_block_merge_config_selectorIjN6thrust23THRUST_200600_302600_NS5tupleIffNS6_9null_typeES8_S8_S8_S8_S8_S8_S8_EEEEZZNS1_27merge_sort_block_merge_implIS3_NS6_6detail15normal_iteratorINS6_10device_ptrIjEEEENSD_INSE_IS9_EEEEjNS1_19radix_merge_compareILb0ELb1EjNS0_19identity_decomposerEEEEE10hipError_tT0_T1_T2_jT3_P12ihipStream_tbPNSt15iterator_traitsISN_E10value_typeEPNST_ISO_E10value_typeEPSP_NS1_7vsmem_tEENKUlT_SN_SO_SP_E_clISG_PjSI_PS9_EESM_S12_SN_SO_SP_EUlS12_E_NS1_11comp_targetILNS1_3genE0ELNS1_11target_archE4294967295ELNS1_3gpuE0ELNS1_3repE0EEENS1_48merge_mergepath_partition_config_static_selectorELNS0_4arch9wavefront6targetE0EEEvSO_
	.globl	_ZN7rocprim17ROCPRIM_400000_NS6detail17trampoline_kernelINS0_14default_configENS1_38merge_sort_block_merge_config_selectorIjN6thrust23THRUST_200600_302600_NS5tupleIffNS6_9null_typeES8_S8_S8_S8_S8_S8_S8_EEEEZZNS1_27merge_sort_block_merge_implIS3_NS6_6detail15normal_iteratorINS6_10device_ptrIjEEEENSD_INSE_IS9_EEEEjNS1_19radix_merge_compareILb0ELb1EjNS0_19identity_decomposerEEEEE10hipError_tT0_T1_T2_jT3_P12ihipStream_tbPNSt15iterator_traitsISN_E10value_typeEPNST_ISO_E10value_typeEPSP_NS1_7vsmem_tEENKUlT_SN_SO_SP_E_clISG_PjSI_PS9_EESM_S12_SN_SO_SP_EUlS12_E_NS1_11comp_targetILNS1_3genE0ELNS1_11target_archE4294967295ELNS1_3gpuE0ELNS1_3repE0EEENS1_48merge_mergepath_partition_config_static_selectorELNS0_4arch9wavefront6targetE0EEEvSO_
	.p2align	8
	.type	_ZN7rocprim17ROCPRIM_400000_NS6detail17trampoline_kernelINS0_14default_configENS1_38merge_sort_block_merge_config_selectorIjN6thrust23THRUST_200600_302600_NS5tupleIffNS6_9null_typeES8_S8_S8_S8_S8_S8_S8_EEEEZZNS1_27merge_sort_block_merge_implIS3_NS6_6detail15normal_iteratorINS6_10device_ptrIjEEEENSD_INSE_IS9_EEEEjNS1_19radix_merge_compareILb0ELb1EjNS0_19identity_decomposerEEEEE10hipError_tT0_T1_T2_jT3_P12ihipStream_tbPNSt15iterator_traitsISN_E10value_typeEPNST_ISO_E10value_typeEPSP_NS1_7vsmem_tEENKUlT_SN_SO_SP_E_clISG_PjSI_PS9_EESM_S12_SN_SO_SP_EUlS12_E_NS1_11comp_targetILNS1_3genE0ELNS1_11target_archE4294967295ELNS1_3gpuE0ELNS1_3repE0EEENS1_48merge_mergepath_partition_config_static_selectorELNS0_4arch9wavefront6targetE0EEEvSO_,@function
_ZN7rocprim17ROCPRIM_400000_NS6detail17trampoline_kernelINS0_14default_configENS1_38merge_sort_block_merge_config_selectorIjN6thrust23THRUST_200600_302600_NS5tupleIffNS6_9null_typeES8_S8_S8_S8_S8_S8_S8_EEEEZZNS1_27merge_sort_block_merge_implIS3_NS6_6detail15normal_iteratorINS6_10device_ptrIjEEEENSD_INSE_IS9_EEEEjNS1_19radix_merge_compareILb0ELb1EjNS0_19identity_decomposerEEEEE10hipError_tT0_T1_T2_jT3_P12ihipStream_tbPNSt15iterator_traitsISN_E10value_typeEPNST_ISO_E10value_typeEPSP_NS1_7vsmem_tEENKUlT_SN_SO_SP_E_clISG_PjSI_PS9_EESM_S12_SN_SO_SP_EUlS12_E_NS1_11comp_targetILNS1_3genE0ELNS1_11target_archE4294967295ELNS1_3gpuE0ELNS1_3repE0EEENS1_48merge_mergepath_partition_config_static_selectorELNS0_4arch9wavefront6targetE0EEEvSO_: ; @_ZN7rocprim17ROCPRIM_400000_NS6detail17trampoline_kernelINS0_14default_configENS1_38merge_sort_block_merge_config_selectorIjN6thrust23THRUST_200600_302600_NS5tupleIffNS6_9null_typeES8_S8_S8_S8_S8_S8_S8_EEEEZZNS1_27merge_sort_block_merge_implIS3_NS6_6detail15normal_iteratorINS6_10device_ptrIjEEEENSD_INSE_IS9_EEEEjNS1_19radix_merge_compareILb0ELb1EjNS0_19identity_decomposerEEEEE10hipError_tT0_T1_T2_jT3_P12ihipStream_tbPNSt15iterator_traitsISN_E10value_typeEPNST_ISO_E10value_typeEPSP_NS1_7vsmem_tEENKUlT_SN_SO_SP_E_clISG_PjSI_PS9_EESM_S12_SN_SO_SP_EUlS12_E_NS1_11comp_targetILNS1_3genE0ELNS1_11target_archE4294967295ELNS1_3gpuE0ELNS1_3repE0EEENS1_48merge_mergepath_partition_config_static_selectorELNS0_4arch9wavefront6targetE0EEEvSO_
; %bb.0:
	.section	.rodata,"a",@progbits
	.p2align	6, 0x0
	.amdhsa_kernel _ZN7rocprim17ROCPRIM_400000_NS6detail17trampoline_kernelINS0_14default_configENS1_38merge_sort_block_merge_config_selectorIjN6thrust23THRUST_200600_302600_NS5tupleIffNS6_9null_typeES8_S8_S8_S8_S8_S8_S8_EEEEZZNS1_27merge_sort_block_merge_implIS3_NS6_6detail15normal_iteratorINS6_10device_ptrIjEEEENSD_INSE_IS9_EEEEjNS1_19radix_merge_compareILb0ELb1EjNS0_19identity_decomposerEEEEE10hipError_tT0_T1_T2_jT3_P12ihipStream_tbPNSt15iterator_traitsISN_E10value_typeEPNST_ISO_E10value_typeEPSP_NS1_7vsmem_tEENKUlT_SN_SO_SP_E_clISG_PjSI_PS9_EESM_S12_SN_SO_SP_EUlS12_E_NS1_11comp_targetILNS1_3genE0ELNS1_11target_archE4294967295ELNS1_3gpuE0ELNS1_3repE0EEENS1_48merge_mergepath_partition_config_static_selectorELNS0_4arch9wavefront6targetE0EEEvSO_
		.amdhsa_group_segment_fixed_size 0
		.amdhsa_private_segment_fixed_size 0
		.amdhsa_kernarg_size 40
		.amdhsa_user_sgpr_count 6
		.amdhsa_user_sgpr_private_segment_buffer 1
		.amdhsa_user_sgpr_dispatch_ptr 0
		.amdhsa_user_sgpr_queue_ptr 0
		.amdhsa_user_sgpr_kernarg_segment_ptr 1
		.amdhsa_user_sgpr_dispatch_id 0
		.amdhsa_user_sgpr_flat_scratch_init 0
		.amdhsa_user_sgpr_private_segment_size 0
		.amdhsa_wavefront_size32 1
		.amdhsa_uses_dynamic_stack 0
		.amdhsa_system_sgpr_private_segment_wavefront_offset 0
		.amdhsa_system_sgpr_workgroup_id_x 1
		.amdhsa_system_sgpr_workgroup_id_y 0
		.amdhsa_system_sgpr_workgroup_id_z 0
		.amdhsa_system_sgpr_workgroup_info 0
		.amdhsa_system_vgpr_workitem_id 0
		.amdhsa_next_free_vgpr 1
		.amdhsa_next_free_sgpr 1
		.amdhsa_reserve_vcc 0
		.amdhsa_reserve_flat_scratch 0
		.amdhsa_float_round_mode_32 0
		.amdhsa_float_round_mode_16_64 0
		.amdhsa_float_denorm_mode_32 3
		.amdhsa_float_denorm_mode_16_64 3
		.amdhsa_dx10_clamp 1
		.amdhsa_ieee_mode 1
		.amdhsa_fp16_overflow 0
		.amdhsa_workgroup_processor_mode 1
		.amdhsa_memory_ordered 1
		.amdhsa_forward_progress 1
		.amdhsa_shared_vgpr_count 0
		.amdhsa_exception_fp_ieee_invalid_op 0
		.amdhsa_exception_fp_denorm_src 0
		.amdhsa_exception_fp_ieee_div_zero 0
		.amdhsa_exception_fp_ieee_overflow 0
		.amdhsa_exception_fp_ieee_underflow 0
		.amdhsa_exception_fp_ieee_inexact 0
		.amdhsa_exception_int_div_zero 0
	.end_amdhsa_kernel
	.section	.text._ZN7rocprim17ROCPRIM_400000_NS6detail17trampoline_kernelINS0_14default_configENS1_38merge_sort_block_merge_config_selectorIjN6thrust23THRUST_200600_302600_NS5tupleIffNS6_9null_typeES8_S8_S8_S8_S8_S8_S8_EEEEZZNS1_27merge_sort_block_merge_implIS3_NS6_6detail15normal_iteratorINS6_10device_ptrIjEEEENSD_INSE_IS9_EEEEjNS1_19radix_merge_compareILb0ELb1EjNS0_19identity_decomposerEEEEE10hipError_tT0_T1_T2_jT3_P12ihipStream_tbPNSt15iterator_traitsISN_E10value_typeEPNST_ISO_E10value_typeEPSP_NS1_7vsmem_tEENKUlT_SN_SO_SP_E_clISG_PjSI_PS9_EESM_S12_SN_SO_SP_EUlS12_E_NS1_11comp_targetILNS1_3genE0ELNS1_11target_archE4294967295ELNS1_3gpuE0ELNS1_3repE0EEENS1_48merge_mergepath_partition_config_static_selectorELNS0_4arch9wavefront6targetE0EEEvSO_,"axG",@progbits,_ZN7rocprim17ROCPRIM_400000_NS6detail17trampoline_kernelINS0_14default_configENS1_38merge_sort_block_merge_config_selectorIjN6thrust23THRUST_200600_302600_NS5tupleIffNS6_9null_typeES8_S8_S8_S8_S8_S8_S8_EEEEZZNS1_27merge_sort_block_merge_implIS3_NS6_6detail15normal_iteratorINS6_10device_ptrIjEEEENSD_INSE_IS9_EEEEjNS1_19radix_merge_compareILb0ELb1EjNS0_19identity_decomposerEEEEE10hipError_tT0_T1_T2_jT3_P12ihipStream_tbPNSt15iterator_traitsISN_E10value_typeEPNST_ISO_E10value_typeEPSP_NS1_7vsmem_tEENKUlT_SN_SO_SP_E_clISG_PjSI_PS9_EESM_S12_SN_SO_SP_EUlS12_E_NS1_11comp_targetILNS1_3genE0ELNS1_11target_archE4294967295ELNS1_3gpuE0ELNS1_3repE0EEENS1_48merge_mergepath_partition_config_static_selectorELNS0_4arch9wavefront6targetE0EEEvSO_,comdat
.Lfunc_end115:
	.size	_ZN7rocprim17ROCPRIM_400000_NS6detail17trampoline_kernelINS0_14default_configENS1_38merge_sort_block_merge_config_selectorIjN6thrust23THRUST_200600_302600_NS5tupleIffNS6_9null_typeES8_S8_S8_S8_S8_S8_S8_EEEEZZNS1_27merge_sort_block_merge_implIS3_NS6_6detail15normal_iteratorINS6_10device_ptrIjEEEENSD_INSE_IS9_EEEEjNS1_19radix_merge_compareILb0ELb1EjNS0_19identity_decomposerEEEEE10hipError_tT0_T1_T2_jT3_P12ihipStream_tbPNSt15iterator_traitsISN_E10value_typeEPNST_ISO_E10value_typeEPSP_NS1_7vsmem_tEENKUlT_SN_SO_SP_E_clISG_PjSI_PS9_EESM_S12_SN_SO_SP_EUlS12_E_NS1_11comp_targetILNS1_3genE0ELNS1_11target_archE4294967295ELNS1_3gpuE0ELNS1_3repE0EEENS1_48merge_mergepath_partition_config_static_selectorELNS0_4arch9wavefront6targetE0EEEvSO_, .Lfunc_end115-_ZN7rocprim17ROCPRIM_400000_NS6detail17trampoline_kernelINS0_14default_configENS1_38merge_sort_block_merge_config_selectorIjN6thrust23THRUST_200600_302600_NS5tupleIffNS6_9null_typeES8_S8_S8_S8_S8_S8_S8_EEEEZZNS1_27merge_sort_block_merge_implIS3_NS6_6detail15normal_iteratorINS6_10device_ptrIjEEEENSD_INSE_IS9_EEEEjNS1_19radix_merge_compareILb0ELb1EjNS0_19identity_decomposerEEEEE10hipError_tT0_T1_T2_jT3_P12ihipStream_tbPNSt15iterator_traitsISN_E10value_typeEPNST_ISO_E10value_typeEPSP_NS1_7vsmem_tEENKUlT_SN_SO_SP_E_clISG_PjSI_PS9_EESM_S12_SN_SO_SP_EUlS12_E_NS1_11comp_targetILNS1_3genE0ELNS1_11target_archE4294967295ELNS1_3gpuE0ELNS1_3repE0EEENS1_48merge_mergepath_partition_config_static_selectorELNS0_4arch9wavefront6targetE0EEEvSO_
                                        ; -- End function
	.set _ZN7rocprim17ROCPRIM_400000_NS6detail17trampoline_kernelINS0_14default_configENS1_38merge_sort_block_merge_config_selectorIjN6thrust23THRUST_200600_302600_NS5tupleIffNS6_9null_typeES8_S8_S8_S8_S8_S8_S8_EEEEZZNS1_27merge_sort_block_merge_implIS3_NS6_6detail15normal_iteratorINS6_10device_ptrIjEEEENSD_INSE_IS9_EEEEjNS1_19radix_merge_compareILb0ELb1EjNS0_19identity_decomposerEEEEE10hipError_tT0_T1_T2_jT3_P12ihipStream_tbPNSt15iterator_traitsISN_E10value_typeEPNST_ISO_E10value_typeEPSP_NS1_7vsmem_tEENKUlT_SN_SO_SP_E_clISG_PjSI_PS9_EESM_S12_SN_SO_SP_EUlS12_E_NS1_11comp_targetILNS1_3genE0ELNS1_11target_archE4294967295ELNS1_3gpuE0ELNS1_3repE0EEENS1_48merge_mergepath_partition_config_static_selectorELNS0_4arch9wavefront6targetE0EEEvSO_.num_vgpr, 0
	.set _ZN7rocprim17ROCPRIM_400000_NS6detail17trampoline_kernelINS0_14default_configENS1_38merge_sort_block_merge_config_selectorIjN6thrust23THRUST_200600_302600_NS5tupleIffNS6_9null_typeES8_S8_S8_S8_S8_S8_S8_EEEEZZNS1_27merge_sort_block_merge_implIS3_NS6_6detail15normal_iteratorINS6_10device_ptrIjEEEENSD_INSE_IS9_EEEEjNS1_19radix_merge_compareILb0ELb1EjNS0_19identity_decomposerEEEEE10hipError_tT0_T1_T2_jT3_P12ihipStream_tbPNSt15iterator_traitsISN_E10value_typeEPNST_ISO_E10value_typeEPSP_NS1_7vsmem_tEENKUlT_SN_SO_SP_E_clISG_PjSI_PS9_EESM_S12_SN_SO_SP_EUlS12_E_NS1_11comp_targetILNS1_3genE0ELNS1_11target_archE4294967295ELNS1_3gpuE0ELNS1_3repE0EEENS1_48merge_mergepath_partition_config_static_selectorELNS0_4arch9wavefront6targetE0EEEvSO_.num_agpr, 0
	.set _ZN7rocprim17ROCPRIM_400000_NS6detail17trampoline_kernelINS0_14default_configENS1_38merge_sort_block_merge_config_selectorIjN6thrust23THRUST_200600_302600_NS5tupleIffNS6_9null_typeES8_S8_S8_S8_S8_S8_S8_EEEEZZNS1_27merge_sort_block_merge_implIS3_NS6_6detail15normal_iteratorINS6_10device_ptrIjEEEENSD_INSE_IS9_EEEEjNS1_19radix_merge_compareILb0ELb1EjNS0_19identity_decomposerEEEEE10hipError_tT0_T1_T2_jT3_P12ihipStream_tbPNSt15iterator_traitsISN_E10value_typeEPNST_ISO_E10value_typeEPSP_NS1_7vsmem_tEENKUlT_SN_SO_SP_E_clISG_PjSI_PS9_EESM_S12_SN_SO_SP_EUlS12_E_NS1_11comp_targetILNS1_3genE0ELNS1_11target_archE4294967295ELNS1_3gpuE0ELNS1_3repE0EEENS1_48merge_mergepath_partition_config_static_selectorELNS0_4arch9wavefront6targetE0EEEvSO_.numbered_sgpr, 0
	.set _ZN7rocprim17ROCPRIM_400000_NS6detail17trampoline_kernelINS0_14default_configENS1_38merge_sort_block_merge_config_selectorIjN6thrust23THRUST_200600_302600_NS5tupleIffNS6_9null_typeES8_S8_S8_S8_S8_S8_S8_EEEEZZNS1_27merge_sort_block_merge_implIS3_NS6_6detail15normal_iteratorINS6_10device_ptrIjEEEENSD_INSE_IS9_EEEEjNS1_19radix_merge_compareILb0ELb1EjNS0_19identity_decomposerEEEEE10hipError_tT0_T1_T2_jT3_P12ihipStream_tbPNSt15iterator_traitsISN_E10value_typeEPNST_ISO_E10value_typeEPSP_NS1_7vsmem_tEENKUlT_SN_SO_SP_E_clISG_PjSI_PS9_EESM_S12_SN_SO_SP_EUlS12_E_NS1_11comp_targetILNS1_3genE0ELNS1_11target_archE4294967295ELNS1_3gpuE0ELNS1_3repE0EEENS1_48merge_mergepath_partition_config_static_selectorELNS0_4arch9wavefront6targetE0EEEvSO_.num_named_barrier, 0
	.set _ZN7rocprim17ROCPRIM_400000_NS6detail17trampoline_kernelINS0_14default_configENS1_38merge_sort_block_merge_config_selectorIjN6thrust23THRUST_200600_302600_NS5tupleIffNS6_9null_typeES8_S8_S8_S8_S8_S8_S8_EEEEZZNS1_27merge_sort_block_merge_implIS3_NS6_6detail15normal_iteratorINS6_10device_ptrIjEEEENSD_INSE_IS9_EEEEjNS1_19radix_merge_compareILb0ELb1EjNS0_19identity_decomposerEEEEE10hipError_tT0_T1_T2_jT3_P12ihipStream_tbPNSt15iterator_traitsISN_E10value_typeEPNST_ISO_E10value_typeEPSP_NS1_7vsmem_tEENKUlT_SN_SO_SP_E_clISG_PjSI_PS9_EESM_S12_SN_SO_SP_EUlS12_E_NS1_11comp_targetILNS1_3genE0ELNS1_11target_archE4294967295ELNS1_3gpuE0ELNS1_3repE0EEENS1_48merge_mergepath_partition_config_static_selectorELNS0_4arch9wavefront6targetE0EEEvSO_.private_seg_size, 0
	.set _ZN7rocprim17ROCPRIM_400000_NS6detail17trampoline_kernelINS0_14default_configENS1_38merge_sort_block_merge_config_selectorIjN6thrust23THRUST_200600_302600_NS5tupleIffNS6_9null_typeES8_S8_S8_S8_S8_S8_S8_EEEEZZNS1_27merge_sort_block_merge_implIS3_NS6_6detail15normal_iteratorINS6_10device_ptrIjEEEENSD_INSE_IS9_EEEEjNS1_19radix_merge_compareILb0ELb1EjNS0_19identity_decomposerEEEEE10hipError_tT0_T1_T2_jT3_P12ihipStream_tbPNSt15iterator_traitsISN_E10value_typeEPNST_ISO_E10value_typeEPSP_NS1_7vsmem_tEENKUlT_SN_SO_SP_E_clISG_PjSI_PS9_EESM_S12_SN_SO_SP_EUlS12_E_NS1_11comp_targetILNS1_3genE0ELNS1_11target_archE4294967295ELNS1_3gpuE0ELNS1_3repE0EEENS1_48merge_mergepath_partition_config_static_selectorELNS0_4arch9wavefront6targetE0EEEvSO_.uses_vcc, 0
	.set _ZN7rocprim17ROCPRIM_400000_NS6detail17trampoline_kernelINS0_14default_configENS1_38merge_sort_block_merge_config_selectorIjN6thrust23THRUST_200600_302600_NS5tupleIffNS6_9null_typeES8_S8_S8_S8_S8_S8_S8_EEEEZZNS1_27merge_sort_block_merge_implIS3_NS6_6detail15normal_iteratorINS6_10device_ptrIjEEEENSD_INSE_IS9_EEEEjNS1_19radix_merge_compareILb0ELb1EjNS0_19identity_decomposerEEEEE10hipError_tT0_T1_T2_jT3_P12ihipStream_tbPNSt15iterator_traitsISN_E10value_typeEPNST_ISO_E10value_typeEPSP_NS1_7vsmem_tEENKUlT_SN_SO_SP_E_clISG_PjSI_PS9_EESM_S12_SN_SO_SP_EUlS12_E_NS1_11comp_targetILNS1_3genE0ELNS1_11target_archE4294967295ELNS1_3gpuE0ELNS1_3repE0EEENS1_48merge_mergepath_partition_config_static_selectorELNS0_4arch9wavefront6targetE0EEEvSO_.uses_flat_scratch, 0
	.set _ZN7rocprim17ROCPRIM_400000_NS6detail17trampoline_kernelINS0_14default_configENS1_38merge_sort_block_merge_config_selectorIjN6thrust23THRUST_200600_302600_NS5tupleIffNS6_9null_typeES8_S8_S8_S8_S8_S8_S8_EEEEZZNS1_27merge_sort_block_merge_implIS3_NS6_6detail15normal_iteratorINS6_10device_ptrIjEEEENSD_INSE_IS9_EEEEjNS1_19radix_merge_compareILb0ELb1EjNS0_19identity_decomposerEEEEE10hipError_tT0_T1_T2_jT3_P12ihipStream_tbPNSt15iterator_traitsISN_E10value_typeEPNST_ISO_E10value_typeEPSP_NS1_7vsmem_tEENKUlT_SN_SO_SP_E_clISG_PjSI_PS9_EESM_S12_SN_SO_SP_EUlS12_E_NS1_11comp_targetILNS1_3genE0ELNS1_11target_archE4294967295ELNS1_3gpuE0ELNS1_3repE0EEENS1_48merge_mergepath_partition_config_static_selectorELNS0_4arch9wavefront6targetE0EEEvSO_.has_dyn_sized_stack, 0
	.set _ZN7rocprim17ROCPRIM_400000_NS6detail17trampoline_kernelINS0_14default_configENS1_38merge_sort_block_merge_config_selectorIjN6thrust23THRUST_200600_302600_NS5tupleIffNS6_9null_typeES8_S8_S8_S8_S8_S8_S8_EEEEZZNS1_27merge_sort_block_merge_implIS3_NS6_6detail15normal_iteratorINS6_10device_ptrIjEEEENSD_INSE_IS9_EEEEjNS1_19radix_merge_compareILb0ELb1EjNS0_19identity_decomposerEEEEE10hipError_tT0_T1_T2_jT3_P12ihipStream_tbPNSt15iterator_traitsISN_E10value_typeEPNST_ISO_E10value_typeEPSP_NS1_7vsmem_tEENKUlT_SN_SO_SP_E_clISG_PjSI_PS9_EESM_S12_SN_SO_SP_EUlS12_E_NS1_11comp_targetILNS1_3genE0ELNS1_11target_archE4294967295ELNS1_3gpuE0ELNS1_3repE0EEENS1_48merge_mergepath_partition_config_static_selectorELNS0_4arch9wavefront6targetE0EEEvSO_.has_recursion, 0
	.set _ZN7rocprim17ROCPRIM_400000_NS6detail17trampoline_kernelINS0_14default_configENS1_38merge_sort_block_merge_config_selectorIjN6thrust23THRUST_200600_302600_NS5tupleIffNS6_9null_typeES8_S8_S8_S8_S8_S8_S8_EEEEZZNS1_27merge_sort_block_merge_implIS3_NS6_6detail15normal_iteratorINS6_10device_ptrIjEEEENSD_INSE_IS9_EEEEjNS1_19radix_merge_compareILb0ELb1EjNS0_19identity_decomposerEEEEE10hipError_tT0_T1_T2_jT3_P12ihipStream_tbPNSt15iterator_traitsISN_E10value_typeEPNST_ISO_E10value_typeEPSP_NS1_7vsmem_tEENKUlT_SN_SO_SP_E_clISG_PjSI_PS9_EESM_S12_SN_SO_SP_EUlS12_E_NS1_11comp_targetILNS1_3genE0ELNS1_11target_archE4294967295ELNS1_3gpuE0ELNS1_3repE0EEENS1_48merge_mergepath_partition_config_static_selectorELNS0_4arch9wavefront6targetE0EEEvSO_.has_indirect_call, 0
	.section	.AMDGPU.csdata,"",@progbits
; Kernel info:
; codeLenInByte = 0
; TotalNumSgprs: 0
; NumVgprs: 0
; ScratchSize: 0
; MemoryBound: 0
; FloatMode: 240
; IeeeMode: 1
; LDSByteSize: 0 bytes/workgroup (compile time only)
; SGPRBlocks: 0
; VGPRBlocks: 0
; NumSGPRsForWavesPerEU: 1
; NumVGPRsForWavesPerEU: 1
; Occupancy: 16
; WaveLimiterHint : 0
; COMPUTE_PGM_RSRC2:SCRATCH_EN: 0
; COMPUTE_PGM_RSRC2:USER_SGPR: 6
; COMPUTE_PGM_RSRC2:TRAP_HANDLER: 0
; COMPUTE_PGM_RSRC2:TGID_X_EN: 1
; COMPUTE_PGM_RSRC2:TGID_Y_EN: 0
; COMPUTE_PGM_RSRC2:TGID_Z_EN: 0
; COMPUTE_PGM_RSRC2:TIDIG_COMP_CNT: 0
	.section	.text._ZN7rocprim17ROCPRIM_400000_NS6detail17trampoline_kernelINS0_14default_configENS1_38merge_sort_block_merge_config_selectorIjN6thrust23THRUST_200600_302600_NS5tupleIffNS6_9null_typeES8_S8_S8_S8_S8_S8_S8_EEEEZZNS1_27merge_sort_block_merge_implIS3_NS6_6detail15normal_iteratorINS6_10device_ptrIjEEEENSD_INSE_IS9_EEEEjNS1_19radix_merge_compareILb0ELb1EjNS0_19identity_decomposerEEEEE10hipError_tT0_T1_T2_jT3_P12ihipStream_tbPNSt15iterator_traitsISN_E10value_typeEPNST_ISO_E10value_typeEPSP_NS1_7vsmem_tEENKUlT_SN_SO_SP_E_clISG_PjSI_PS9_EESM_S12_SN_SO_SP_EUlS12_E_NS1_11comp_targetILNS1_3genE10ELNS1_11target_archE1201ELNS1_3gpuE5ELNS1_3repE0EEENS1_48merge_mergepath_partition_config_static_selectorELNS0_4arch9wavefront6targetE0EEEvSO_,"axG",@progbits,_ZN7rocprim17ROCPRIM_400000_NS6detail17trampoline_kernelINS0_14default_configENS1_38merge_sort_block_merge_config_selectorIjN6thrust23THRUST_200600_302600_NS5tupleIffNS6_9null_typeES8_S8_S8_S8_S8_S8_S8_EEEEZZNS1_27merge_sort_block_merge_implIS3_NS6_6detail15normal_iteratorINS6_10device_ptrIjEEEENSD_INSE_IS9_EEEEjNS1_19radix_merge_compareILb0ELb1EjNS0_19identity_decomposerEEEEE10hipError_tT0_T1_T2_jT3_P12ihipStream_tbPNSt15iterator_traitsISN_E10value_typeEPNST_ISO_E10value_typeEPSP_NS1_7vsmem_tEENKUlT_SN_SO_SP_E_clISG_PjSI_PS9_EESM_S12_SN_SO_SP_EUlS12_E_NS1_11comp_targetILNS1_3genE10ELNS1_11target_archE1201ELNS1_3gpuE5ELNS1_3repE0EEENS1_48merge_mergepath_partition_config_static_selectorELNS0_4arch9wavefront6targetE0EEEvSO_,comdat
	.protected	_ZN7rocprim17ROCPRIM_400000_NS6detail17trampoline_kernelINS0_14default_configENS1_38merge_sort_block_merge_config_selectorIjN6thrust23THRUST_200600_302600_NS5tupleIffNS6_9null_typeES8_S8_S8_S8_S8_S8_S8_EEEEZZNS1_27merge_sort_block_merge_implIS3_NS6_6detail15normal_iteratorINS6_10device_ptrIjEEEENSD_INSE_IS9_EEEEjNS1_19radix_merge_compareILb0ELb1EjNS0_19identity_decomposerEEEEE10hipError_tT0_T1_T2_jT3_P12ihipStream_tbPNSt15iterator_traitsISN_E10value_typeEPNST_ISO_E10value_typeEPSP_NS1_7vsmem_tEENKUlT_SN_SO_SP_E_clISG_PjSI_PS9_EESM_S12_SN_SO_SP_EUlS12_E_NS1_11comp_targetILNS1_3genE10ELNS1_11target_archE1201ELNS1_3gpuE5ELNS1_3repE0EEENS1_48merge_mergepath_partition_config_static_selectorELNS0_4arch9wavefront6targetE0EEEvSO_ ; -- Begin function _ZN7rocprim17ROCPRIM_400000_NS6detail17trampoline_kernelINS0_14default_configENS1_38merge_sort_block_merge_config_selectorIjN6thrust23THRUST_200600_302600_NS5tupleIffNS6_9null_typeES8_S8_S8_S8_S8_S8_S8_EEEEZZNS1_27merge_sort_block_merge_implIS3_NS6_6detail15normal_iteratorINS6_10device_ptrIjEEEENSD_INSE_IS9_EEEEjNS1_19radix_merge_compareILb0ELb1EjNS0_19identity_decomposerEEEEE10hipError_tT0_T1_T2_jT3_P12ihipStream_tbPNSt15iterator_traitsISN_E10value_typeEPNST_ISO_E10value_typeEPSP_NS1_7vsmem_tEENKUlT_SN_SO_SP_E_clISG_PjSI_PS9_EESM_S12_SN_SO_SP_EUlS12_E_NS1_11comp_targetILNS1_3genE10ELNS1_11target_archE1201ELNS1_3gpuE5ELNS1_3repE0EEENS1_48merge_mergepath_partition_config_static_selectorELNS0_4arch9wavefront6targetE0EEEvSO_
	.globl	_ZN7rocprim17ROCPRIM_400000_NS6detail17trampoline_kernelINS0_14default_configENS1_38merge_sort_block_merge_config_selectorIjN6thrust23THRUST_200600_302600_NS5tupleIffNS6_9null_typeES8_S8_S8_S8_S8_S8_S8_EEEEZZNS1_27merge_sort_block_merge_implIS3_NS6_6detail15normal_iteratorINS6_10device_ptrIjEEEENSD_INSE_IS9_EEEEjNS1_19radix_merge_compareILb0ELb1EjNS0_19identity_decomposerEEEEE10hipError_tT0_T1_T2_jT3_P12ihipStream_tbPNSt15iterator_traitsISN_E10value_typeEPNST_ISO_E10value_typeEPSP_NS1_7vsmem_tEENKUlT_SN_SO_SP_E_clISG_PjSI_PS9_EESM_S12_SN_SO_SP_EUlS12_E_NS1_11comp_targetILNS1_3genE10ELNS1_11target_archE1201ELNS1_3gpuE5ELNS1_3repE0EEENS1_48merge_mergepath_partition_config_static_selectorELNS0_4arch9wavefront6targetE0EEEvSO_
	.p2align	8
	.type	_ZN7rocprim17ROCPRIM_400000_NS6detail17trampoline_kernelINS0_14default_configENS1_38merge_sort_block_merge_config_selectorIjN6thrust23THRUST_200600_302600_NS5tupleIffNS6_9null_typeES8_S8_S8_S8_S8_S8_S8_EEEEZZNS1_27merge_sort_block_merge_implIS3_NS6_6detail15normal_iteratorINS6_10device_ptrIjEEEENSD_INSE_IS9_EEEEjNS1_19radix_merge_compareILb0ELb1EjNS0_19identity_decomposerEEEEE10hipError_tT0_T1_T2_jT3_P12ihipStream_tbPNSt15iterator_traitsISN_E10value_typeEPNST_ISO_E10value_typeEPSP_NS1_7vsmem_tEENKUlT_SN_SO_SP_E_clISG_PjSI_PS9_EESM_S12_SN_SO_SP_EUlS12_E_NS1_11comp_targetILNS1_3genE10ELNS1_11target_archE1201ELNS1_3gpuE5ELNS1_3repE0EEENS1_48merge_mergepath_partition_config_static_selectorELNS0_4arch9wavefront6targetE0EEEvSO_,@function
_ZN7rocprim17ROCPRIM_400000_NS6detail17trampoline_kernelINS0_14default_configENS1_38merge_sort_block_merge_config_selectorIjN6thrust23THRUST_200600_302600_NS5tupleIffNS6_9null_typeES8_S8_S8_S8_S8_S8_S8_EEEEZZNS1_27merge_sort_block_merge_implIS3_NS6_6detail15normal_iteratorINS6_10device_ptrIjEEEENSD_INSE_IS9_EEEEjNS1_19radix_merge_compareILb0ELb1EjNS0_19identity_decomposerEEEEE10hipError_tT0_T1_T2_jT3_P12ihipStream_tbPNSt15iterator_traitsISN_E10value_typeEPNST_ISO_E10value_typeEPSP_NS1_7vsmem_tEENKUlT_SN_SO_SP_E_clISG_PjSI_PS9_EESM_S12_SN_SO_SP_EUlS12_E_NS1_11comp_targetILNS1_3genE10ELNS1_11target_archE1201ELNS1_3gpuE5ELNS1_3repE0EEENS1_48merge_mergepath_partition_config_static_selectorELNS0_4arch9wavefront6targetE0EEEvSO_: ; @_ZN7rocprim17ROCPRIM_400000_NS6detail17trampoline_kernelINS0_14default_configENS1_38merge_sort_block_merge_config_selectorIjN6thrust23THRUST_200600_302600_NS5tupleIffNS6_9null_typeES8_S8_S8_S8_S8_S8_S8_EEEEZZNS1_27merge_sort_block_merge_implIS3_NS6_6detail15normal_iteratorINS6_10device_ptrIjEEEENSD_INSE_IS9_EEEEjNS1_19radix_merge_compareILb0ELb1EjNS0_19identity_decomposerEEEEE10hipError_tT0_T1_T2_jT3_P12ihipStream_tbPNSt15iterator_traitsISN_E10value_typeEPNST_ISO_E10value_typeEPSP_NS1_7vsmem_tEENKUlT_SN_SO_SP_E_clISG_PjSI_PS9_EESM_S12_SN_SO_SP_EUlS12_E_NS1_11comp_targetILNS1_3genE10ELNS1_11target_archE1201ELNS1_3gpuE5ELNS1_3repE0EEENS1_48merge_mergepath_partition_config_static_selectorELNS0_4arch9wavefront6targetE0EEEvSO_
; %bb.0:
	.section	.rodata,"a",@progbits
	.p2align	6, 0x0
	.amdhsa_kernel _ZN7rocprim17ROCPRIM_400000_NS6detail17trampoline_kernelINS0_14default_configENS1_38merge_sort_block_merge_config_selectorIjN6thrust23THRUST_200600_302600_NS5tupleIffNS6_9null_typeES8_S8_S8_S8_S8_S8_S8_EEEEZZNS1_27merge_sort_block_merge_implIS3_NS6_6detail15normal_iteratorINS6_10device_ptrIjEEEENSD_INSE_IS9_EEEEjNS1_19radix_merge_compareILb0ELb1EjNS0_19identity_decomposerEEEEE10hipError_tT0_T1_T2_jT3_P12ihipStream_tbPNSt15iterator_traitsISN_E10value_typeEPNST_ISO_E10value_typeEPSP_NS1_7vsmem_tEENKUlT_SN_SO_SP_E_clISG_PjSI_PS9_EESM_S12_SN_SO_SP_EUlS12_E_NS1_11comp_targetILNS1_3genE10ELNS1_11target_archE1201ELNS1_3gpuE5ELNS1_3repE0EEENS1_48merge_mergepath_partition_config_static_selectorELNS0_4arch9wavefront6targetE0EEEvSO_
		.amdhsa_group_segment_fixed_size 0
		.amdhsa_private_segment_fixed_size 0
		.amdhsa_kernarg_size 40
		.amdhsa_user_sgpr_count 6
		.amdhsa_user_sgpr_private_segment_buffer 1
		.amdhsa_user_sgpr_dispatch_ptr 0
		.amdhsa_user_sgpr_queue_ptr 0
		.amdhsa_user_sgpr_kernarg_segment_ptr 1
		.amdhsa_user_sgpr_dispatch_id 0
		.amdhsa_user_sgpr_flat_scratch_init 0
		.amdhsa_user_sgpr_private_segment_size 0
		.amdhsa_wavefront_size32 1
		.amdhsa_uses_dynamic_stack 0
		.amdhsa_system_sgpr_private_segment_wavefront_offset 0
		.amdhsa_system_sgpr_workgroup_id_x 1
		.amdhsa_system_sgpr_workgroup_id_y 0
		.amdhsa_system_sgpr_workgroup_id_z 0
		.amdhsa_system_sgpr_workgroup_info 0
		.amdhsa_system_vgpr_workitem_id 0
		.amdhsa_next_free_vgpr 1
		.amdhsa_next_free_sgpr 1
		.amdhsa_reserve_vcc 0
		.amdhsa_reserve_flat_scratch 0
		.amdhsa_float_round_mode_32 0
		.amdhsa_float_round_mode_16_64 0
		.amdhsa_float_denorm_mode_32 3
		.amdhsa_float_denorm_mode_16_64 3
		.amdhsa_dx10_clamp 1
		.amdhsa_ieee_mode 1
		.amdhsa_fp16_overflow 0
		.amdhsa_workgroup_processor_mode 1
		.amdhsa_memory_ordered 1
		.amdhsa_forward_progress 1
		.amdhsa_shared_vgpr_count 0
		.amdhsa_exception_fp_ieee_invalid_op 0
		.amdhsa_exception_fp_denorm_src 0
		.amdhsa_exception_fp_ieee_div_zero 0
		.amdhsa_exception_fp_ieee_overflow 0
		.amdhsa_exception_fp_ieee_underflow 0
		.amdhsa_exception_fp_ieee_inexact 0
		.amdhsa_exception_int_div_zero 0
	.end_amdhsa_kernel
	.section	.text._ZN7rocprim17ROCPRIM_400000_NS6detail17trampoline_kernelINS0_14default_configENS1_38merge_sort_block_merge_config_selectorIjN6thrust23THRUST_200600_302600_NS5tupleIffNS6_9null_typeES8_S8_S8_S8_S8_S8_S8_EEEEZZNS1_27merge_sort_block_merge_implIS3_NS6_6detail15normal_iteratorINS6_10device_ptrIjEEEENSD_INSE_IS9_EEEEjNS1_19radix_merge_compareILb0ELb1EjNS0_19identity_decomposerEEEEE10hipError_tT0_T1_T2_jT3_P12ihipStream_tbPNSt15iterator_traitsISN_E10value_typeEPNST_ISO_E10value_typeEPSP_NS1_7vsmem_tEENKUlT_SN_SO_SP_E_clISG_PjSI_PS9_EESM_S12_SN_SO_SP_EUlS12_E_NS1_11comp_targetILNS1_3genE10ELNS1_11target_archE1201ELNS1_3gpuE5ELNS1_3repE0EEENS1_48merge_mergepath_partition_config_static_selectorELNS0_4arch9wavefront6targetE0EEEvSO_,"axG",@progbits,_ZN7rocprim17ROCPRIM_400000_NS6detail17trampoline_kernelINS0_14default_configENS1_38merge_sort_block_merge_config_selectorIjN6thrust23THRUST_200600_302600_NS5tupleIffNS6_9null_typeES8_S8_S8_S8_S8_S8_S8_EEEEZZNS1_27merge_sort_block_merge_implIS3_NS6_6detail15normal_iteratorINS6_10device_ptrIjEEEENSD_INSE_IS9_EEEEjNS1_19radix_merge_compareILb0ELb1EjNS0_19identity_decomposerEEEEE10hipError_tT0_T1_T2_jT3_P12ihipStream_tbPNSt15iterator_traitsISN_E10value_typeEPNST_ISO_E10value_typeEPSP_NS1_7vsmem_tEENKUlT_SN_SO_SP_E_clISG_PjSI_PS9_EESM_S12_SN_SO_SP_EUlS12_E_NS1_11comp_targetILNS1_3genE10ELNS1_11target_archE1201ELNS1_3gpuE5ELNS1_3repE0EEENS1_48merge_mergepath_partition_config_static_selectorELNS0_4arch9wavefront6targetE0EEEvSO_,comdat
.Lfunc_end116:
	.size	_ZN7rocprim17ROCPRIM_400000_NS6detail17trampoline_kernelINS0_14default_configENS1_38merge_sort_block_merge_config_selectorIjN6thrust23THRUST_200600_302600_NS5tupleIffNS6_9null_typeES8_S8_S8_S8_S8_S8_S8_EEEEZZNS1_27merge_sort_block_merge_implIS3_NS6_6detail15normal_iteratorINS6_10device_ptrIjEEEENSD_INSE_IS9_EEEEjNS1_19radix_merge_compareILb0ELb1EjNS0_19identity_decomposerEEEEE10hipError_tT0_T1_T2_jT3_P12ihipStream_tbPNSt15iterator_traitsISN_E10value_typeEPNST_ISO_E10value_typeEPSP_NS1_7vsmem_tEENKUlT_SN_SO_SP_E_clISG_PjSI_PS9_EESM_S12_SN_SO_SP_EUlS12_E_NS1_11comp_targetILNS1_3genE10ELNS1_11target_archE1201ELNS1_3gpuE5ELNS1_3repE0EEENS1_48merge_mergepath_partition_config_static_selectorELNS0_4arch9wavefront6targetE0EEEvSO_, .Lfunc_end116-_ZN7rocprim17ROCPRIM_400000_NS6detail17trampoline_kernelINS0_14default_configENS1_38merge_sort_block_merge_config_selectorIjN6thrust23THRUST_200600_302600_NS5tupleIffNS6_9null_typeES8_S8_S8_S8_S8_S8_S8_EEEEZZNS1_27merge_sort_block_merge_implIS3_NS6_6detail15normal_iteratorINS6_10device_ptrIjEEEENSD_INSE_IS9_EEEEjNS1_19radix_merge_compareILb0ELb1EjNS0_19identity_decomposerEEEEE10hipError_tT0_T1_T2_jT3_P12ihipStream_tbPNSt15iterator_traitsISN_E10value_typeEPNST_ISO_E10value_typeEPSP_NS1_7vsmem_tEENKUlT_SN_SO_SP_E_clISG_PjSI_PS9_EESM_S12_SN_SO_SP_EUlS12_E_NS1_11comp_targetILNS1_3genE10ELNS1_11target_archE1201ELNS1_3gpuE5ELNS1_3repE0EEENS1_48merge_mergepath_partition_config_static_selectorELNS0_4arch9wavefront6targetE0EEEvSO_
                                        ; -- End function
	.set _ZN7rocprim17ROCPRIM_400000_NS6detail17trampoline_kernelINS0_14default_configENS1_38merge_sort_block_merge_config_selectorIjN6thrust23THRUST_200600_302600_NS5tupleIffNS6_9null_typeES8_S8_S8_S8_S8_S8_S8_EEEEZZNS1_27merge_sort_block_merge_implIS3_NS6_6detail15normal_iteratorINS6_10device_ptrIjEEEENSD_INSE_IS9_EEEEjNS1_19radix_merge_compareILb0ELb1EjNS0_19identity_decomposerEEEEE10hipError_tT0_T1_T2_jT3_P12ihipStream_tbPNSt15iterator_traitsISN_E10value_typeEPNST_ISO_E10value_typeEPSP_NS1_7vsmem_tEENKUlT_SN_SO_SP_E_clISG_PjSI_PS9_EESM_S12_SN_SO_SP_EUlS12_E_NS1_11comp_targetILNS1_3genE10ELNS1_11target_archE1201ELNS1_3gpuE5ELNS1_3repE0EEENS1_48merge_mergepath_partition_config_static_selectorELNS0_4arch9wavefront6targetE0EEEvSO_.num_vgpr, 0
	.set _ZN7rocprim17ROCPRIM_400000_NS6detail17trampoline_kernelINS0_14default_configENS1_38merge_sort_block_merge_config_selectorIjN6thrust23THRUST_200600_302600_NS5tupleIffNS6_9null_typeES8_S8_S8_S8_S8_S8_S8_EEEEZZNS1_27merge_sort_block_merge_implIS3_NS6_6detail15normal_iteratorINS6_10device_ptrIjEEEENSD_INSE_IS9_EEEEjNS1_19radix_merge_compareILb0ELb1EjNS0_19identity_decomposerEEEEE10hipError_tT0_T1_T2_jT3_P12ihipStream_tbPNSt15iterator_traitsISN_E10value_typeEPNST_ISO_E10value_typeEPSP_NS1_7vsmem_tEENKUlT_SN_SO_SP_E_clISG_PjSI_PS9_EESM_S12_SN_SO_SP_EUlS12_E_NS1_11comp_targetILNS1_3genE10ELNS1_11target_archE1201ELNS1_3gpuE5ELNS1_3repE0EEENS1_48merge_mergepath_partition_config_static_selectorELNS0_4arch9wavefront6targetE0EEEvSO_.num_agpr, 0
	.set _ZN7rocprim17ROCPRIM_400000_NS6detail17trampoline_kernelINS0_14default_configENS1_38merge_sort_block_merge_config_selectorIjN6thrust23THRUST_200600_302600_NS5tupleIffNS6_9null_typeES8_S8_S8_S8_S8_S8_S8_EEEEZZNS1_27merge_sort_block_merge_implIS3_NS6_6detail15normal_iteratorINS6_10device_ptrIjEEEENSD_INSE_IS9_EEEEjNS1_19radix_merge_compareILb0ELb1EjNS0_19identity_decomposerEEEEE10hipError_tT0_T1_T2_jT3_P12ihipStream_tbPNSt15iterator_traitsISN_E10value_typeEPNST_ISO_E10value_typeEPSP_NS1_7vsmem_tEENKUlT_SN_SO_SP_E_clISG_PjSI_PS9_EESM_S12_SN_SO_SP_EUlS12_E_NS1_11comp_targetILNS1_3genE10ELNS1_11target_archE1201ELNS1_3gpuE5ELNS1_3repE0EEENS1_48merge_mergepath_partition_config_static_selectorELNS0_4arch9wavefront6targetE0EEEvSO_.numbered_sgpr, 0
	.set _ZN7rocprim17ROCPRIM_400000_NS6detail17trampoline_kernelINS0_14default_configENS1_38merge_sort_block_merge_config_selectorIjN6thrust23THRUST_200600_302600_NS5tupleIffNS6_9null_typeES8_S8_S8_S8_S8_S8_S8_EEEEZZNS1_27merge_sort_block_merge_implIS3_NS6_6detail15normal_iteratorINS6_10device_ptrIjEEEENSD_INSE_IS9_EEEEjNS1_19radix_merge_compareILb0ELb1EjNS0_19identity_decomposerEEEEE10hipError_tT0_T1_T2_jT3_P12ihipStream_tbPNSt15iterator_traitsISN_E10value_typeEPNST_ISO_E10value_typeEPSP_NS1_7vsmem_tEENKUlT_SN_SO_SP_E_clISG_PjSI_PS9_EESM_S12_SN_SO_SP_EUlS12_E_NS1_11comp_targetILNS1_3genE10ELNS1_11target_archE1201ELNS1_3gpuE5ELNS1_3repE0EEENS1_48merge_mergepath_partition_config_static_selectorELNS0_4arch9wavefront6targetE0EEEvSO_.num_named_barrier, 0
	.set _ZN7rocprim17ROCPRIM_400000_NS6detail17trampoline_kernelINS0_14default_configENS1_38merge_sort_block_merge_config_selectorIjN6thrust23THRUST_200600_302600_NS5tupleIffNS6_9null_typeES8_S8_S8_S8_S8_S8_S8_EEEEZZNS1_27merge_sort_block_merge_implIS3_NS6_6detail15normal_iteratorINS6_10device_ptrIjEEEENSD_INSE_IS9_EEEEjNS1_19radix_merge_compareILb0ELb1EjNS0_19identity_decomposerEEEEE10hipError_tT0_T1_T2_jT3_P12ihipStream_tbPNSt15iterator_traitsISN_E10value_typeEPNST_ISO_E10value_typeEPSP_NS1_7vsmem_tEENKUlT_SN_SO_SP_E_clISG_PjSI_PS9_EESM_S12_SN_SO_SP_EUlS12_E_NS1_11comp_targetILNS1_3genE10ELNS1_11target_archE1201ELNS1_3gpuE5ELNS1_3repE0EEENS1_48merge_mergepath_partition_config_static_selectorELNS0_4arch9wavefront6targetE0EEEvSO_.private_seg_size, 0
	.set _ZN7rocprim17ROCPRIM_400000_NS6detail17trampoline_kernelINS0_14default_configENS1_38merge_sort_block_merge_config_selectorIjN6thrust23THRUST_200600_302600_NS5tupleIffNS6_9null_typeES8_S8_S8_S8_S8_S8_S8_EEEEZZNS1_27merge_sort_block_merge_implIS3_NS6_6detail15normal_iteratorINS6_10device_ptrIjEEEENSD_INSE_IS9_EEEEjNS1_19radix_merge_compareILb0ELb1EjNS0_19identity_decomposerEEEEE10hipError_tT0_T1_T2_jT3_P12ihipStream_tbPNSt15iterator_traitsISN_E10value_typeEPNST_ISO_E10value_typeEPSP_NS1_7vsmem_tEENKUlT_SN_SO_SP_E_clISG_PjSI_PS9_EESM_S12_SN_SO_SP_EUlS12_E_NS1_11comp_targetILNS1_3genE10ELNS1_11target_archE1201ELNS1_3gpuE5ELNS1_3repE0EEENS1_48merge_mergepath_partition_config_static_selectorELNS0_4arch9wavefront6targetE0EEEvSO_.uses_vcc, 0
	.set _ZN7rocprim17ROCPRIM_400000_NS6detail17trampoline_kernelINS0_14default_configENS1_38merge_sort_block_merge_config_selectorIjN6thrust23THRUST_200600_302600_NS5tupleIffNS6_9null_typeES8_S8_S8_S8_S8_S8_S8_EEEEZZNS1_27merge_sort_block_merge_implIS3_NS6_6detail15normal_iteratorINS6_10device_ptrIjEEEENSD_INSE_IS9_EEEEjNS1_19radix_merge_compareILb0ELb1EjNS0_19identity_decomposerEEEEE10hipError_tT0_T1_T2_jT3_P12ihipStream_tbPNSt15iterator_traitsISN_E10value_typeEPNST_ISO_E10value_typeEPSP_NS1_7vsmem_tEENKUlT_SN_SO_SP_E_clISG_PjSI_PS9_EESM_S12_SN_SO_SP_EUlS12_E_NS1_11comp_targetILNS1_3genE10ELNS1_11target_archE1201ELNS1_3gpuE5ELNS1_3repE0EEENS1_48merge_mergepath_partition_config_static_selectorELNS0_4arch9wavefront6targetE0EEEvSO_.uses_flat_scratch, 0
	.set _ZN7rocprim17ROCPRIM_400000_NS6detail17trampoline_kernelINS0_14default_configENS1_38merge_sort_block_merge_config_selectorIjN6thrust23THRUST_200600_302600_NS5tupleIffNS6_9null_typeES8_S8_S8_S8_S8_S8_S8_EEEEZZNS1_27merge_sort_block_merge_implIS3_NS6_6detail15normal_iteratorINS6_10device_ptrIjEEEENSD_INSE_IS9_EEEEjNS1_19radix_merge_compareILb0ELb1EjNS0_19identity_decomposerEEEEE10hipError_tT0_T1_T2_jT3_P12ihipStream_tbPNSt15iterator_traitsISN_E10value_typeEPNST_ISO_E10value_typeEPSP_NS1_7vsmem_tEENKUlT_SN_SO_SP_E_clISG_PjSI_PS9_EESM_S12_SN_SO_SP_EUlS12_E_NS1_11comp_targetILNS1_3genE10ELNS1_11target_archE1201ELNS1_3gpuE5ELNS1_3repE0EEENS1_48merge_mergepath_partition_config_static_selectorELNS0_4arch9wavefront6targetE0EEEvSO_.has_dyn_sized_stack, 0
	.set _ZN7rocprim17ROCPRIM_400000_NS6detail17trampoline_kernelINS0_14default_configENS1_38merge_sort_block_merge_config_selectorIjN6thrust23THRUST_200600_302600_NS5tupleIffNS6_9null_typeES8_S8_S8_S8_S8_S8_S8_EEEEZZNS1_27merge_sort_block_merge_implIS3_NS6_6detail15normal_iteratorINS6_10device_ptrIjEEEENSD_INSE_IS9_EEEEjNS1_19radix_merge_compareILb0ELb1EjNS0_19identity_decomposerEEEEE10hipError_tT0_T1_T2_jT3_P12ihipStream_tbPNSt15iterator_traitsISN_E10value_typeEPNST_ISO_E10value_typeEPSP_NS1_7vsmem_tEENKUlT_SN_SO_SP_E_clISG_PjSI_PS9_EESM_S12_SN_SO_SP_EUlS12_E_NS1_11comp_targetILNS1_3genE10ELNS1_11target_archE1201ELNS1_3gpuE5ELNS1_3repE0EEENS1_48merge_mergepath_partition_config_static_selectorELNS0_4arch9wavefront6targetE0EEEvSO_.has_recursion, 0
	.set _ZN7rocprim17ROCPRIM_400000_NS6detail17trampoline_kernelINS0_14default_configENS1_38merge_sort_block_merge_config_selectorIjN6thrust23THRUST_200600_302600_NS5tupleIffNS6_9null_typeES8_S8_S8_S8_S8_S8_S8_EEEEZZNS1_27merge_sort_block_merge_implIS3_NS6_6detail15normal_iteratorINS6_10device_ptrIjEEEENSD_INSE_IS9_EEEEjNS1_19radix_merge_compareILb0ELb1EjNS0_19identity_decomposerEEEEE10hipError_tT0_T1_T2_jT3_P12ihipStream_tbPNSt15iterator_traitsISN_E10value_typeEPNST_ISO_E10value_typeEPSP_NS1_7vsmem_tEENKUlT_SN_SO_SP_E_clISG_PjSI_PS9_EESM_S12_SN_SO_SP_EUlS12_E_NS1_11comp_targetILNS1_3genE10ELNS1_11target_archE1201ELNS1_3gpuE5ELNS1_3repE0EEENS1_48merge_mergepath_partition_config_static_selectorELNS0_4arch9wavefront6targetE0EEEvSO_.has_indirect_call, 0
	.section	.AMDGPU.csdata,"",@progbits
; Kernel info:
; codeLenInByte = 0
; TotalNumSgprs: 0
; NumVgprs: 0
; ScratchSize: 0
; MemoryBound: 0
; FloatMode: 240
; IeeeMode: 1
; LDSByteSize: 0 bytes/workgroup (compile time only)
; SGPRBlocks: 0
; VGPRBlocks: 0
; NumSGPRsForWavesPerEU: 1
; NumVGPRsForWavesPerEU: 1
; Occupancy: 16
; WaveLimiterHint : 0
; COMPUTE_PGM_RSRC2:SCRATCH_EN: 0
; COMPUTE_PGM_RSRC2:USER_SGPR: 6
; COMPUTE_PGM_RSRC2:TRAP_HANDLER: 0
; COMPUTE_PGM_RSRC2:TGID_X_EN: 1
; COMPUTE_PGM_RSRC2:TGID_Y_EN: 0
; COMPUTE_PGM_RSRC2:TGID_Z_EN: 0
; COMPUTE_PGM_RSRC2:TIDIG_COMP_CNT: 0
	.section	.text._ZN7rocprim17ROCPRIM_400000_NS6detail17trampoline_kernelINS0_14default_configENS1_38merge_sort_block_merge_config_selectorIjN6thrust23THRUST_200600_302600_NS5tupleIffNS6_9null_typeES8_S8_S8_S8_S8_S8_S8_EEEEZZNS1_27merge_sort_block_merge_implIS3_NS6_6detail15normal_iteratorINS6_10device_ptrIjEEEENSD_INSE_IS9_EEEEjNS1_19radix_merge_compareILb0ELb1EjNS0_19identity_decomposerEEEEE10hipError_tT0_T1_T2_jT3_P12ihipStream_tbPNSt15iterator_traitsISN_E10value_typeEPNST_ISO_E10value_typeEPSP_NS1_7vsmem_tEENKUlT_SN_SO_SP_E_clISG_PjSI_PS9_EESM_S12_SN_SO_SP_EUlS12_E_NS1_11comp_targetILNS1_3genE5ELNS1_11target_archE942ELNS1_3gpuE9ELNS1_3repE0EEENS1_48merge_mergepath_partition_config_static_selectorELNS0_4arch9wavefront6targetE0EEEvSO_,"axG",@progbits,_ZN7rocprim17ROCPRIM_400000_NS6detail17trampoline_kernelINS0_14default_configENS1_38merge_sort_block_merge_config_selectorIjN6thrust23THRUST_200600_302600_NS5tupleIffNS6_9null_typeES8_S8_S8_S8_S8_S8_S8_EEEEZZNS1_27merge_sort_block_merge_implIS3_NS6_6detail15normal_iteratorINS6_10device_ptrIjEEEENSD_INSE_IS9_EEEEjNS1_19radix_merge_compareILb0ELb1EjNS0_19identity_decomposerEEEEE10hipError_tT0_T1_T2_jT3_P12ihipStream_tbPNSt15iterator_traitsISN_E10value_typeEPNST_ISO_E10value_typeEPSP_NS1_7vsmem_tEENKUlT_SN_SO_SP_E_clISG_PjSI_PS9_EESM_S12_SN_SO_SP_EUlS12_E_NS1_11comp_targetILNS1_3genE5ELNS1_11target_archE942ELNS1_3gpuE9ELNS1_3repE0EEENS1_48merge_mergepath_partition_config_static_selectorELNS0_4arch9wavefront6targetE0EEEvSO_,comdat
	.protected	_ZN7rocprim17ROCPRIM_400000_NS6detail17trampoline_kernelINS0_14default_configENS1_38merge_sort_block_merge_config_selectorIjN6thrust23THRUST_200600_302600_NS5tupleIffNS6_9null_typeES8_S8_S8_S8_S8_S8_S8_EEEEZZNS1_27merge_sort_block_merge_implIS3_NS6_6detail15normal_iteratorINS6_10device_ptrIjEEEENSD_INSE_IS9_EEEEjNS1_19radix_merge_compareILb0ELb1EjNS0_19identity_decomposerEEEEE10hipError_tT0_T1_T2_jT3_P12ihipStream_tbPNSt15iterator_traitsISN_E10value_typeEPNST_ISO_E10value_typeEPSP_NS1_7vsmem_tEENKUlT_SN_SO_SP_E_clISG_PjSI_PS9_EESM_S12_SN_SO_SP_EUlS12_E_NS1_11comp_targetILNS1_3genE5ELNS1_11target_archE942ELNS1_3gpuE9ELNS1_3repE0EEENS1_48merge_mergepath_partition_config_static_selectorELNS0_4arch9wavefront6targetE0EEEvSO_ ; -- Begin function _ZN7rocprim17ROCPRIM_400000_NS6detail17trampoline_kernelINS0_14default_configENS1_38merge_sort_block_merge_config_selectorIjN6thrust23THRUST_200600_302600_NS5tupleIffNS6_9null_typeES8_S8_S8_S8_S8_S8_S8_EEEEZZNS1_27merge_sort_block_merge_implIS3_NS6_6detail15normal_iteratorINS6_10device_ptrIjEEEENSD_INSE_IS9_EEEEjNS1_19radix_merge_compareILb0ELb1EjNS0_19identity_decomposerEEEEE10hipError_tT0_T1_T2_jT3_P12ihipStream_tbPNSt15iterator_traitsISN_E10value_typeEPNST_ISO_E10value_typeEPSP_NS1_7vsmem_tEENKUlT_SN_SO_SP_E_clISG_PjSI_PS9_EESM_S12_SN_SO_SP_EUlS12_E_NS1_11comp_targetILNS1_3genE5ELNS1_11target_archE942ELNS1_3gpuE9ELNS1_3repE0EEENS1_48merge_mergepath_partition_config_static_selectorELNS0_4arch9wavefront6targetE0EEEvSO_
	.globl	_ZN7rocprim17ROCPRIM_400000_NS6detail17trampoline_kernelINS0_14default_configENS1_38merge_sort_block_merge_config_selectorIjN6thrust23THRUST_200600_302600_NS5tupleIffNS6_9null_typeES8_S8_S8_S8_S8_S8_S8_EEEEZZNS1_27merge_sort_block_merge_implIS3_NS6_6detail15normal_iteratorINS6_10device_ptrIjEEEENSD_INSE_IS9_EEEEjNS1_19radix_merge_compareILb0ELb1EjNS0_19identity_decomposerEEEEE10hipError_tT0_T1_T2_jT3_P12ihipStream_tbPNSt15iterator_traitsISN_E10value_typeEPNST_ISO_E10value_typeEPSP_NS1_7vsmem_tEENKUlT_SN_SO_SP_E_clISG_PjSI_PS9_EESM_S12_SN_SO_SP_EUlS12_E_NS1_11comp_targetILNS1_3genE5ELNS1_11target_archE942ELNS1_3gpuE9ELNS1_3repE0EEENS1_48merge_mergepath_partition_config_static_selectorELNS0_4arch9wavefront6targetE0EEEvSO_
	.p2align	8
	.type	_ZN7rocprim17ROCPRIM_400000_NS6detail17trampoline_kernelINS0_14default_configENS1_38merge_sort_block_merge_config_selectorIjN6thrust23THRUST_200600_302600_NS5tupleIffNS6_9null_typeES8_S8_S8_S8_S8_S8_S8_EEEEZZNS1_27merge_sort_block_merge_implIS3_NS6_6detail15normal_iteratorINS6_10device_ptrIjEEEENSD_INSE_IS9_EEEEjNS1_19radix_merge_compareILb0ELb1EjNS0_19identity_decomposerEEEEE10hipError_tT0_T1_T2_jT3_P12ihipStream_tbPNSt15iterator_traitsISN_E10value_typeEPNST_ISO_E10value_typeEPSP_NS1_7vsmem_tEENKUlT_SN_SO_SP_E_clISG_PjSI_PS9_EESM_S12_SN_SO_SP_EUlS12_E_NS1_11comp_targetILNS1_3genE5ELNS1_11target_archE942ELNS1_3gpuE9ELNS1_3repE0EEENS1_48merge_mergepath_partition_config_static_selectorELNS0_4arch9wavefront6targetE0EEEvSO_,@function
_ZN7rocprim17ROCPRIM_400000_NS6detail17trampoline_kernelINS0_14default_configENS1_38merge_sort_block_merge_config_selectorIjN6thrust23THRUST_200600_302600_NS5tupleIffNS6_9null_typeES8_S8_S8_S8_S8_S8_S8_EEEEZZNS1_27merge_sort_block_merge_implIS3_NS6_6detail15normal_iteratorINS6_10device_ptrIjEEEENSD_INSE_IS9_EEEEjNS1_19radix_merge_compareILb0ELb1EjNS0_19identity_decomposerEEEEE10hipError_tT0_T1_T2_jT3_P12ihipStream_tbPNSt15iterator_traitsISN_E10value_typeEPNST_ISO_E10value_typeEPSP_NS1_7vsmem_tEENKUlT_SN_SO_SP_E_clISG_PjSI_PS9_EESM_S12_SN_SO_SP_EUlS12_E_NS1_11comp_targetILNS1_3genE5ELNS1_11target_archE942ELNS1_3gpuE9ELNS1_3repE0EEENS1_48merge_mergepath_partition_config_static_selectorELNS0_4arch9wavefront6targetE0EEEvSO_: ; @_ZN7rocprim17ROCPRIM_400000_NS6detail17trampoline_kernelINS0_14default_configENS1_38merge_sort_block_merge_config_selectorIjN6thrust23THRUST_200600_302600_NS5tupleIffNS6_9null_typeES8_S8_S8_S8_S8_S8_S8_EEEEZZNS1_27merge_sort_block_merge_implIS3_NS6_6detail15normal_iteratorINS6_10device_ptrIjEEEENSD_INSE_IS9_EEEEjNS1_19radix_merge_compareILb0ELb1EjNS0_19identity_decomposerEEEEE10hipError_tT0_T1_T2_jT3_P12ihipStream_tbPNSt15iterator_traitsISN_E10value_typeEPNST_ISO_E10value_typeEPSP_NS1_7vsmem_tEENKUlT_SN_SO_SP_E_clISG_PjSI_PS9_EESM_S12_SN_SO_SP_EUlS12_E_NS1_11comp_targetILNS1_3genE5ELNS1_11target_archE942ELNS1_3gpuE9ELNS1_3repE0EEENS1_48merge_mergepath_partition_config_static_selectorELNS0_4arch9wavefront6targetE0EEEvSO_
; %bb.0:
	.section	.rodata,"a",@progbits
	.p2align	6, 0x0
	.amdhsa_kernel _ZN7rocprim17ROCPRIM_400000_NS6detail17trampoline_kernelINS0_14default_configENS1_38merge_sort_block_merge_config_selectorIjN6thrust23THRUST_200600_302600_NS5tupleIffNS6_9null_typeES8_S8_S8_S8_S8_S8_S8_EEEEZZNS1_27merge_sort_block_merge_implIS3_NS6_6detail15normal_iteratorINS6_10device_ptrIjEEEENSD_INSE_IS9_EEEEjNS1_19radix_merge_compareILb0ELb1EjNS0_19identity_decomposerEEEEE10hipError_tT0_T1_T2_jT3_P12ihipStream_tbPNSt15iterator_traitsISN_E10value_typeEPNST_ISO_E10value_typeEPSP_NS1_7vsmem_tEENKUlT_SN_SO_SP_E_clISG_PjSI_PS9_EESM_S12_SN_SO_SP_EUlS12_E_NS1_11comp_targetILNS1_3genE5ELNS1_11target_archE942ELNS1_3gpuE9ELNS1_3repE0EEENS1_48merge_mergepath_partition_config_static_selectorELNS0_4arch9wavefront6targetE0EEEvSO_
		.amdhsa_group_segment_fixed_size 0
		.amdhsa_private_segment_fixed_size 0
		.amdhsa_kernarg_size 40
		.amdhsa_user_sgpr_count 6
		.amdhsa_user_sgpr_private_segment_buffer 1
		.amdhsa_user_sgpr_dispatch_ptr 0
		.amdhsa_user_sgpr_queue_ptr 0
		.amdhsa_user_sgpr_kernarg_segment_ptr 1
		.amdhsa_user_sgpr_dispatch_id 0
		.amdhsa_user_sgpr_flat_scratch_init 0
		.amdhsa_user_sgpr_private_segment_size 0
		.amdhsa_wavefront_size32 1
		.amdhsa_uses_dynamic_stack 0
		.amdhsa_system_sgpr_private_segment_wavefront_offset 0
		.amdhsa_system_sgpr_workgroup_id_x 1
		.amdhsa_system_sgpr_workgroup_id_y 0
		.amdhsa_system_sgpr_workgroup_id_z 0
		.amdhsa_system_sgpr_workgroup_info 0
		.amdhsa_system_vgpr_workitem_id 0
		.amdhsa_next_free_vgpr 1
		.amdhsa_next_free_sgpr 1
		.amdhsa_reserve_vcc 0
		.amdhsa_reserve_flat_scratch 0
		.amdhsa_float_round_mode_32 0
		.amdhsa_float_round_mode_16_64 0
		.amdhsa_float_denorm_mode_32 3
		.amdhsa_float_denorm_mode_16_64 3
		.amdhsa_dx10_clamp 1
		.amdhsa_ieee_mode 1
		.amdhsa_fp16_overflow 0
		.amdhsa_workgroup_processor_mode 1
		.amdhsa_memory_ordered 1
		.amdhsa_forward_progress 1
		.amdhsa_shared_vgpr_count 0
		.amdhsa_exception_fp_ieee_invalid_op 0
		.amdhsa_exception_fp_denorm_src 0
		.amdhsa_exception_fp_ieee_div_zero 0
		.amdhsa_exception_fp_ieee_overflow 0
		.amdhsa_exception_fp_ieee_underflow 0
		.amdhsa_exception_fp_ieee_inexact 0
		.amdhsa_exception_int_div_zero 0
	.end_amdhsa_kernel
	.section	.text._ZN7rocprim17ROCPRIM_400000_NS6detail17trampoline_kernelINS0_14default_configENS1_38merge_sort_block_merge_config_selectorIjN6thrust23THRUST_200600_302600_NS5tupleIffNS6_9null_typeES8_S8_S8_S8_S8_S8_S8_EEEEZZNS1_27merge_sort_block_merge_implIS3_NS6_6detail15normal_iteratorINS6_10device_ptrIjEEEENSD_INSE_IS9_EEEEjNS1_19radix_merge_compareILb0ELb1EjNS0_19identity_decomposerEEEEE10hipError_tT0_T1_T2_jT3_P12ihipStream_tbPNSt15iterator_traitsISN_E10value_typeEPNST_ISO_E10value_typeEPSP_NS1_7vsmem_tEENKUlT_SN_SO_SP_E_clISG_PjSI_PS9_EESM_S12_SN_SO_SP_EUlS12_E_NS1_11comp_targetILNS1_3genE5ELNS1_11target_archE942ELNS1_3gpuE9ELNS1_3repE0EEENS1_48merge_mergepath_partition_config_static_selectorELNS0_4arch9wavefront6targetE0EEEvSO_,"axG",@progbits,_ZN7rocprim17ROCPRIM_400000_NS6detail17trampoline_kernelINS0_14default_configENS1_38merge_sort_block_merge_config_selectorIjN6thrust23THRUST_200600_302600_NS5tupleIffNS6_9null_typeES8_S8_S8_S8_S8_S8_S8_EEEEZZNS1_27merge_sort_block_merge_implIS3_NS6_6detail15normal_iteratorINS6_10device_ptrIjEEEENSD_INSE_IS9_EEEEjNS1_19radix_merge_compareILb0ELb1EjNS0_19identity_decomposerEEEEE10hipError_tT0_T1_T2_jT3_P12ihipStream_tbPNSt15iterator_traitsISN_E10value_typeEPNST_ISO_E10value_typeEPSP_NS1_7vsmem_tEENKUlT_SN_SO_SP_E_clISG_PjSI_PS9_EESM_S12_SN_SO_SP_EUlS12_E_NS1_11comp_targetILNS1_3genE5ELNS1_11target_archE942ELNS1_3gpuE9ELNS1_3repE0EEENS1_48merge_mergepath_partition_config_static_selectorELNS0_4arch9wavefront6targetE0EEEvSO_,comdat
.Lfunc_end117:
	.size	_ZN7rocprim17ROCPRIM_400000_NS6detail17trampoline_kernelINS0_14default_configENS1_38merge_sort_block_merge_config_selectorIjN6thrust23THRUST_200600_302600_NS5tupleIffNS6_9null_typeES8_S8_S8_S8_S8_S8_S8_EEEEZZNS1_27merge_sort_block_merge_implIS3_NS6_6detail15normal_iteratorINS6_10device_ptrIjEEEENSD_INSE_IS9_EEEEjNS1_19radix_merge_compareILb0ELb1EjNS0_19identity_decomposerEEEEE10hipError_tT0_T1_T2_jT3_P12ihipStream_tbPNSt15iterator_traitsISN_E10value_typeEPNST_ISO_E10value_typeEPSP_NS1_7vsmem_tEENKUlT_SN_SO_SP_E_clISG_PjSI_PS9_EESM_S12_SN_SO_SP_EUlS12_E_NS1_11comp_targetILNS1_3genE5ELNS1_11target_archE942ELNS1_3gpuE9ELNS1_3repE0EEENS1_48merge_mergepath_partition_config_static_selectorELNS0_4arch9wavefront6targetE0EEEvSO_, .Lfunc_end117-_ZN7rocprim17ROCPRIM_400000_NS6detail17trampoline_kernelINS0_14default_configENS1_38merge_sort_block_merge_config_selectorIjN6thrust23THRUST_200600_302600_NS5tupleIffNS6_9null_typeES8_S8_S8_S8_S8_S8_S8_EEEEZZNS1_27merge_sort_block_merge_implIS3_NS6_6detail15normal_iteratorINS6_10device_ptrIjEEEENSD_INSE_IS9_EEEEjNS1_19radix_merge_compareILb0ELb1EjNS0_19identity_decomposerEEEEE10hipError_tT0_T1_T2_jT3_P12ihipStream_tbPNSt15iterator_traitsISN_E10value_typeEPNST_ISO_E10value_typeEPSP_NS1_7vsmem_tEENKUlT_SN_SO_SP_E_clISG_PjSI_PS9_EESM_S12_SN_SO_SP_EUlS12_E_NS1_11comp_targetILNS1_3genE5ELNS1_11target_archE942ELNS1_3gpuE9ELNS1_3repE0EEENS1_48merge_mergepath_partition_config_static_selectorELNS0_4arch9wavefront6targetE0EEEvSO_
                                        ; -- End function
	.set _ZN7rocprim17ROCPRIM_400000_NS6detail17trampoline_kernelINS0_14default_configENS1_38merge_sort_block_merge_config_selectorIjN6thrust23THRUST_200600_302600_NS5tupleIffNS6_9null_typeES8_S8_S8_S8_S8_S8_S8_EEEEZZNS1_27merge_sort_block_merge_implIS3_NS6_6detail15normal_iteratorINS6_10device_ptrIjEEEENSD_INSE_IS9_EEEEjNS1_19radix_merge_compareILb0ELb1EjNS0_19identity_decomposerEEEEE10hipError_tT0_T1_T2_jT3_P12ihipStream_tbPNSt15iterator_traitsISN_E10value_typeEPNST_ISO_E10value_typeEPSP_NS1_7vsmem_tEENKUlT_SN_SO_SP_E_clISG_PjSI_PS9_EESM_S12_SN_SO_SP_EUlS12_E_NS1_11comp_targetILNS1_3genE5ELNS1_11target_archE942ELNS1_3gpuE9ELNS1_3repE0EEENS1_48merge_mergepath_partition_config_static_selectorELNS0_4arch9wavefront6targetE0EEEvSO_.num_vgpr, 0
	.set _ZN7rocprim17ROCPRIM_400000_NS6detail17trampoline_kernelINS0_14default_configENS1_38merge_sort_block_merge_config_selectorIjN6thrust23THRUST_200600_302600_NS5tupleIffNS6_9null_typeES8_S8_S8_S8_S8_S8_S8_EEEEZZNS1_27merge_sort_block_merge_implIS3_NS6_6detail15normal_iteratorINS6_10device_ptrIjEEEENSD_INSE_IS9_EEEEjNS1_19radix_merge_compareILb0ELb1EjNS0_19identity_decomposerEEEEE10hipError_tT0_T1_T2_jT3_P12ihipStream_tbPNSt15iterator_traitsISN_E10value_typeEPNST_ISO_E10value_typeEPSP_NS1_7vsmem_tEENKUlT_SN_SO_SP_E_clISG_PjSI_PS9_EESM_S12_SN_SO_SP_EUlS12_E_NS1_11comp_targetILNS1_3genE5ELNS1_11target_archE942ELNS1_3gpuE9ELNS1_3repE0EEENS1_48merge_mergepath_partition_config_static_selectorELNS0_4arch9wavefront6targetE0EEEvSO_.num_agpr, 0
	.set _ZN7rocprim17ROCPRIM_400000_NS6detail17trampoline_kernelINS0_14default_configENS1_38merge_sort_block_merge_config_selectorIjN6thrust23THRUST_200600_302600_NS5tupleIffNS6_9null_typeES8_S8_S8_S8_S8_S8_S8_EEEEZZNS1_27merge_sort_block_merge_implIS3_NS6_6detail15normal_iteratorINS6_10device_ptrIjEEEENSD_INSE_IS9_EEEEjNS1_19radix_merge_compareILb0ELb1EjNS0_19identity_decomposerEEEEE10hipError_tT0_T1_T2_jT3_P12ihipStream_tbPNSt15iterator_traitsISN_E10value_typeEPNST_ISO_E10value_typeEPSP_NS1_7vsmem_tEENKUlT_SN_SO_SP_E_clISG_PjSI_PS9_EESM_S12_SN_SO_SP_EUlS12_E_NS1_11comp_targetILNS1_3genE5ELNS1_11target_archE942ELNS1_3gpuE9ELNS1_3repE0EEENS1_48merge_mergepath_partition_config_static_selectorELNS0_4arch9wavefront6targetE0EEEvSO_.numbered_sgpr, 0
	.set _ZN7rocprim17ROCPRIM_400000_NS6detail17trampoline_kernelINS0_14default_configENS1_38merge_sort_block_merge_config_selectorIjN6thrust23THRUST_200600_302600_NS5tupleIffNS6_9null_typeES8_S8_S8_S8_S8_S8_S8_EEEEZZNS1_27merge_sort_block_merge_implIS3_NS6_6detail15normal_iteratorINS6_10device_ptrIjEEEENSD_INSE_IS9_EEEEjNS1_19radix_merge_compareILb0ELb1EjNS0_19identity_decomposerEEEEE10hipError_tT0_T1_T2_jT3_P12ihipStream_tbPNSt15iterator_traitsISN_E10value_typeEPNST_ISO_E10value_typeEPSP_NS1_7vsmem_tEENKUlT_SN_SO_SP_E_clISG_PjSI_PS9_EESM_S12_SN_SO_SP_EUlS12_E_NS1_11comp_targetILNS1_3genE5ELNS1_11target_archE942ELNS1_3gpuE9ELNS1_3repE0EEENS1_48merge_mergepath_partition_config_static_selectorELNS0_4arch9wavefront6targetE0EEEvSO_.num_named_barrier, 0
	.set _ZN7rocprim17ROCPRIM_400000_NS6detail17trampoline_kernelINS0_14default_configENS1_38merge_sort_block_merge_config_selectorIjN6thrust23THRUST_200600_302600_NS5tupleIffNS6_9null_typeES8_S8_S8_S8_S8_S8_S8_EEEEZZNS1_27merge_sort_block_merge_implIS3_NS6_6detail15normal_iteratorINS6_10device_ptrIjEEEENSD_INSE_IS9_EEEEjNS1_19radix_merge_compareILb0ELb1EjNS0_19identity_decomposerEEEEE10hipError_tT0_T1_T2_jT3_P12ihipStream_tbPNSt15iterator_traitsISN_E10value_typeEPNST_ISO_E10value_typeEPSP_NS1_7vsmem_tEENKUlT_SN_SO_SP_E_clISG_PjSI_PS9_EESM_S12_SN_SO_SP_EUlS12_E_NS1_11comp_targetILNS1_3genE5ELNS1_11target_archE942ELNS1_3gpuE9ELNS1_3repE0EEENS1_48merge_mergepath_partition_config_static_selectorELNS0_4arch9wavefront6targetE0EEEvSO_.private_seg_size, 0
	.set _ZN7rocprim17ROCPRIM_400000_NS6detail17trampoline_kernelINS0_14default_configENS1_38merge_sort_block_merge_config_selectorIjN6thrust23THRUST_200600_302600_NS5tupleIffNS6_9null_typeES8_S8_S8_S8_S8_S8_S8_EEEEZZNS1_27merge_sort_block_merge_implIS3_NS6_6detail15normal_iteratorINS6_10device_ptrIjEEEENSD_INSE_IS9_EEEEjNS1_19radix_merge_compareILb0ELb1EjNS0_19identity_decomposerEEEEE10hipError_tT0_T1_T2_jT3_P12ihipStream_tbPNSt15iterator_traitsISN_E10value_typeEPNST_ISO_E10value_typeEPSP_NS1_7vsmem_tEENKUlT_SN_SO_SP_E_clISG_PjSI_PS9_EESM_S12_SN_SO_SP_EUlS12_E_NS1_11comp_targetILNS1_3genE5ELNS1_11target_archE942ELNS1_3gpuE9ELNS1_3repE0EEENS1_48merge_mergepath_partition_config_static_selectorELNS0_4arch9wavefront6targetE0EEEvSO_.uses_vcc, 0
	.set _ZN7rocprim17ROCPRIM_400000_NS6detail17trampoline_kernelINS0_14default_configENS1_38merge_sort_block_merge_config_selectorIjN6thrust23THRUST_200600_302600_NS5tupleIffNS6_9null_typeES8_S8_S8_S8_S8_S8_S8_EEEEZZNS1_27merge_sort_block_merge_implIS3_NS6_6detail15normal_iteratorINS6_10device_ptrIjEEEENSD_INSE_IS9_EEEEjNS1_19radix_merge_compareILb0ELb1EjNS0_19identity_decomposerEEEEE10hipError_tT0_T1_T2_jT3_P12ihipStream_tbPNSt15iterator_traitsISN_E10value_typeEPNST_ISO_E10value_typeEPSP_NS1_7vsmem_tEENKUlT_SN_SO_SP_E_clISG_PjSI_PS9_EESM_S12_SN_SO_SP_EUlS12_E_NS1_11comp_targetILNS1_3genE5ELNS1_11target_archE942ELNS1_3gpuE9ELNS1_3repE0EEENS1_48merge_mergepath_partition_config_static_selectorELNS0_4arch9wavefront6targetE0EEEvSO_.uses_flat_scratch, 0
	.set _ZN7rocprim17ROCPRIM_400000_NS6detail17trampoline_kernelINS0_14default_configENS1_38merge_sort_block_merge_config_selectorIjN6thrust23THRUST_200600_302600_NS5tupleIffNS6_9null_typeES8_S8_S8_S8_S8_S8_S8_EEEEZZNS1_27merge_sort_block_merge_implIS3_NS6_6detail15normal_iteratorINS6_10device_ptrIjEEEENSD_INSE_IS9_EEEEjNS1_19radix_merge_compareILb0ELb1EjNS0_19identity_decomposerEEEEE10hipError_tT0_T1_T2_jT3_P12ihipStream_tbPNSt15iterator_traitsISN_E10value_typeEPNST_ISO_E10value_typeEPSP_NS1_7vsmem_tEENKUlT_SN_SO_SP_E_clISG_PjSI_PS9_EESM_S12_SN_SO_SP_EUlS12_E_NS1_11comp_targetILNS1_3genE5ELNS1_11target_archE942ELNS1_3gpuE9ELNS1_3repE0EEENS1_48merge_mergepath_partition_config_static_selectorELNS0_4arch9wavefront6targetE0EEEvSO_.has_dyn_sized_stack, 0
	.set _ZN7rocprim17ROCPRIM_400000_NS6detail17trampoline_kernelINS0_14default_configENS1_38merge_sort_block_merge_config_selectorIjN6thrust23THRUST_200600_302600_NS5tupleIffNS6_9null_typeES8_S8_S8_S8_S8_S8_S8_EEEEZZNS1_27merge_sort_block_merge_implIS3_NS6_6detail15normal_iteratorINS6_10device_ptrIjEEEENSD_INSE_IS9_EEEEjNS1_19radix_merge_compareILb0ELb1EjNS0_19identity_decomposerEEEEE10hipError_tT0_T1_T2_jT3_P12ihipStream_tbPNSt15iterator_traitsISN_E10value_typeEPNST_ISO_E10value_typeEPSP_NS1_7vsmem_tEENKUlT_SN_SO_SP_E_clISG_PjSI_PS9_EESM_S12_SN_SO_SP_EUlS12_E_NS1_11comp_targetILNS1_3genE5ELNS1_11target_archE942ELNS1_3gpuE9ELNS1_3repE0EEENS1_48merge_mergepath_partition_config_static_selectorELNS0_4arch9wavefront6targetE0EEEvSO_.has_recursion, 0
	.set _ZN7rocprim17ROCPRIM_400000_NS6detail17trampoline_kernelINS0_14default_configENS1_38merge_sort_block_merge_config_selectorIjN6thrust23THRUST_200600_302600_NS5tupleIffNS6_9null_typeES8_S8_S8_S8_S8_S8_S8_EEEEZZNS1_27merge_sort_block_merge_implIS3_NS6_6detail15normal_iteratorINS6_10device_ptrIjEEEENSD_INSE_IS9_EEEEjNS1_19radix_merge_compareILb0ELb1EjNS0_19identity_decomposerEEEEE10hipError_tT0_T1_T2_jT3_P12ihipStream_tbPNSt15iterator_traitsISN_E10value_typeEPNST_ISO_E10value_typeEPSP_NS1_7vsmem_tEENKUlT_SN_SO_SP_E_clISG_PjSI_PS9_EESM_S12_SN_SO_SP_EUlS12_E_NS1_11comp_targetILNS1_3genE5ELNS1_11target_archE942ELNS1_3gpuE9ELNS1_3repE0EEENS1_48merge_mergepath_partition_config_static_selectorELNS0_4arch9wavefront6targetE0EEEvSO_.has_indirect_call, 0
	.section	.AMDGPU.csdata,"",@progbits
; Kernel info:
; codeLenInByte = 0
; TotalNumSgprs: 0
; NumVgprs: 0
; ScratchSize: 0
; MemoryBound: 0
; FloatMode: 240
; IeeeMode: 1
; LDSByteSize: 0 bytes/workgroup (compile time only)
; SGPRBlocks: 0
; VGPRBlocks: 0
; NumSGPRsForWavesPerEU: 1
; NumVGPRsForWavesPerEU: 1
; Occupancy: 16
; WaveLimiterHint : 0
; COMPUTE_PGM_RSRC2:SCRATCH_EN: 0
; COMPUTE_PGM_RSRC2:USER_SGPR: 6
; COMPUTE_PGM_RSRC2:TRAP_HANDLER: 0
; COMPUTE_PGM_RSRC2:TGID_X_EN: 1
; COMPUTE_PGM_RSRC2:TGID_Y_EN: 0
; COMPUTE_PGM_RSRC2:TGID_Z_EN: 0
; COMPUTE_PGM_RSRC2:TIDIG_COMP_CNT: 0
	.section	.text._ZN7rocprim17ROCPRIM_400000_NS6detail17trampoline_kernelINS0_14default_configENS1_38merge_sort_block_merge_config_selectorIjN6thrust23THRUST_200600_302600_NS5tupleIffNS6_9null_typeES8_S8_S8_S8_S8_S8_S8_EEEEZZNS1_27merge_sort_block_merge_implIS3_NS6_6detail15normal_iteratorINS6_10device_ptrIjEEEENSD_INSE_IS9_EEEEjNS1_19radix_merge_compareILb0ELb1EjNS0_19identity_decomposerEEEEE10hipError_tT0_T1_T2_jT3_P12ihipStream_tbPNSt15iterator_traitsISN_E10value_typeEPNST_ISO_E10value_typeEPSP_NS1_7vsmem_tEENKUlT_SN_SO_SP_E_clISG_PjSI_PS9_EESM_S12_SN_SO_SP_EUlS12_E_NS1_11comp_targetILNS1_3genE4ELNS1_11target_archE910ELNS1_3gpuE8ELNS1_3repE0EEENS1_48merge_mergepath_partition_config_static_selectorELNS0_4arch9wavefront6targetE0EEEvSO_,"axG",@progbits,_ZN7rocprim17ROCPRIM_400000_NS6detail17trampoline_kernelINS0_14default_configENS1_38merge_sort_block_merge_config_selectorIjN6thrust23THRUST_200600_302600_NS5tupleIffNS6_9null_typeES8_S8_S8_S8_S8_S8_S8_EEEEZZNS1_27merge_sort_block_merge_implIS3_NS6_6detail15normal_iteratorINS6_10device_ptrIjEEEENSD_INSE_IS9_EEEEjNS1_19radix_merge_compareILb0ELb1EjNS0_19identity_decomposerEEEEE10hipError_tT0_T1_T2_jT3_P12ihipStream_tbPNSt15iterator_traitsISN_E10value_typeEPNST_ISO_E10value_typeEPSP_NS1_7vsmem_tEENKUlT_SN_SO_SP_E_clISG_PjSI_PS9_EESM_S12_SN_SO_SP_EUlS12_E_NS1_11comp_targetILNS1_3genE4ELNS1_11target_archE910ELNS1_3gpuE8ELNS1_3repE0EEENS1_48merge_mergepath_partition_config_static_selectorELNS0_4arch9wavefront6targetE0EEEvSO_,comdat
	.protected	_ZN7rocprim17ROCPRIM_400000_NS6detail17trampoline_kernelINS0_14default_configENS1_38merge_sort_block_merge_config_selectorIjN6thrust23THRUST_200600_302600_NS5tupleIffNS6_9null_typeES8_S8_S8_S8_S8_S8_S8_EEEEZZNS1_27merge_sort_block_merge_implIS3_NS6_6detail15normal_iteratorINS6_10device_ptrIjEEEENSD_INSE_IS9_EEEEjNS1_19radix_merge_compareILb0ELb1EjNS0_19identity_decomposerEEEEE10hipError_tT0_T1_T2_jT3_P12ihipStream_tbPNSt15iterator_traitsISN_E10value_typeEPNST_ISO_E10value_typeEPSP_NS1_7vsmem_tEENKUlT_SN_SO_SP_E_clISG_PjSI_PS9_EESM_S12_SN_SO_SP_EUlS12_E_NS1_11comp_targetILNS1_3genE4ELNS1_11target_archE910ELNS1_3gpuE8ELNS1_3repE0EEENS1_48merge_mergepath_partition_config_static_selectorELNS0_4arch9wavefront6targetE0EEEvSO_ ; -- Begin function _ZN7rocprim17ROCPRIM_400000_NS6detail17trampoline_kernelINS0_14default_configENS1_38merge_sort_block_merge_config_selectorIjN6thrust23THRUST_200600_302600_NS5tupleIffNS6_9null_typeES8_S8_S8_S8_S8_S8_S8_EEEEZZNS1_27merge_sort_block_merge_implIS3_NS6_6detail15normal_iteratorINS6_10device_ptrIjEEEENSD_INSE_IS9_EEEEjNS1_19radix_merge_compareILb0ELb1EjNS0_19identity_decomposerEEEEE10hipError_tT0_T1_T2_jT3_P12ihipStream_tbPNSt15iterator_traitsISN_E10value_typeEPNST_ISO_E10value_typeEPSP_NS1_7vsmem_tEENKUlT_SN_SO_SP_E_clISG_PjSI_PS9_EESM_S12_SN_SO_SP_EUlS12_E_NS1_11comp_targetILNS1_3genE4ELNS1_11target_archE910ELNS1_3gpuE8ELNS1_3repE0EEENS1_48merge_mergepath_partition_config_static_selectorELNS0_4arch9wavefront6targetE0EEEvSO_
	.globl	_ZN7rocprim17ROCPRIM_400000_NS6detail17trampoline_kernelINS0_14default_configENS1_38merge_sort_block_merge_config_selectorIjN6thrust23THRUST_200600_302600_NS5tupleIffNS6_9null_typeES8_S8_S8_S8_S8_S8_S8_EEEEZZNS1_27merge_sort_block_merge_implIS3_NS6_6detail15normal_iteratorINS6_10device_ptrIjEEEENSD_INSE_IS9_EEEEjNS1_19radix_merge_compareILb0ELb1EjNS0_19identity_decomposerEEEEE10hipError_tT0_T1_T2_jT3_P12ihipStream_tbPNSt15iterator_traitsISN_E10value_typeEPNST_ISO_E10value_typeEPSP_NS1_7vsmem_tEENKUlT_SN_SO_SP_E_clISG_PjSI_PS9_EESM_S12_SN_SO_SP_EUlS12_E_NS1_11comp_targetILNS1_3genE4ELNS1_11target_archE910ELNS1_3gpuE8ELNS1_3repE0EEENS1_48merge_mergepath_partition_config_static_selectorELNS0_4arch9wavefront6targetE0EEEvSO_
	.p2align	8
	.type	_ZN7rocprim17ROCPRIM_400000_NS6detail17trampoline_kernelINS0_14default_configENS1_38merge_sort_block_merge_config_selectorIjN6thrust23THRUST_200600_302600_NS5tupleIffNS6_9null_typeES8_S8_S8_S8_S8_S8_S8_EEEEZZNS1_27merge_sort_block_merge_implIS3_NS6_6detail15normal_iteratorINS6_10device_ptrIjEEEENSD_INSE_IS9_EEEEjNS1_19radix_merge_compareILb0ELb1EjNS0_19identity_decomposerEEEEE10hipError_tT0_T1_T2_jT3_P12ihipStream_tbPNSt15iterator_traitsISN_E10value_typeEPNST_ISO_E10value_typeEPSP_NS1_7vsmem_tEENKUlT_SN_SO_SP_E_clISG_PjSI_PS9_EESM_S12_SN_SO_SP_EUlS12_E_NS1_11comp_targetILNS1_3genE4ELNS1_11target_archE910ELNS1_3gpuE8ELNS1_3repE0EEENS1_48merge_mergepath_partition_config_static_selectorELNS0_4arch9wavefront6targetE0EEEvSO_,@function
_ZN7rocprim17ROCPRIM_400000_NS6detail17trampoline_kernelINS0_14default_configENS1_38merge_sort_block_merge_config_selectorIjN6thrust23THRUST_200600_302600_NS5tupleIffNS6_9null_typeES8_S8_S8_S8_S8_S8_S8_EEEEZZNS1_27merge_sort_block_merge_implIS3_NS6_6detail15normal_iteratorINS6_10device_ptrIjEEEENSD_INSE_IS9_EEEEjNS1_19radix_merge_compareILb0ELb1EjNS0_19identity_decomposerEEEEE10hipError_tT0_T1_T2_jT3_P12ihipStream_tbPNSt15iterator_traitsISN_E10value_typeEPNST_ISO_E10value_typeEPSP_NS1_7vsmem_tEENKUlT_SN_SO_SP_E_clISG_PjSI_PS9_EESM_S12_SN_SO_SP_EUlS12_E_NS1_11comp_targetILNS1_3genE4ELNS1_11target_archE910ELNS1_3gpuE8ELNS1_3repE0EEENS1_48merge_mergepath_partition_config_static_selectorELNS0_4arch9wavefront6targetE0EEEvSO_: ; @_ZN7rocprim17ROCPRIM_400000_NS6detail17trampoline_kernelINS0_14default_configENS1_38merge_sort_block_merge_config_selectorIjN6thrust23THRUST_200600_302600_NS5tupleIffNS6_9null_typeES8_S8_S8_S8_S8_S8_S8_EEEEZZNS1_27merge_sort_block_merge_implIS3_NS6_6detail15normal_iteratorINS6_10device_ptrIjEEEENSD_INSE_IS9_EEEEjNS1_19radix_merge_compareILb0ELb1EjNS0_19identity_decomposerEEEEE10hipError_tT0_T1_T2_jT3_P12ihipStream_tbPNSt15iterator_traitsISN_E10value_typeEPNST_ISO_E10value_typeEPSP_NS1_7vsmem_tEENKUlT_SN_SO_SP_E_clISG_PjSI_PS9_EESM_S12_SN_SO_SP_EUlS12_E_NS1_11comp_targetILNS1_3genE4ELNS1_11target_archE910ELNS1_3gpuE8ELNS1_3repE0EEENS1_48merge_mergepath_partition_config_static_selectorELNS0_4arch9wavefront6targetE0EEEvSO_
; %bb.0:
	.section	.rodata,"a",@progbits
	.p2align	6, 0x0
	.amdhsa_kernel _ZN7rocprim17ROCPRIM_400000_NS6detail17trampoline_kernelINS0_14default_configENS1_38merge_sort_block_merge_config_selectorIjN6thrust23THRUST_200600_302600_NS5tupleIffNS6_9null_typeES8_S8_S8_S8_S8_S8_S8_EEEEZZNS1_27merge_sort_block_merge_implIS3_NS6_6detail15normal_iteratorINS6_10device_ptrIjEEEENSD_INSE_IS9_EEEEjNS1_19radix_merge_compareILb0ELb1EjNS0_19identity_decomposerEEEEE10hipError_tT0_T1_T2_jT3_P12ihipStream_tbPNSt15iterator_traitsISN_E10value_typeEPNST_ISO_E10value_typeEPSP_NS1_7vsmem_tEENKUlT_SN_SO_SP_E_clISG_PjSI_PS9_EESM_S12_SN_SO_SP_EUlS12_E_NS1_11comp_targetILNS1_3genE4ELNS1_11target_archE910ELNS1_3gpuE8ELNS1_3repE0EEENS1_48merge_mergepath_partition_config_static_selectorELNS0_4arch9wavefront6targetE0EEEvSO_
		.amdhsa_group_segment_fixed_size 0
		.amdhsa_private_segment_fixed_size 0
		.amdhsa_kernarg_size 40
		.amdhsa_user_sgpr_count 6
		.amdhsa_user_sgpr_private_segment_buffer 1
		.amdhsa_user_sgpr_dispatch_ptr 0
		.amdhsa_user_sgpr_queue_ptr 0
		.amdhsa_user_sgpr_kernarg_segment_ptr 1
		.amdhsa_user_sgpr_dispatch_id 0
		.amdhsa_user_sgpr_flat_scratch_init 0
		.amdhsa_user_sgpr_private_segment_size 0
		.amdhsa_wavefront_size32 1
		.amdhsa_uses_dynamic_stack 0
		.amdhsa_system_sgpr_private_segment_wavefront_offset 0
		.amdhsa_system_sgpr_workgroup_id_x 1
		.amdhsa_system_sgpr_workgroup_id_y 0
		.amdhsa_system_sgpr_workgroup_id_z 0
		.amdhsa_system_sgpr_workgroup_info 0
		.amdhsa_system_vgpr_workitem_id 0
		.amdhsa_next_free_vgpr 1
		.amdhsa_next_free_sgpr 1
		.amdhsa_reserve_vcc 0
		.amdhsa_reserve_flat_scratch 0
		.amdhsa_float_round_mode_32 0
		.amdhsa_float_round_mode_16_64 0
		.amdhsa_float_denorm_mode_32 3
		.amdhsa_float_denorm_mode_16_64 3
		.amdhsa_dx10_clamp 1
		.amdhsa_ieee_mode 1
		.amdhsa_fp16_overflow 0
		.amdhsa_workgroup_processor_mode 1
		.amdhsa_memory_ordered 1
		.amdhsa_forward_progress 1
		.amdhsa_shared_vgpr_count 0
		.amdhsa_exception_fp_ieee_invalid_op 0
		.amdhsa_exception_fp_denorm_src 0
		.amdhsa_exception_fp_ieee_div_zero 0
		.amdhsa_exception_fp_ieee_overflow 0
		.amdhsa_exception_fp_ieee_underflow 0
		.amdhsa_exception_fp_ieee_inexact 0
		.amdhsa_exception_int_div_zero 0
	.end_amdhsa_kernel
	.section	.text._ZN7rocprim17ROCPRIM_400000_NS6detail17trampoline_kernelINS0_14default_configENS1_38merge_sort_block_merge_config_selectorIjN6thrust23THRUST_200600_302600_NS5tupleIffNS6_9null_typeES8_S8_S8_S8_S8_S8_S8_EEEEZZNS1_27merge_sort_block_merge_implIS3_NS6_6detail15normal_iteratorINS6_10device_ptrIjEEEENSD_INSE_IS9_EEEEjNS1_19radix_merge_compareILb0ELb1EjNS0_19identity_decomposerEEEEE10hipError_tT0_T1_T2_jT3_P12ihipStream_tbPNSt15iterator_traitsISN_E10value_typeEPNST_ISO_E10value_typeEPSP_NS1_7vsmem_tEENKUlT_SN_SO_SP_E_clISG_PjSI_PS9_EESM_S12_SN_SO_SP_EUlS12_E_NS1_11comp_targetILNS1_3genE4ELNS1_11target_archE910ELNS1_3gpuE8ELNS1_3repE0EEENS1_48merge_mergepath_partition_config_static_selectorELNS0_4arch9wavefront6targetE0EEEvSO_,"axG",@progbits,_ZN7rocprim17ROCPRIM_400000_NS6detail17trampoline_kernelINS0_14default_configENS1_38merge_sort_block_merge_config_selectorIjN6thrust23THRUST_200600_302600_NS5tupleIffNS6_9null_typeES8_S8_S8_S8_S8_S8_S8_EEEEZZNS1_27merge_sort_block_merge_implIS3_NS6_6detail15normal_iteratorINS6_10device_ptrIjEEEENSD_INSE_IS9_EEEEjNS1_19radix_merge_compareILb0ELb1EjNS0_19identity_decomposerEEEEE10hipError_tT0_T1_T2_jT3_P12ihipStream_tbPNSt15iterator_traitsISN_E10value_typeEPNST_ISO_E10value_typeEPSP_NS1_7vsmem_tEENKUlT_SN_SO_SP_E_clISG_PjSI_PS9_EESM_S12_SN_SO_SP_EUlS12_E_NS1_11comp_targetILNS1_3genE4ELNS1_11target_archE910ELNS1_3gpuE8ELNS1_3repE0EEENS1_48merge_mergepath_partition_config_static_selectorELNS0_4arch9wavefront6targetE0EEEvSO_,comdat
.Lfunc_end118:
	.size	_ZN7rocprim17ROCPRIM_400000_NS6detail17trampoline_kernelINS0_14default_configENS1_38merge_sort_block_merge_config_selectorIjN6thrust23THRUST_200600_302600_NS5tupleIffNS6_9null_typeES8_S8_S8_S8_S8_S8_S8_EEEEZZNS1_27merge_sort_block_merge_implIS3_NS6_6detail15normal_iteratorINS6_10device_ptrIjEEEENSD_INSE_IS9_EEEEjNS1_19radix_merge_compareILb0ELb1EjNS0_19identity_decomposerEEEEE10hipError_tT0_T1_T2_jT3_P12ihipStream_tbPNSt15iterator_traitsISN_E10value_typeEPNST_ISO_E10value_typeEPSP_NS1_7vsmem_tEENKUlT_SN_SO_SP_E_clISG_PjSI_PS9_EESM_S12_SN_SO_SP_EUlS12_E_NS1_11comp_targetILNS1_3genE4ELNS1_11target_archE910ELNS1_3gpuE8ELNS1_3repE0EEENS1_48merge_mergepath_partition_config_static_selectorELNS0_4arch9wavefront6targetE0EEEvSO_, .Lfunc_end118-_ZN7rocprim17ROCPRIM_400000_NS6detail17trampoline_kernelINS0_14default_configENS1_38merge_sort_block_merge_config_selectorIjN6thrust23THRUST_200600_302600_NS5tupleIffNS6_9null_typeES8_S8_S8_S8_S8_S8_S8_EEEEZZNS1_27merge_sort_block_merge_implIS3_NS6_6detail15normal_iteratorINS6_10device_ptrIjEEEENSD_INSE_IS9_EEEEjNS1_19radix_merge_compareILb0ELb1EjNS0_19identity_decomposerEEEEE10hipError_tT0_T1_T2_jT3_P12ihipStream_tbPNSt15iterator_traitsISN_E10value_typeEPNST_ISO_E10value_typeEPSP_NS1_7vsmem_tEENKUlT_SN_SO_SP_E_clISG_PjSI_PS9_EESM_S12_SN_SO_SP_EUlS12_E_NS1_11comp_targetILNS1_3genE4ELNS1_11target_archE910ELNS1_3gpuE8ELNS1_3repE0EEENS1_48merge_mergepath_partition_config_static_selectorELNS0_4arch9wavefront6targetE0EEEvSO_
                                        ; -- End function
	.set _ZN7rocprim17ROCPRIM_400000_NS6detail17trampoline_kernelINS0_14default_configENS1_38merge_sort_block_merge_config_selectorIjN6thrust23THRUST_200600_302600_NS5tupleIffNS6_9null_typeES8_S8_S8_S8_S8_S8_S8_EEEEZZNS1_27merge_sort_block_merge_implIS3_NS6_6detail15normal_iteratorINS6_10device_ptrIjEEEENSD_INSE_IS9_EEEEjNS1_19radix_merge_compareILb0ELb1EjNS0_19identity_decomposerEEEEE10hipError_tT0_T1_T2_jT3_P12ihipStream_tbPNSt15iterator_traitsISN_E10value_typeEPNST_ISO_E10value_typeEPSP_NS1_7vsmem_tEENKUlT_SN_SO_SP_E_clISG_PjSI_PS9_EESM_S12_SN_SO_SP_EUlS12_E_NS1_11comp_targetILNS1_3genE4ELNS1_11target_archE910ELNS1_3gpuE8ELNS1_3repE0EEENS1_48merge_mergepath_partition_config_static_selectorELNS0_4arch9wavefront6targetE0EEEvSO_.num_vgpr, 0
	.set _ZN7rocprim17ROCPRIM_400000_NS6detail17trampoline_kernelINS0_14default_configENS1_38merge_sort_block_merge_config_selectorIjN6thrust23THRUST_200600_302600_NS5tupleIffNS6_9null_typeES8_S8_S8_S8_S8_S8_S8_EEEEZZNS1_27merge_sort_block_merge_implIS3_NS6_6detail15normal_iteratorINS6_10device_ptrIjEEEENSD_INSE_IS9_EEEEjNS1_19radix_merge_compareILb0ELb1EjNS0_19identity_decomposerEEEEE10hipError_tT0_T1_T2_jT3_P12ihipStream_tbPNSt15iterator_traitsISN_E10value_typeEPNST_ISO_E10value_typeEPSP_NS1_7vsmem_tEENKUlT_SN_SO_SP_E_clISG_PjSI_PS9_EESM_S12_SN_SO_SP_EUlS12_E_NS1_11comp_targetILNS1_3genE4ELNS1_11target_archE910ELNS1_3gpuE8ELNS1_3repE0EEENS1_48merge_mergepath_partition_config_static_selectorELNS0_4arch9wavefront6targetE0EEEvSO_.num_agpr, 0
	.set _ZN7rocprim17ROCPRIM_400000_NS6detail17trampoline_kernelINS0_14default_configENS1_38merge_sort_block_merge_config_selectorIjN6thrust23THRUST_200600_302600_NS5tupleIffNS6_9null_typeES8_S8_S8_S8_S8_S8_S8_EEEEZZNS1_27merge_sort_block_merge_implIS3_NS6_6detail15normal_iteratorINS6_10device_ptrIjEEEENSD_INSE_IS9_EEEEjNS1_19radix_merge_compareILb0ELb1EjNS0_19identity_decomposerEEEEE10hipError_tT0_T1_T2_jT3_P12ihipStream_tbPNSt15iterator_traitsISN_E10value_typeEPNST_ISO_E10value_typeEPSP_NS1_7vsmem_tEENKUlT_SN_SO_SP_E_clISG_PjSI_PS9_EESM_S12_SN_SO_SP_EUlS12_E_NS1_11comp_targetILNS1_3genE4ELNS1_11target_archE910ELNS1_3gpuE8ELNS1_3repE0EEENS1_48merge_mergepath_partition_config_static_selectorELNS0_4arch9wavefront6targetE0EEEvSO_.numbered_sgpr, 0
	.set _ZN7rocprim17ROCPRIM_400000_NS6detail17trampoline_kernelINS0_14default_configENS1_38merge_sort_block_merge_config_selectorIjN6thrust23THRUST_200600_302600_NS5tupleIffNS6_9null_typeES8_S8_S8_S8_S8_S8_S8_EEEEZZNS1_27merge_sort_block_merge_implIS3_NS6_6detail15normal_iteratorINS6_10device_ptrIjEEEENSD_INSE_IS9_EEEEjNS1_19radix_merge_compareILb0ELb1EjNS0_19identity_decomposerEEEEE10hipError_tT0_T1_T2_jT3_P12ihipStream_tbPNSt15iterator_traitsISN_E10value_typeEPNST_ISO_E10value_typeEPSP_NS1_7vsmem_tEENKUlT_SN_SO_SP_E_clISG_PjSI_PS9_EESM_S12_SN_SO_SP_EUlS12_E_NS1_11comp_targetILNS1_3genE4ELNS1_11target_archE910ELNS1_3gpuE8ELNS1_3repE0EEENS1_48merge_mergepath_partition_config_static_selectorELNS0_4arch9wavefront6targetE0EEEvSO_.num_named_barrier, 0
	.set _ZN7rocprim17ROCPRIM_400000_NS6detail17trampoline_kernelINS0_14default_configENS1_38merge_sort_block_merge_config_selectorIjN6thrust23THRUST_200600_302600_NS5tupleIffNS6_9null_typeES8_S8_S8_S8_S8_S8_S8_EEEEZZNS1_27merge_sort_block_merge_implIS3_NS6_6detail15normal_iteratorINS6_10device_ptrIjEEEENSD_INSE_IS9_EEEEjNS1_19radix_merge_compareILb0ELb1EjNS0_19identity_decomposerEEEEE10hipError_tT0_T1_T2_jT3_P12ihipStream_tbPNSt15iterator_traitsISN_E10value_typeEPNST_ISO_E10value_typeEPSP_NS1_7vsmem_tEENKUlT_SN_SO_SP_E_clISG_PjSI_PS9_EESM_S12_SN_SO_SP_EUlS12_E_NS1_11comp_targetILNS1_3genE4ELNS1_11target_archE910ELNS1_3gpuE8ELNS1_3repE0EEENS1_48merge_mergepath_partition_config_static_selectorELNS0_4arch9wavefront6targetE0EEEvSO_.private_seg_size, 0
	.set _ZN7rocprim17ROCPRIM_400000_NS6detail17trampoline_kernelINS0_14default_configENS1_38merge_sort_block_merge_config_selectorIjN6thrust23THRUST_200600_302600_NS5tupleIffNS6_9null_typeES8_S8_S8_S8_S8_S8_S8_EEEEZZNS1_27merge_sort_block_merge_implIS3_NS6_6detail15normal_iteratorINS6_10device_ptrIjEEEENSD_INSE_IS9_EEEEjNS1_19radix_merge_compareILb0ELb1EjNS0_19identity_decomposerEEEEE10hipError_tT0_T1_T2_jT3_P12ihipStream_tbPNSt15iterator_traitsISN_E10value_typeEPNST_ISO_E10value_typeEPSP_NS1_7vsmem_tEENKUlT_SN_SO_SP_E_clISG_PjSI_PS9_EESM_S12_SN_SO_SP_EUlS12_E_NS1_11comp_targetILNS1_3genE4ELNS1_11target_archE910ELNS1_3gpuE8ELNS1_3repE0EEENS1_48merge_mergepath_partition_config_static_selectorELNS0_4arch9wavefront6targetE0EEEvSO_.uses_vcc, 0
	.set _ZN7rocprim17ROCPRIM_400000_NS6detail17trampoline_kernelINS0_14default_configENS1_38merge_sort_block_merge_config_selectorIjN6thrust23THRUST_200600_302600_NS5tupleIffNS6_9null_typeES8_S8_S8_S8_S8_S8_S8_EEEEZZNS1_27merge_sort_block_merge_implIS3_NS6_6detail15normal_iteratorINS6_10device_ptrIjEEEENSD_INSE_IS9_EEEEjNS1_19radix_merge_compareILb0ELb1EjNS0_19identity_decomposerEEEEE10hipError_tT0_T1_T2_jT3_P12ihipStream_tbPNSt15iterator_traitsISN_E10value_typeEPNST_ISO_E10value_typeEPSP_NS1_7vsmem_tEENKUlT_SN_SO_SP_E_clISG_PjSI_PS9_EESM_S12_SN_SO_SP_EUlS12_E_NS1_11comp_targetILNS1_3genE4ELNS1_11target_archE910ELNS1_3gpuE8ELNS1_3repE0EEENS1_48merge_mergepath_partition_config_static_selectorELNS0_4arch9wavefront6targetE0EEEvSO_.uses_flat_scratch, 0
	.set _ZN7rocprim17ROCPRIM_400000_NS6detail17trampoline_kernelINS0_14default_configENS1_38merge_sort_block_merge_config_selectorIjN6thrust23THRUST_200600_302600_NS5tupleIffNS6_9null_typeES8_S8_S8_S8_S8_S8_S8_EEEEZZNS1_27merge_sort_block_merge_implIS3_NS6_6detail15normal_iteratorINS6_10device_ptrIjEEEENSD_INSE_IS9_EEEEjNS1_19radix_merge_compareILb0ELb1EjNS0_19identity_decomposerEEEEE10hipError_tT0_T1_T2_jT3_P12ihipStream_tbPNSt15iterator_traitsISN_E10value_typeEPNST_ISO_E10value_typeEPSP_NS1_7vsmem_tEENKUlT_SN_SO_SP_E_clISG_PjSI_PS9_EESM_S12_SN_SO_SP_EUlS12_E_NS1_11comp_targetILNS1_3genE4ELNS1_11target_archE910ELNS1_3gpuE8ELNS1_3repE0EEENS1_48merge_mergepath_partition_config_static_selectorELNS0_4arch9wavefront6targetE0EEEvSO_.has_dyn_sized_stack, 0
	.set _ZN7rocprim17ROCPRIM_400000_NS6detail17trampoline_kernelINS0_14default_configENS1_38merge_sort_block_merge_config_selectorIjN6thrust23THRUST_200600_302600_NS5tupleIffNS6_9null_typeES8_S8_S8_S8_S8_S8_S8_EEEEZZNS1_27merge_sort_block_merge_implIS3_NS6_6detail15normal_iteratorINS6_10device_ptrIjEEEENSD_INSE_IS9_EEEEjNS1_19radix_merge_compareILb0ELb1EjNS0_19identity_decomposerEEEEE10hipError_tT0_T1_T2_jT3_P12ihipStream_tbPNSt15iterator_traitsISN_E10value_typeEPNST_ISO_E10value_typeEPSP_NS1_7vsmem_tEENKUlT_SN_SO_SP_E_clISG_PjSI_PS9_EESM_S12_SN_SO_SP_EUlS12_E_NS1_11comp_targetILNS1_3genE4ELNS1_11target_archE910ELNS1_3gpuE8ELNS1_3repE0EEENS1_48merge_mergepath_partition_config_static_selectorELNS0_4arch9wavefront6targetE0EEEvSO_.has_recursion, 0
	.set _ZN7rocprim17ROCPRIM_400000_NS6detail17trampoline_kernelINS0_14default_configENS1_38merge_sort_block_merge_config_selectorIjN6thrust23THRUST_200600_302600_NS5tupleIffNS6_9null_typeES8_S8_S8_S8_S8_S8_S8_EEEEZZNS1_27merge_sort_block_merge_implIS3_NS6_6detail15normal_iteratorINS6_10device_ptrIjEEEENSD_INSE_IS9_EEEEjNS1_19radix_merge_compareILb0ELb1EjNS0_19identity_decomposerEEEEE10hipError_tT0_T1_T2_jT3_P12ihipStream_tbPNSt15iterator_traitsISN_E10value_typeEPNST_ISO_E10value_typeEPSP_NS1_7vsmem_tEENKUlT_SN_SO_SP_E_clISG_PjSI_PS9_EESM_S12_SN_SO_SP_EUlS12_E_NS1_11comp_targetILNS1_3genE4ELNS1_11target_archE910ELNS1_3gpuE8ELNS1_3repE0EEENS1_48merge_mergepath_partition_config_static_selectorELNS0_4arch9wavefront6targetE0EEEvSO_.has_indirect_call, 0
	.section	.AMDGPU.csdata,"",@progbits
; Kernel info:
; codeLenInByte = 0
; TotalNumSgprs: 0
; NumVgprs: 0
; ScratchSize: 0
; MemoryBound: 0
; FloatMode: 240
; IeeeMode: 1
; LDSByteSize: 0 bytes/workgroup (compile time only)
; SGPRBlocks: 0
; VGPRBlocks: 0
; NumSGPRsForWavesPerEU: 1
; NumVGPRsForWavesPerEU: 1
; Occupancy: 16
; WaveLimiterHint : 0
; COMPUTE_PGM_RSRC2:SCRATCH_EN: 0
; COMPUTE_PGM_RSRC2:USER_SGPR: 6
; COMPUTE_PGM_RSRC2:TRAP_HANDLER: 0
; COMPUTE_PGM_RSRC2:TGID_X_EN: 1
; COMPUTE_PGM_RSRC2:TGID_Y_EN: 0
; COMPUTE_PGM_RSRC2:TGID_Z_EN: 0
; COMPUTE_PGM_RSRC2:TIDIG_COMP_CNT: 0
	.section	.text._ZN7rocprim17ROCPRIM_400000_NS6detail17trampoline_kernelINS0_14default_configENS1_38merge_sort_block_merge_config_selectorIjN6thrust23THRUST_200600_302600_NS5tupleIffNS6_9null_typeES8_S8_S8_S8_S8_S8_S8_EEEEZZNS1_27merge_sort_block_merge_implIS3_NS6_6detail15normal_iteratorINS6_10device_ptrIjEEEENSD_INSE_IS9_EEEEjNS1_19radix_merge_compareILb0ELb1EjNS0_19identity_decomposerEEEEE10hipError_tT0_T1_T2_jT3_P12ihipStream_tbPNSt15iterator_traitsISN_E10value_typeEPNST_ISO_E10value_typeEPSP_NS1_7vsmem_tEENKUlT_SN_SO_SP_E_clISG_PjSI_PS9_EESM_S12_SN_SO_SP_EUlS12_E_NS1_11comp_targetILNS1_3genE3ELNS1_11target_archE908ELNS1_3gpuE7ELNS1_3repE0EEENS1_48merge_mergepath_partition_config_static_selectorELNS0_4arch9wavefront6targetE0EEEvSO_,"axG",@progbits,_ZN7rocprim17ROCPRIM_400000_NS6detail17trampoline_kernelINS0_14default_configENS1_38merge_sort_block_merge_config_selectorIjN6thrust23THRUST_200600_302600_NS5tupleIffNS6_9null_typeES8_S8_S8_S8_S8_S8_S8_EEEEZZNS1_27merge_sort_block_merge_implIS3_NS6_6detail15normal_iteratorINS6_10device_ptrIjEEEENSD_INSE_IS9_EEEEjNS1_19radix_merge_compareILb0ELb1EjNS0_19identity_decomposerEEEEE10hipError_tT0_T1_T2_jT3_P12ihipStream_tbPNSt15iterator_traitsISN_E10value_typeEPNST_ISO_E10value_typeEPSP_NS1_7vsmem_tEENKUlT_SN_SO_SP_E_clISG_PjSI_PS9_EESM_S12_SN_SO_SP_EUlS12_E_NS1_11comp_targetILNS1_3genE3ELNS1_11target_archE908ELNS1_3gpuE7ELNS1_3repE0EEENS1_48merge_mergepath_partition_config_static_selectorELNS0_4arch9wavefront6targetE0EEEvSO_,comdat
	.protected	_ZN7rocprim17ROCPRIM_400000_NS6detail17trampoline_kernelINS0_14default_configENS1_38merge_sort_block_merge_config_selectorIjN6thrust23THRUST_200600_302600_NS5tupleIffNS6_9null_typeES8_S8_S8_S8_S8_S8_S8_EEEEZZNS1_27merge_sort_block_merge_implIS3_NS6_6detail15normal_iteratorINS6_10device_ptrIjEEEENSD_INSE_IS9_EEEEjNS1_19radix_merge_compareILb0ELb1EjNS0_19identity_decomposerEEEEE10hipError_tT0_T1_T2_jT3_P12ihipStream_tbPNSt15iterator_traitsISN_E10value_typeEPNST_ISO_E10value_typeEPSP_NS1_7vsmem_tEENKUlT_SN_SO_SP_E_clISG_PjSI_PS9_EESM_S12_SN_SO_SP_EUlS12_E_NS1_11comp_targetILNS1_3genE3ELNS1_11target_archE908ELNS1_3gpuE7ELNS1_3repE0EEENS1_48merge_mergepath_partition_config_static_selectorELNS0_4arch9wavefront6targetE0EEEvSO_ ; -- Begin function _ZN7rocprim17ROCPRIM_400000_NS6detail17trampoline_kernelINS0_14default_configENS1_38merge_sort_block_merge_config_selectorIjN6thrust23THRUST_200600_302600_NS5tupleIffNS6_9null_typeES8_S8_S8_S8_S8_S8_S8_EEEEZZNS1_27merge_sort_block_merge_implIS3_NS6_6detail15normal_iteratorINS6_10device_ptrIjEEEENSD_INSE_IS9_EEEEjNS1_19radix_merge_compareILb0ELb1EjNS0_19identity_decomposerEEEEE10hipError_tT0_T1_T2_jT3_P12ihipStream_tbPNSt15iterator_traitsISN_E10value_typeEPNST_ISO_E10value_typeEPSP_NS1_7vsmem_tEENKUlT_SN_SO_SP_E_clISG_PjSI_PS9_EESM_S12_SN_SO_SP_EUlS12_E_NS1_11comp_targetILNS1_3genE3ELNS1_11target_archE908ELNS1_3gpuE7ELNS1_3repE0EEENS1_48merge_mergepath_partition_config_static_selectorELNS0_4arch9wavefront6targetE0EEEvSO_
	.globl	_ZN7rocprim17ROCPRIM_400000_NS6detail17trampoline_kernelINS0_14default_configENS1_38merge_sort_block_merge_config_selectorIjN6thrust23THRUST_200600_302600_NS5tupleIffNS6_9null_typeES8_S8_S8_S8_S8_S8_S8_EEEEZZNS1_27merge_sort_block_merge_implIS3_NS6_6detail15normal_iteratorINS6_10device_ptrIjEEEENSD_INSE_IS9_EEEEjNS1_19radix_merge_compareILb0ELb1EjNS0_19identity_decomposerEEEEE10hipError_tT0_T1_T2_jT3_P12ihipStream_tbPNSt15iterator_traitsISN_E10value_typeEPNST_ISO_E10value_typeEPSP_NS1_7vsmem_tEENKUlT_SN_SO_SP_E_clISG_PjSI_PS9_EESM_S12_SN_SO_SP_EUlS12_E_NS1_11comp_targetILNS1_3genE3ELNS1_11target_archE908ELNS1_3gpuE7ELNS1_3repE0EEENS1_48merge_mergepath_partition_config_static_selectorELNS0_4arch9wavefront6targetE0EEEvSO_
	.p2align	8
	.type	_ZN7rocprim17ROCPRIM_400000_NS6detail17trampoline_kernelINS0_14default_configENS1_38merge_sort_block_merge_config_selectorIjN6thrust23THRUST_200600_302600_NS5tupleIffNS6_9null_typeES8_S8_S8_S8_S8_S8_S8_EEEEZZNS1_27merge_sort_block_merge_implIS3_NS6_6detail15normal_iteratorINS6_10device_ptrIjEEEENSD_INSE_IS9_EEEEjNS1_19radix_merge_compareILb0ELb1EjNS0_19identity_decomposerEEEEE10hipError_tT0_T1_T2_jT3_P12ihipStream_tbPNSt15iterator_traitsISN_E10value_typeEPNST_ISO_E10value_typeEPSP_NS1_7vsmem_tEENKUlT_SN_SO_SP_E_clISG_PjSI_PS9_EESM_S12_SN_SO_SP_EUlS12_E_NS1_11comp_targetILNS1_3genE3ELNS1_11target_archE908ELNS1_3gpuE7ELNS1_3repE0EEENS1_48merge_mergepath_partition_config_static_selectorELNS0_4arch9wavefront6targetE0EEEvSO_,@function
_ZN7rocprim17ROCPRIM_400000_NS6detail17trampoline_kernelINS0_14default_configENS1_38merge_sort_block_merge_config_selectorIjN6thrust23THRUST_200600_302600_NS5tupleIffNS6_9null_typeES8_S8_S8_S8_S8_S8_S8_EEEEZZNS1_27merge_sort_block_merge_implIS3_NS6_6detail15normal_iteratorINS6_10device_ptrIjEEEENSD_INSE_IS9_EEEEjNS1_19radix_merge_compareILb0ELb1EjNS0_19identity_decomposerEEEEE10hipError_tT0_T1_T2_jT3_P12ihipStream_tbPNSt15iterator_traitsISN_E10value_typeEPNST_ISO_E10value_typeEPSP_NS1_7vsmem_tEENKUlT_SN_SO_SP_E_clISG_PjSI_PS9_EESM_S12_SN_SO_SP_EUlS12_E_NS1_11comp_targetILNS1_3genE3ELNS1_11target_archE908ELNS1_3gpuE7ELNS1_3repE0EEENS1_48merge_mergepath_partition_config_static_selectorELNS0_4arch9wavefront6targetE0EEEvSO_: ; @_ZN7rocprim17ROCPRIM_400000_NS6detail17trampoline_kernelINS0_14default_configENS1_38merge_sort_block_merge_config_selectorIjN6thrust23THRUST_200600_302600_NS5tupleIffNS6_9null_typeES8_S8_S8_S8_S8_S8_S8_EEEEZZNS1_27merge_sort_block_merge_implIS3_NS6_6detail15normal_iteratorINS6_10device_ptrIjEEEENSD_INSE_IS9_EEEEjNS1_19radix_merge_compareILb0ELb1EjNS0_19identity_decomposerEEEEE10hipError_tT0_T1_T2_jT3_P12ihipStream_tbPNSt15iterator_traitsISN_E10value_typeEPNST_ISO_E10value_typeEPSP_NS1_7vsmem_tEENKUlT_SN_SO_SP_E_clISG_PjSI_PS9_EESM_S12_SN_SO_SP_EUlS12_E_NS1_11comp_targetILNS1_3genE3ELNS1_11target_archE908ELNS1_3gpuE7ELNS1_3repE0EEENS1_48merge_mergepath_partition_config_static_selectorELNS0_4arch9wavefront6targetE0EEEvSO_
; %bb.0:
	.section	.rodata,"a",@progbits
	.p2align	6, 0x0
	.amdhsa_kernel _ZN7rocprim17ROCPRIM_400000_NS6detail17trampoline_kernelINS0_14default_configENS1_38merge_sort_block_merge_config_selectorIjN6thrust23THRUST_200600_302600_NS5tupleIffNS6_9null_typeES8_S8_S8_S8_S8_S8_S8_EEEEZZNS1_27merge_sort_block_merge_implIS3_NS6_6detail15normal_iteratorINS6_10device_ptrIjEEEENSD_INSE_IS9_EEEEjNS1_19radix_merge_compareILb0ELb1EjNS0_19identity_decomposerEEEEE10hipError_tT0_T1_T2_jT3_P12ihipStream_tbPNSt15iterator_traitsISN_E10value_typeEPNST_ISO_E10value_typeEPSP_NS1_7vsmem_tEENKUlT_SN_SO_SP_E_clISG_PjSI_PS9_EESM_S12_SN_SO_SP_EUlS12_E_NS1_11comp_targetILNS1_3genE3ELNS1_11target_archE908ELNS1_3gpuE7ELNS1_3repE0EEENS1_48merge_mergepath_partition_config_static_selectorELNS0_4arch9wavefront6targetE0EEEvSO_
		.amdhsa_group_segment_fixed_size 0
		.amdhsa_private_segment_fixed_size 0
		.amdhsa_kernarg_size 40
		.amdhsa_user_sgpr_count 6
		.amdhsa_user_sgpr_private_segment_buffer 1
		.amdhsa_user_sgpr_dispatch_ptr 0
		.amdhsa_user_sgpr_queue_ptr 0
		.amdhsa_user_sgpr_kernarg_segment_ptr 1
		.amdhsa_user_sgpr_dispatch_id 0
		.amdhsa_user_sgpr_flat_scratch_init 0
		.amdhsa_user_sgpr_private_segment_size 0
		.amdhsa_wavefront_size32 1
		.amdhsa_uses_dynamic_stack 0
		.amdhsa_system_sgpr_private_segment_wavefront_offset 0
		.amdhsa_system_sgpr_workgroup_id_x 1
		.amdhsa_system_sgpr_workgroup_id_y 0
		.amdhsa_system_sgpr_workgroup_id_z 0
		.amdhsa_system_sgpr_workgroup_info 0
		.amdhsa_system_vgpr_workitem_id 0
		.amdhsa_next_free_vgpr 1
		.amdhsa_next_free_sgpr 1
		.amdhsa_reserve_vcc 0
		.amdhsa_reserve_flat_scratch 0
		.amdhsa_float_round_mode_32 0
		.amdhsa_float_round_mode_16_64 0
		.amdhsa_float_denorm_mode_32 3
		.amdhsa_float_denorm_mode_16_64 3
		.amdhsa_dx10_clamp 1
		.amdhsa_ieee_mode 1
		.amdhsa_fp16_overflow 0
		.amdhsa_workgroup_processor_mode 1
		.amdhsa_memory_ordered 1
		.amdhsa_forward_progress 1
		.amdhsa_shared_vgpr_count 0
		.amdhsa_exception_fp_ieee_invalid_op 0
		.amdhsa_exception_fp_denorm_src 0
		.amdhsa_exception_fp_ieee_div_zero 0
		.amdhsa_exception_fp_ieee_overflow 0
		.amdhsa_exception_fp_ieee_underflow 0
		.amdhsa_exception_fp_ieee_inexact 0
		.amdhsa_exception_int_div_zero 0
	.end_amdhsa_kernel
	.section	.text._ZN7rocprim17ROCPRIM_400000_NS6detail17trampoline_kernelINS0_14default_configENS1_38merge_sort_block_merge_config_selectorIjN6thrust23THRUST_200600_302600_NS5tupleIffNS6_9null_typeES8_S8_S8_S8_S8_S8_S8_EEEEZZNS1_27merge_sort_block_merge_implIS3_NS6_6detail15normal_iteratorINS6_10device_ptrIjEEEENSD_INSE_IS9_EEEEjNS1_19radix_merge_compareILb0ELb1EjNS0_19identity_decomposerEEEEE10hipError_tT0_T1_T2_jT3_P12ihipStream_tbPNSt15iterator_traitsISN_E10value_typeEPNST_ISO_E10value_typeEPSP_NS1_7vsmem_tEENKUlT_SN_SO_SP_E_clISG_PjSI_PS9_EESM_S12_SN_SO_SP_EUlS12_E_NS1_11comp_targetILNS1_3genE3ELNS1_11target_archE908ELNS1_3gpuE7ELNS1_3repE0EEENS1_48merge_mergepath_partition_config_static_selectorELNS0_4arch9wavefront6targetE0EEEvSO_,"axG",@progbits,_ZN7rocprim17ROCPRIM_400000_NS6detail17trampoline_kernelINS0_14default_configENS1_38merge_sort_block_merge_config_selectorIjN6thrust23THRUST_200600_302600_NS5tupleIffNS6_9null_typeES8_S8_S8_S8_S8_S8_S8_EEEEZZNS1_27merge_sort_block_merge_implIS3_NS6_6detail15normal_iteratorINS6_10device_ptrIjEEEENSD_INSE_IS9_EEEEjNS1_19radix_merge_compareILb0ELb1EjNS0_19identity_decomposerEEEEE10hipError_tT0_T1_T2_jT3_P12ihipStream_tbPNSt15iterator_traitsISN_E10value_typeEPNST_ISO_E10value_typeEPSP_NS1_7vsmem_tEENKUlT_SN_SO_SP_E_clISG_PjSI_PS9_EESM_S12_SN_SO_SP_EUlS12_E_NS1_11comp_targetILNS1_3genE3ELNS1_11target_archE908ELNS1_3gpuE7ELNS1_3repE0EEENS1_48merge_mergepath_partition_config_static_selectorELNS0_4arch9wavefront6targetE0EEEvSO_,comdat
.Lfunc_end119:
	.size	_ZN7rocprim17ROCPRIM_400000_NS6detail17trampoline_kernelINS0_14default_configENS1_38merge_sort_block_merge_config_selectorIjN6thrust23THRUST_200600_302600_NS5tupleIffNS6_9null_typeES8_S8_S8_S8_S8_S8_S8_EEEEZZNS1_27merge_sort_block_merge_implIS3_NS6_6detail15normal_iteratorINS6_10device_ptrIjEEEENSD_INSE_IS9_EEEEjNS1_19radix_merge_compareILb0ELb1EjNS0_19identity_decomposerEEEEE10hipError_tT0_T1_T2_jT3_P12ihipStream_tbPNSt15iterator_traitsISN_E10value_typeEPNST_ISO_E10value_typeEPSP_NS1_7vsmem_tEENKUlT_SN_SO_SP_E_clISG_PjSI_PS9_EESM_S12_SN_SO_SP_EUlS12_E_NS1_11comp_targetILNS1_3genE3ELNS1_11target_archE908ELNS1_3gpuE7ELNS1_3repE0EEENS1_48merge_mergepath_partition_config_static_selectorELNS0_4arch9wavefront6targetE0EEEvSO_, .Lfunc_end119-_ZN7rocprim17ROCPRIM_400000_NS6detail17trampoline_kernelINS0_14default_configENS1_38merge_sort_block_merge_config_selectorIjN6thrust23THRUST_200600_302600_NS5tupleIffNS6_9null_typeES8_S8_S8_S8_S8_S8_S8_EEEEZZNS1_27merge_sort_block_merge_implIS3_NS6_6detail15normal_iteratorINS6_10device_ptrIjEEEENSD_INSE_IS9_EEEEjNS1_19radix_merge_compareILb0ELb1EjNS0_19identity_decomposerEEEEE10hipError_tT0_T1_T2_jT3_P12ihipStream_tbPNSt15iterator_traitsISN_E10value_typeEPNST_ISO_E10value_typeEPSP_NS1_7vsmem_tEENKUlT_SN_SO_SP_E_clISG_PjSI_PS9_EESM_S12_SN_SO_SP_EUlS12_E_NS1_11comp_targetILNS1_3genE3ELNS1_11target_archE908ELNS1_3gpuE7ELNS1_3repE0EEENS1_48merge_mergepath_partition_config_static_selectorELNS0_4arch9wavefront6targetE0EEEvSO_
                                        ; -- End function
	.set _ZN7rocprim17ROCPRIM_400000_NS6detail17trampoline_kernelINS0_14default_configENS1_38merge_sort_block_merge_config_selectorIjN6thrust23THRUST_200600_302600_NS5tupleIffNS6_9null_typeES8_S8_S8_S8_S8_S8_S8_EEEEZZNS1_27merge_sort_block_merge_implIS3_NS6_6detail15normal_iteratorINS6_10device_ptrIjEEEENSD_INSE_IS9_EEEEjNS1_19radix_merge_compareILb0ELb1EjNS0_19identity_decomposerEEEEE10hipError_tT0_T1_T2_jT3_P12ihipStream_tbPNSt15iterator_traitsISN_E10value_typeEPNST_ISO_E10value_typeEPSP_NS1_7vsmem_tEENKUlT_SN_SO_SP_E_clISG_PjSI_PS9_EESM_S12_SN_SO_SP_EUlS12_E_NS1_11comp_targetILNS1_3genE3ELNS1_11target_archE908ELNS1_3gpuE7ELNS1_3repE0EEENS1_48merge_mergepath_partition_config_static_selectorELNS0_4arch9wavefront6targetE0EEEvSO_.num_vgpr, 0
	.set _ZN7rocprim17ROCPRIM_400000_NS6detail17trampoline_kernelINS0_14default_configENS1_38merge_sort_block_merge_config_selectorIjN6thrust23THRUST_200600_302600_NS5tupleIffNS6_9null_typeES8_S8_S8_S8_S8_S8_S8_EEEEZZNS1_27merge_sort_block_merge_implIS3_NS6_6detail15normal_iteratorINS6_10device_ptrIjEEEENSD_INSE_IS9_EEEEjNS1_19radix_merge_compareILb0ELb1EjNS0_19identity_decomposerEEEEE10hipError_tT0_T1_T2_jT3_P12ihipStream_tbPNSt15iterator_traitsISN_E10value_typeEPNST_ISO_E10value_typeEPSP_NS1_7vsmem_tEENKUlT_SN_SO_SP_E_clISG_PjSI_PS9_EESM_S12_SN_SO_SP_EUlS12_E_NS1_11comp_targetILNS1_3genE3ELNS1_11target_archE908ELNS1_3gpuE7ELNS1_3repE0EEENS1_48merge_mergepath_partition_config_static_selectorELNS0_4arch9wavefront6targetE0EEEvSO_.num_agpr, 0
	.set _ZN7rocprim17ROCPRIM_400000_NS6detail17trampoline_kernelINS0_14default_configENS1_38merge_sort_block_merge_config_selectorIjN6thrust23THRUST_200600_302600_NS5tupleIffNS6_9null_typeES8_S8_S8_S8_S8_S8_S8_EEEEZZNS1_27merge_sort_block_merge_implIS3_NS6_6detail15normal_iteratorINS6_10device_ptrIjEEEENSD_INSE_IS9_EEEEjNS1_19radix_merge_compareILb0ELb1EjNS0_19identity_decomposerEEEEE10hipError_tT0_T1_T2_jT3_P12ihipStream_tbPNSt15iterator_traitsISN_E10value_typeEPNST_ISO_E10value_typeEPSP_NS1_7vsmem_tEENKUlT_SN_SO_SP_E_clISG_PjSI_PS9_EESM_S12_SN_SO_SP_EUlS12_E_NS1_11comp_targetILNS1_3genE3ELNS1_11target_archE908ELNS1_3gpuE7ELNS1_3repE0EEENS1_48merge_mergepath_partition_config_static_selectorELNS0_4arch9wavefront6targetE0EEEvSO_.numbered_sgpr, 0
	.set _ZN7rocprim17ROCPRIM_400000_NS6detail17trampoline_kernelINS0_14default_configENS1_38merge_sort_block_merge_config_selectorIjN6thrust23THRUST_200600_302600_NS5tupleIffNS6_9null_typeES8_S8_S8_S8_S8_S8_S8_EEEEZZNS1_27merge_sort_block_merge_implIS3_NS6_6detail15normal_iteratorINS6_10device_ptrIjEEEENSD_INSE_IS9_EEEEjNS1_19radix_merge_compareILb0ELb1EjNS0_19identity_decomposerEEEEE10hipError_tT0_T1_T2_jT3_P12ihipStream_tbPNSt15iterator_traitsISN_E10value_typeEPNST_ISO_E10value_typeEPSP_NS1_7vsmem_tEENKUlT_SN_SO_SP_E_clISG_PjSI_PS9_EESM_S12_SN_SO_SP_EUlS12_E_NS1_11comp_targetILNS1_3genE3ELNS1_11target_archE908ELNS1_3gpuE7ELNS1_3repE0EEENS1_48merge_mergepath_partition_config_static_selectorELNS0_4arch9wavefront6targetE0EEEvSO_.num_named_barrier, 0
	.set _ZN7rocprim17ROCPRIM_400000_NS6detail17trampoline_kernelINS0_14default_configENS1_38merge_sort_block_merge_config_selectorIjN6thrust23THRUST_200600_302600_NS5tupleIffNS6_9null_typeES8_S8_S8_S8_S8_S8_S8_EEEEZZNS1_27merge_sort_block_merge_implIS3_NS6_6detail15normal_iteratorINS6_10device_ptrIjEEEENSD_INSE_IS9_EEEEjNS1_19radix_merge_compareILb0ELb1EjNS0_19identity_decomposerEEEEE10hipError_tT0_T1_T2_jT3_P12ihipStream_tbPNSt15iterator_traitsISN_E10value_typeEPNST_ISO_E10value_typeEPSP_NS1_7vsmem_tEENKUlT_SN_SO_SP_E_clISG_PjSI_PS9_EESM_S12_SN_SO_SP_EUlS12_E_NS1_11comp_targetILNS1_3genE3ELNS1_11target_archE908ELNS1_3gpuE7ELNS1_3repE0EEENS1_48merge_mergepath_partition_config_static_selectorELNS0_4arch9wavefront6targetE0EEEvSO_.private_seg_size, 0
	.set _ZN7rocprim17ROCPRIM_400000_NS6detail17trampoline_kernelINS0_14default_configENS1_38merge_sort_block_merge_config_selectorIjN6thrust23THRUST_200600_302600_NS5tupleIffNS6_9null_typeES8_S8_S8_S8_S8_S8_S8_EEEEZZNS1_27merge_sort_block_merge_implIS3_NS6_6detail15normal_iteratorINS6_10device_ptrIjEEEENSD_INSE_IS9_EEEEjNS1_19radix_merge_compareILb0ELb1EjNS0_19identity_decomposerEEEEE10hipError_tT0_T1_T2_jT3_P12ihipStream_tbPNSt15iterator_traitsISN_E10value_typeEPNST_ISO_E10value_typeEPSP_NS1_7vsmem_tEENKUlT_SN_SO_SP_E_clISG_PjSI_PS9_EESM_S12_SN_SO_SP_EUlS12_E_NS1_11comp_targetILNS1_3genE3ELNS1_11target_archE908ELNS1_3gpuE7ELNS1_3repE0EEENS1_48merge_mergepath_partition_config_static_selectorELNS0_4arch9wavefront6targetE0EEEvSO_.uses_vcc, 0
	.set _ZN7rocprim17ROCPRIM_400000_NS6detail17trampoline_kernelINS0_14default_configENS1_38merge_sort_block_merge_config_selectorIjN6thrust23THRUST_200600_302600_NS5tupleIffNS6_9null_typeES8_S8_S8_S8_S8_S8_S8_EEEEZZNS1_27merge_sort_block_merge_implIS3_NS6_6detail15normal_iteratorINS6_10device_ptrIjEEEENSD_INSE_IS9_EEEEjNS1_19radix_merge_compareILb0ELb1EjNS0_19identity_decomposerEEEEE10hipError_tT0_T1_T2_jT3_P12ihipStream_tbPNSt15iterator_traitsISN_E10value_typeEPNST_ISO_E10value_typeEPSP_NS1_7vsmem_tEENKUlT_SN_SO_SP_E_clISG_PjSI_PS9_EESM_S12_SN_SO_SP_EUlS12_E_NS1_11comp_targetILNS1_3genE3ELNS1_11target_archE908ELNS1_3gpuE7ELNS1_3repE0EEENS1_48merge_mergepath_partition_config_static_selectorELNS0_4arch9wavefront6targetE0EEEvSO_.uses_flat_scratch, 0
	.set _ZN7rocprim17ROCPRIM_400000_NS6detail17trampoline_kernelINS0_14default_configENS1_38merge_sort_block_merge_config_selectorIjN6thrust23THRUST_200600_302600_NS5tupleIffNS6_9null_typeES8_S8_S8_S8_S8_S8_S8_EEEEZZNS1_27merge_sort_block_merge_implIS3_NS6_6detail15normal_iteratorINS6_10device_ptrIjEEEENSD_INSE_IS9_EEEEjNS1_19radix_merge_compareILb0ELb1EjNS0_19identity_decomposerEEEEE10hipError_tT0_T1_T2_jT3_P12ihipStream_tbPNSt15iterator_traitsISN_E10value_typeEPNST_ISO_E10value_typeEPSP_NS1_7vsmem_tEENKUlT_SN_SO_SP_E_clISG_PjSI_PS9_EESM_S12_SN_SO_SP_EUlS12_E_NS1_11comp_targetILNS1_3genE3ELNS1_11target_archE908ELNS1_3gpuE7ELNS1_3repE0EEENS1_48merge_mergepath_partition_config_static_selectorELNS0_4arch9wavefront6targetE0EEEvSO_.has_dyn_sized_stack, 0
	.set _ZN7rocprim17ROCPRIM_400000_NS6detail17trampoline_kernelINS0_14default_configENS1_38merge_sort_block_merge_config_selectorIjN6thrust23THRUST_200600_302600_NS5tupleIffNS6_9null_typeES8_S8_S8_S8_S8_S8_S8_EEEEZZNS1_27merge_sort_block_merge_implIS3_NS6_6detail15normal_iteratorINS6_10device_ptrIjEEEENSD_INSE_IS9_EEEEjNS1_19radix_merge_compareILb0ELb1EjNS0_19identity_decomposerEEEEE10hipError_tT0_T1_T2_jT3_P12ihipStream_tbPNSt15iterator_traitsISN_E10value_typeEPNST_ISO_E10value_typeEPSP_NS1_7vsmem_tEENKUlT_SN_SO_SP_E_clISG_PjSI_PS9_EESM_S12_SN_SO_SP_EUlS12_E_NS1_11comp_targetILNS1_3genE3ELNS1_11target_archE908ELNS1_3gpuE7ELNS1_3repE0EEENS1_48merge_mergepath_partition_config_static_selectorELNS0_4arch9wavefront6targetE0EEEvSO_.has_recursion, 0
	.set _ZN7rocprim17ROCPRIM_400000_NS6detail17trampoline_kernelINS0_14default_configENS1_38merge_sort_block_merge_config_selectorIjN6thrust23THRUST_200600_302600_NS5tupleIffNS6_9null_typeES8_S8_S8_S8_S8_S8_S8_EEEEZZNS1_27merge_sort_block_merge_implIS3_NS6_6detail15normal_iteratorINS6_10device_ptrIjEEEENSD_INSE_IS9_EEEEjNS1_19radix_merge_compareILb0ELb1EjNS0_19identity_decomposerEEEEE10hipError_tT0_T1_T2_jT3_P12ihipStream_tbPNSt15iterator_traitsISN_E10value_typeEPNST_ISO_E10value_typeEPSP_NS1_7vsmem_tEENKUlT_SN_SO_SP_E_clISG_PjSI_PS9_EESM_S12_SN_SO_SP_EUlS12_E_NS1_11comp_targetILNS1_3genE3ELNS1_11target_archE908ELNS1_3gpuE7ELNS1_3repE0EEENS1_48merge_mergepath_partition_config_static_selectorELNS0_4arch9wavefront6targetE0EEEvSO_.has_indirect_call, 0
	.section	.AMDGPU.csdata,"",@progbits
; Kernel info:
; codeLenInByte = 0
; TotalNumSgprs: 0
; NumVgprs: 0
; ScratchSize: 0
; MemoryBound: 0
; FloatMode: 240
; IeeeMode: 1
; LDSByteSize: 0 bytes/workgroup (compile time only)
; SGPRBlocks: 0
; VGPRBlocks: 0
; NumSGPRsForWavesPerEU: 1
; NumVGPRsForWavesPerEU: 1
; Occupancy: 16
; WaveLimiterHint : 0
; COMPUTE_PGM_RSRC2:SCRATCH_EN: 0
; COMPUTE_PGM_RSRC2:USER_SGPR: 6
; COMPUTE_PGM_RSRC2:TRAP_HANDLER: 0
; COMPUTE_PGM_RSRC2:TGID_X_EN: 1
; COMPUTE_PGM_RSRC2:TGID_Y_EN: 0
; COMPUTE_PGM_RSRC2:TGID_Z_EN: 0
; COMPUTE_PGM_RSRC2:TIDIG_COMP_CNT: 0
	.section	.text._ZN7rocprim17ROCPRIM_400000_NS6detail17trampoline_kernelINS0_14default_configENS1_38merge_sort_block_merge_config_selectorIjN6thrust23THRUST_200600_302600_NS5tupleIffNS6_9null_typeES8_S8_S8_S8_S8_S8_S8_EEEEZZNS1_27merge_sort_block_merge_implIS3_NS6_6detail15normal_iteratorINS6_10device_ptrIjEEEENSD_INSE_IS9_EEEEjNS1_19radix_merge_compareILb0ELb1EjNS0_19identity_decomposerEEEEE10hipError_tT0_T1_T2_jT3_P12ihipStream_tbPNSt15iterator_traitsISN_E10value_typeEPNST_ISO_E10value_typeEPSP_NS1_7vsmem_tEENKUlT_SN_SO_SP_E_clISG_PjSI_PS9_EESM_S12_SN_SO_SP_EUlS12_E_NS1_11comp_targetILNS1_3genE2ELNS1_11target_archE906ELNS1_3gpuE6ELNS1_3repE0EEENS1_48merge_mergepath_partition_config_static_selectorELNS0_4arch9wavefront6targetE0EEEvSO_,"axG",@progbits,_ZN7rocprim17ROCPRIM_400000_NS6detail17trampoline_kernelINS0_14default_configENS1_38merge_sort_block_merge_config_selectorIjN6thrust23THRUST_200600_302600_NS5tupleIffNS6_9null_typeES8_S8_S8_S8_S8_S8_S8_EEEEZZNS1_27merge_sort_block_merge_implIS3_NS6_6detail15normal_iteratorINS6_10device_ptrIjEEEENSD_INSE_IS9_EEEEjNS1_19radix_merge_compareILb0ELb1EjNS0_19identity_decomposerEEEEE10hipError_tT0_T1_T2_jT3_P12ihipStream_tbPNSt15iterator_traitsISN_E10value_typeEPNST_ISO_E10value_typeEPSP_NS1_7vsmem_tEENKUlT_SN_SO_SP_E_clISG_PjSI_PS9_EESM_S12_SN_SO_SP_EUlS12_E_NS1_11comp_targetILNS1_3genE2ELNS1_11target_archE906ELNS1_3gpuE6ELNS1_3repE0EEENS1_48merge_mergepath_partition_config_static_selectorELNS0_4arch9wavefront6targetE0EEEvSO_,comdat
	.protected	_ZN7rocprim17ROCPRIM_400000_NS6detail17trampoline_kernelINS0_14default_configENS1_38merge_sort_block_merge_config_selectorIjN6thrust23THRUST_200600_302600_NS5tupleIffNS6_9null_typeES8_S8_S8_S8_S8_S8_S8_EEEEZZNS1_27merge_sort_block_merge_implIS3_NS6_6detail15normal_iteratorINS6_10device_ptrIjEEEENSD_INSE_IS9_EEEEjNS1_19radix_merge_compareILb0ELb1EjNS0_19identity_decomposerEEEEE10hipError_tT0_T1_T2_jT3_P12ihipStream_tbPNSt15iterator_traitsISN_E10value_typeEPNST_ISO_E10value_typeEPSP_NS1_7vsmem_tEENKUlT_SN_SO_SP_E_clISG_PjSI_PS9_EESM_S12_SN_SO_SP_EUlS12_E_NS1_11comp_targetILNS1_3genE2ELNS1_11target_archE906ELNS1_3gpuE6ELNS1_3repE0EEENS1_48merge_mergepath_partition_config_static_selectorELNS0_4arch9wavefront6targetE0EEEvSO_ ; -- Begin function _ZN7rocprim17ROCPRIM_400000_NS6detail17trampoline_kernelINS0_14default_configENS1_38merge_sort_block_merge_config_selectorIjN6thrust23THRUST_200600_302600_NS5tupleIffNS6_9null_typeES8_S8_S8_S8_S8_S8_S8_EEEEZZNS1_27merge_sort_block_merge_implIS3_NS6_6detail15normal_iteratorINS6_10device_ptrIjEEEENSD_INSE_IS9_EEEEjNS1_19radix_merge_compareILb0ELb1EjNS0_19identity_decomposerEEEEE10hipError_tT0_T1_T2_jT3_P12ihipStream_tbPNSt15iterator_traitsISN_E10value_typeEPNST_ISO_E10value_typeEPSP_NS1_7vsmem_tEENKUlT_SN_SO_SP_E_clISG_PjSI_PS9_EESM_S12_SN_SO_SP_EUlS12_E_NS1_11comp_targetILNS1_3genE2ELNS1_11target_archE906ELNS1_3gpuE6ELNS1_3repE0EEENS1_48merge_mergepath_partition_config_static_selectorELNS0_4arch9wavefront6targetE0EEEvSO_
	.globl	_ZN7rocprim17ROCPRIM_400000_NS6detail17trampoline_kernelINS0_14default_configENS1_38merge_sort_block_merge_config_selectorIjN6thrust23THRUST_200600_302600_NS5tupleIffNS6_9null_typeES8_S8_S8_S8_S8_S8_S8_EEEEZZNS1_27merge_sort_block_merge_implIS3_NS6_6detail15normal_iteratorINS6_10device_ptrIjEEEENSD_INSE_IS9_EEEEjNS1_19radix_merge_compareILb0ELb1EjNS0_19identity_decomposerEEEEE10hipError_tT0_T1_T2_jT3_P12ihipStream_tbPNSt15iterator_traitsISN_E10value_typeEPNST_ISO_E10value_typeEPSP_NS1_7vsmem_tEENKUlT_SN_SO_SP_E_clISG_PjSI_PS9_EESM_S12_SN_SO_SP_EUlS12_E_NS1_11comp_targetILNS1_3genE2ELNS1_11target_archE906ELNS1_3gpuE6ELNS1_3repE0EEENS1_48merge_mergepath_partition_config_static_selectorELNS0_4arch9wavefront6targetE0EEEvSO_
	.p2align	8
	.type	_ZN7rocprim17ROCPRIM_400000_NS6detail17trampoline_kernelINS0_14default_configENS1_38merge_sort_block_merge_config_selectorIjN6thrust23THRUST_200600_302600_NS5tupleIffNS6_9null_typeES8_S8_S8_S8_S8_S8_S8_EEEEZZNS1_27merge_sort_block_merge_implIS3_NS6_6detail15normal_iteratorINS6_10device_ptrIjEEEENSD_INSE_IS9_EEEEjNS1_19radix_merge_compareILb0ELb1EjNS0_19identity_decomposerEEEEE10hipError_tT0_T1_T2_jT3_P12ihipStream_tbPNSt15iterator_traitsISN_E10value_typeEPNST_ISO_E10value_typeEPSP_NS1_7vsmem_tEENKUlT_SN_SO_SP_E_clISG_PjSI_PS9_EESM_S12_SN_SO_SP_EUlS12_E_NS1_11comp_targetILNS1_3genE2ELNS1_11target_archE906ELNS1_3gpuE6ELNS1_3repE0EEENS1_48merge_mergepath_partition_config_static_selectorELNS0_4arch9wavefront6targetE0EEEvSO_,@function
_ZN7rocprim17ROCPRIM_400000_NS6detail17trampoline_kernelINS0_14default_configENS1_38merge_sort_block_merge_config_selectorIjN6thrust23THRUST_200600_302600_NS5tupleIffNS6_9null_typeES8_S8_S8_S8_S8_S8_S8_EEEEZZNS1_27merge_sort_block_merge_implIS3_NS6_6detail15normal_iteratorINS6_10device_ptrIjEEEENSD_INSE_IS9_EEEEjNS1_19radix_merge_compareILb0ELb1EjNS0_19identity_decomposerEEEEE10hipError_tT0_T1_T2_jT3_P12ihipStream_tbPNSt15iterator_traitsISN_E10value_typeEPNST_ISO_E10value_typeEPSP_NS1_7vsmem_tEENKUlT_SN_SO_SP_E_clISG_PjSI_PS9_EESM_S12_SN_SO_SP_EUlS12_E_NS1_11comp_targetILNS1_3genE2ELNS1_11target_archE906ELNS1_3gpuE6ELNS1_3repE0EEENS1_48merge_mergepath_partition_config_static_selectorELNS0_4arch9wavefront6targetE0EEEvSO_: ; @_ZN7rocprim17ROCPRIM_400000_NS6detail17trampoline_kernelINS0_14default_configENS1_38merge_sort_block_merge_config_selectorIjN6thrust23THRUST_200600_302600_NS5tupleIffNS6_9null_typeES8_S8_S8_S8_S8_S8_S8_EEEEZZNS1_27merge_sort_block_merge_implIS3_NS6_6detail15normal_iteratorINS6_10device_ptrIjEEEENSD_INSE_IS9_EEEEjNS1_19radix_merge_compareILb0ELb1EjNS0_19identity_decomposerEEEEE10hipError_tT0_T1_T2_jT3_P12ihipStream_tbPNSt15iterator_traitsISN_E10value_typeEPNST_ISO_E10value_typeEPSP_NS1_7vsmem_tEENKUlT_SN_SO_SP_E_clISG_PjSI_PS9_EESM_S12_SN_SO_SP_EUlS12_E_NS1_11comp_targetILNS1_3genE2ELNS1_11target_archE906ELNS1_3gpuE6ELNS1_3repE0EEENS1_48merge_mergepath_partition_config_static_selectorELNS0_4arch9wavefront6targetE0EEEvSO_
; %bb.0:
	.section	.rodata,"a",@progbits
	.p2align	6, 0x0
	.amdhsa_kernel _ZN7rocprim17ROCPRIM_400000_NS6detail17trampoline_kernelINS0_14default_configENS1_38merge_sort_block_merge_config_selectorIjN6thrust23THRUST_200600_302600_NS5tupleIffNS6_9null_typeES8_S8_S8_S8_S8_S8_S8_EEEEZZNS1_27merge_sort_block_merge_implIS3_NS6_6detail15normal_iteratorINS6_10device_ptrIjEEEENSD_INSE_IS9_EEEEjNS1_19radix_merge_compareILb0ELb1EjNS0_19identity_decomposerEEEEE10hipError_tT0_T1_T2_jT3_P12ihipStream_tbPNSt15iterator_traitsISN_E10value_typeEPNST_ISO_E10value_typeEPSP_NS1_7vsmem_tEENKUlT_SN_SO_SP_E_clISG_PjSI_PS9_EESM_S12_SN_SO_SP_EUlS12_E_NS1_11comp_targetILNS1_3genE2ELNS1_11target_archE906ELNS1_3gpuE6ELNS1_3repE0EEENS1_48merge_mergepath_partition_config_static_selectorELNS0_4arch9wavefront6targetE0EEEvSO_
		.amdhsa_group_segment_fixed_size 0
		.amdhsa_private_segment_fixed_size 0
		.amdhsa_kernarg_size 40
		.amdhsa_user_sgpr_count 6
		.amdhsa_user_sgpr_private_segment_buffer 1
		.amdhsa_user_sgpr_dispatch_ptr 0
		.amdhsa_user_sgpr_queue_ptr 0
		.amdhsa_user_sgpr_kernarg_segment_ptr 1
		.amdhsa_user_sgpr_dispatch_id 0
		.amdhsa_user_sgpr_flat_scratch_init 0
		.amdhsa_user_sgpr_private_segment_size 0
		.amdhsa_wavefront_size32 1
		.amdhsa_uses_dynamic_stack 0
		.amdhsa_system_sgpr_private_segment_wavefront_offset 0
		.amdhsa_system_sgpr_workgroup_id_x 1
		.amdhsa_system_sgpr_workgroup_id_y 0
		.amdhsa_system_sgpr_workgroup_id_z 0
		.amdhsa_system_sgpr_workgroup_info 0
		.amdhsa_system_vgpr_workitem_id 0
		.amdhsa_next_free_vgpr 1
		.amdhsa_next_free_sgpr 1
		.amdhsa_reserve_vcc 0
		.amdhsa_reserve_flat_scratch 0
		.amdhsa_float_round_mode_32 0
		.amdhsa_float_round_mode_16_64 0
		.amdhsa_float_denorm_mode_32 3
		.amdhsa_float_denorm_mode_16_64 3
		.amdhsa_dx10_clamp 1
		.amdhsa_ieee_mode 1
		.amdhsa_fp16_overflow 0
		.amdhsa_workgroup_processor_mode 1
		.amdhsa_memory_ordered 1
		.amdhsa_forward_progress 1
		.amdhsa_shared_vgpr_count 0
		.amdhsa_exception_fp_ieee_invalid_op 0
		.amdhsa_exception_fp_denorm_src 0
		.amdhsa_exception_fp_ieee_div_zero 0
		.amdhsa_exception_fp_ieee_overflow 0
		.amdhsa_exception_fp_ieee_underflow 0
		.amdhsa_exception_fp_ieee_inexact 0
		.amdhsa_exception_int_div_zero 0
	.end_amdhsa_kernel
	.section	.text._ZN7rocprim17ROCPRIM_400000_NS6detail17trampoline_kernelINS0_14default_configENS1_38merge_sort_block_merge_config_selectorIjN6thrust23THRUST_200600_302600_NS5tupleIffNS6_9null_typeES8_S8_S8_S8_S8_S8_S8_EEEEZZNS1_27merge_sort_block_merge_implIS3_NS6_6detail15normal_iteratorINS6_10device_ptrIjEEEENSD_INSE_IS9_EEEEjNS1_19radix_merge_compareILb0ELb1EjNS0_19identity_decomposerEEEEE10hipError_tT0_T1_T2_jT3_P12ihipStream_tbPNSt15iterator_traitsISN_E10value_typeEPNST_ISO_E10value_typeEPSP_NS1_7vsmem_tEENKUlT_SN_SO_SP_E_clISG_PjSI_PS9_EESM_S12_SN_SO_SP_EUlS12_E_NS1_11comp_targetILNS1_3genE2ELNS1_11target_archE906ELNS1_3gpuE6ELNS1_3repE0EEENS1_48merge_mergepath_partition_config_static_selectorELNS0_4arch9wavefront6targetE0EEEvSO_,"axG",@progbits,_ZN7rocprim17ROCPRIM_400000_NS6detail17trampoline_kernelINS0_14default_configENS1_38merge_sort_block_merge_config_selectorIjN6thrust23THRUST_200600_302600_NS5tupleIffNS6_9null_typeES8_S8_S8_S8_S8_S8_S8_EEEEZZNS1_27merge_sort_block_merge_implIS3_NS6_6detail15normal_iteratorINS6_10device_ptrIjEEEENSD_INSE_IS9_EEEEjNS1_19radix_merge_compareILb0ELb1EjNS0_19identity_decomposerEEEEE10hipError_tT0_T1_T2_jT3_P12ihipStream_tbPNSt15iterator_traitsISN_E10value_typeEPNST_ISO_E10value_typeEPSP_NS1_7vsmem_tEENKUlT_SN_SO_SP_E_clISG_PjSI_PS9_EESM_S12_SN_SO_SP_EUlS12_E_NS1_11comp_targetILNS1_3genE2ELNS1_11target_archE906ELNS1_3gpuE6ELNS1_3repE0EEENS1_48merge_mergepath_partition_config_static_selectorELNS0_4arch9wavefront6targetE0EEEvSO_,comdat
.Lfunc_end120:
	.size	_ZN7rocprim17ROCPRIM_400000_NS6detail17trampoline_kernelINS0_14default_configENS1_38merge_sort_block_merge_config_selectorIjN6thrust23THRUST_200600_302600_NS5tupleIffNS6_9null_typeES8_S8_S8_S8_S8_S8_S8_EEEEZZNS1_27merge_sort_block_merge_implIS3_NS6_6detail15normal_iteratorINS6_10device_ptrIjEEEENSD_INSE_IS9_EEEEjNS1_19radix_merge_compareILb0ELb1EjNS0_19identity_decomposerEEEEE10hipError_tT0_T1_T2_jT3_P12ihipStream_tbPNSt15iterator_traitsISN_E10value_typeEPNST_ISO_E10value_typeEPSP_NS1_7vsmem_tEENKUlT_SN_SO_SP_E_clISG_PjSI_PS9_EESM_S12_SN_SO_SP_EUlS12_E_NS1_11comp_targetILNS1_3genE2ELNS1_11target_archE906ELNS1_3gpuE6ELNS1_3repE0EEENS1_48merge_mergepath_partition_config_static_selectorELNS0_4arch9wavefront6targetE0EEEvSO_, .Lfunc_end120-_ZN7rocprim17ROCPRIM_400000_NS6detail17trampoline_kernelINS0_14default_configENS1_38merge_sort_block_merge_config_selectorIjN6thrust23THRUST_200600_302600_NS5tupleIffNS6_9null_typeES8_S8_S8_S8_S8_S8_S8_EEEEZZNS1_27merge_sort_block_merge_implIS3_NS6_6detail15normal_iteratorINS6_10device_ptrIjEEEENSD_INSE_IS9_EEEEjNS1_19radix_merge_compareILb0ELb1EjNS0_19identity_decomposerEEEEE10hipError_tT0_T1_T2_jT3_P12ihipStream_tbPNSt15iterator_traitsISN_E10value_typeEPNST_ISO_E10value_typeEPSP_NS1_7vsmem_tEENKUlT_SN_SO_SP_E_clISG_PjSI_PS9_EESM_S12_SN_SO_SP_EUlS12_E_NS1_11comp_targetILNS1_3genE2ELNS1_11target_archE906ELNS1_3gpuE6ELNS1_3repE0EEENS1_48merge_mergepath_partition_config_static_selectorELNS0_4arch9wavefront6targetE0EEEvSO_
                                        ; -- End function
	.set _ZN7rocprim17ROCPRIM_400000_NS6detail17trampoline_kernelINS0_14default_configENS1_38merge_sort_block_merge_config_selectorIjN6thrust23THRUST_200600_302600_NS5tupleIffNS6_9null_typeES8_S8_S8_S8_S8_S8_S8_EEEEZZNS1_27merge_sort_block_merge_implIS3_NS6_6detail15normal_iteratorINS6_10device_ptrIjEEEENSD_INSE_IS9_EEEEjNS1_19radix_merge_compareILb0ELb1EjNS0_19identity_decomposerEEEEE10hipError_tT0_T1_T2_jT3_P12ihipStream_tbPNSt15iterator_traitsISN_E10value_typeEPNST_ISO_E10value_typeEPSP_NS1_7vsmem_tEENKUlT_SN_SO_SP_E_clISG_PjSI_PS9_EESM_S12_SN_SO_SP_EUlS12_E_NS1_11comp_targetILNS1_3genE2ELNS1_11target_archE906ELNS1_3gpuE6ELNS1_3repE0EEENS1_48merge_mergepath_partition_config_static_selectorELNS0_4arch9wavefront6targetE0EEEvSO_.num_vgpr, 0
	.set _ZN7rocprim17ROCPRIM_400000_NS6detail17trampoline_kernelINS0_14default_configENS1_38merge_sort_block_merge_config_selectorIjN6thrust23THRUST_200600_302600_NS5tupleIffNS6_9null_typeES8_S8_S8_S8_S8_S8_S8_EEEEZZNS1_27merge_sort_block_merge_implIS3_NS6_6detail15normal_iteratorINS6_10device_ptrIjEEEENSD_INSE_IS9_EEEEjNS1_19radix_merge_compareILb0ELb1EjNS0_19identity_decomposerEEEEE10hipError_tT0_T1_T2_jT3_P12ihipStream_tbPNSt15iterator_traitsISN_E10value_typeEPNST_ISO_E10value_typeEPSP_NS1_7vsmem_tEENKUlT_SN_SO_SP_E_clISG_PjSI_PS9_EESM_S12_SN_SO_SP_EUlS12_E_NS1_11comp_targetILNS1_3genE2ELNS1_11target_archE906ELNS1_3gpuE6ELNS1_3repE0EEENS1_48merge_mergepath_partition_config_static_selectorELNS0_4arch9wavefront6targetE0EEEvSO_.num_agpr, 0
	.set _ZN7rocprim17ROCPRIM_400000_NS6detail17trampoline_kernelINS0_14default_configENS1_38merge_sort_block_merge_config_selectorIjN6thrust23THRUST_200600_302600_NS5tupleIffNS6_9null_typeES8_S8_S8_S8_S8_S8_S8_EEEEZZNS1_27merge_sort_block_merge_implIS3_NS6_6detail15normal_iteratorINS6_10device_ptrIjEEEENSD_INSE_IS9_EEEEjNS1_19radix_merge_compareILb0ELb1EjNS0_19identity_decomposerEEEEE10hipError_tT0_T1_T2_jT3_P12ihipStream_tbPNSt15iterator_traitsISN_E10value_typeEPNST_ISO_E10value_typeEPSP_NS1_7vsmem_tEENKUlT_SN_SO_SP_E_clISG_PjSI_PS9_EESM_S12_SN_SO_SP_EUlS12_E_NS1_11comp_targetILNS1_3genE2ELNS1_11target_archE906ELNS1_3gpuE6ELNS1_3repE0EEENS1_48merge_mergepath_partition_config_static_selectorELNS0_4arch9wavefront6targetE0EEEvSO_.numbered_sgpr, 0
	.set _ZN7rocprim17ROCPRIM_400000_NS6detail17trampoline_kernelINS0_14default_configENS1_38merge_sort_block_merge_config_selectorIjN6thrust23THRUST_200600_302600_NS5tupleIffNS6_9null_typeES8_S8_S8_S8_S8_S8_S8_EEEEZZNS1_27merge_sort_block_merge_implIS3_NS6_6detail15normal_iteratorINS6_10device_ptrIjEEEENSD_INSE_IS9_EEEEjNS1_19radix_merge_compareILb0ELb1EjNS0_19identity_decomposerEEEEE10hipError_tT0_T1_T2_jT3_P12ihipStream_tbPNSt15iterator_traitsISN_E10value_typeEPNST_ISO_E10value_typeEPSP_NS1_7vsmem_tEENKUlT_SN_SO_SP_E_clISG_PjSI_PS9_EESM_S12_SN_SO_SP_EUlS12_E_NS1_11comp_targetILNS1_3genE2ELNS1_11target_archE906ELNS1_3gpuE6ELNS1_3repE0EEENS1_48merge_mergepath_partition_config_static_selectorELNS0_4arch9wavefront6targetE0EEEvSO_.num_named_barrier, 0
	.set _ZN7rocprim17ROCPRIM_400000_NS6detail17trampoline_kernelINS0_14default_configENS1_38merge_sort_block_merge_config_selectorIjN6thrust23THRUST_200600_302600_NS5tupleIffNS6_9null_typeES8_S8_S8_S8_S8_S8_S8_EEEEZZNS1_27merge_sort_block_merge_implIS3_NS6_6detail15normal_iteratorINS6_10device_ptrIjEEEENSD_INSE_IS9_EEEEjNS1_19radix_merge_compareILb0ELb1EjNS0_19identity_decomposerEEEEE10hipError_tT0_T1_T2_jT3_P12ihipStream_tbPNSt15iterator_traitsISN_E10value_typeEPNST_ISO_E10value_typeEPSP_NS1_7vsmem_tEENKUlT_SN_SO_SP_E_clISG_PjSI_PS9_EESM_S12_SN_SO_SP_EUlS12_E_NS1_11comp_targetILNS1_3genE2ELNS1_11target_archE906ELNS1_3gpuE6ELNS1_3repE0EEENS1_48merge_mergepath_partition_config_static_selectorELNS0_4arch9wavefront6targetE0EEEvSO_.private_seg_size, 0
	.set _ZN7rocprim17ROCPRIM_400000_NS6detail17trampoline_kernelINS0_14default_configENS1_38merge_sort_block_merge_config_selectorIjN6thrust23THRUST_200600_302600_NS5tupleIffNS6_9null_typeES8_S8_S8_S8_S8_S8_S8_EEEEZZNS1_27merge_sort_block_merge_implIS3_NS6_6detail15normal_iteratorINS6_10device_ptrIjEEEENSD_INSE_IS9_EEEEjNS1_19radix_merge_compareILb0ELb1EjNS0_19identity_decomposerEEEEE10hipError_tT0_T1_T2_jT3_P12ihipStream_tbPNSt15iterator_traitsISN_E10value_typeEPNST_ISO_E10value_typeEPSP_NS1_7vsmem_tEENKUlT_SN_SO_SP_E_clISG_PjSI_PS9_EESM_S12_SN_SO_SP_EUlS12_E_NS1_11comp_targetILNS1_3genE2ELNS1_11target_archE906ELNS1_3gpuE6ELNS1_3repE0EEENS1_48merge_mergepath_partition_config_static_selectorELNS0_4arch9wavefront6targetE0EEEvSO_.uses_vcc, 0
	.set _ZN7rocprim17ROCPRIM_400000_NS6detail17trampoline_kernelINS0_14default_configENS1_38merge_sort_block_merge_config_selectorIjN6thrust23THRUST_200600_302600_NS5tupleIffNS6_9null_typeES8_S8_S8_S8_S8_S8_S8_EEEEZZNS1_27merge_sort_block_merge_implIS3_NS6_6detail15normal_iteratorINS6_10device_ptrIjEEEENSD_INSE_IS9_EEEEjNS1_19radix_merge_compareILb0ELb1EjNS0_19identity_decomposerEEEEE10hipError_tT0_T1_T2_jT3_P12ihipStream_tbPNSt15iterator_traitsISN_E10value_typeEPNST_ISO_E10value_typeEPSP_NS1_7vsmem_tEENKUlT_SN_SO_SP_E_clISG_PjSI_PS9_EESM_S12_SN_SO_SP_EUlS12_E_NS1_11comp_targetILNS1_3genE2ELNS1_11target_archE906ELNS1_3gpuE6ELNS1_3repE0EEENS1_48merge_mergepath_partition_config_static_selectorELNS0_4arch9wavefront6targetE0EEEvSO_.uses_flat_scratch, 0
	.set _ZN7rocprim17ROCPRIM_400000_NS6detail17trampoline_kernelINS0_14default_configENS1_38merge_sort_block_merge_config_selectorIjN6thrust23THRUST_200600_302600_NS5tupleIffNS6_9null_typeES8_S8_S8_S8_S8_S8_S8_EEEEZZNS1_27merge_sort_block_merge_implIS3_NS6_6detail15normal_iteratorINS6_10device_ptrIjEEEENSD_INSE_IS9_EEEEjNS1_19radix_merge_compareILb0ELb1EjNS0_19identity_decomposerEEEEE10hipError_tT0_T1_T2_jT3_P12ihipStream_tbPNSt15iterator_traitsISN_E10value_typeEPNST_ISO_E10value_typeEPSP_NS1_7vsmem_tEENKUlT_SN_SO_SP_E_clISG_PjSI_PS9_EESM_S12_SN_SO_SP_EUlS12_E_NS1_11comp_targetILNS1_3genE2ELNS1_11target_archE906ELNS1_3gpuE6ELNS1_3repE0EEENS1_48merge_mergepath_partition_config_static_selectorELNS0_4arch9wavefront6targetE0EEEvSO_.has_dyn_sized_stack, 0
	.set _ZN7rocprim17ROCPRIM_400000_NS6detail17trampoline_kernelINS0_14default_configENS1_38merge_sort_block_merge_config_selectorIjN6thrust23THRUST_200600_302600_NS5tupleIffNS6_9null_typeES8_S8_S8_S8_S8_S8_S8_EEEEZZNS1_27merge_sort_block_merge_implIS3_NS6_6detail15normal_iteratorINS6_10device_ptrIjEEEENSD_INSE_IS9_EEEEjNS1_19radix_merge_compareILb0ELb1EjNS0_19identity_decomposerEEEEE10hipError_tT0_T1_T2_jT3_P12ihipStream_tbPNSt15iterator_traitsISN_E10value_typeEPNST_ISO_E10value_typeEPSP_NS1_7vsmem_tEENKUlT_SN_SO_SP_E_clISG_PjSI_PS9_EESM_S12_SN_SO_SP_EUlS12_E_NS1_11comp_targetILNS1_3genE2ELNS1_11target_archE906ELNS1_3gpuE6ELNS1_3repE0EEENS1_48merge_mergepath_partition_config_static_selectorELNS0_4arch9wavefront6targetE0EEEvSO_.has_recursion, 0
	.set _ZN7rocprim17ROCPRIM_400000_NS6detail17trampoline_kernelINS0_14default_configENS1_38merge_sort_block_merge_config_selectorIjN6thrust23THRUST_200600_302600_NS5tupleIffNS6_9null_typeES8_S8_S8_S8_S8_S8_S8_EEEEZZNS1_27merge_sort_block_merge_implIS3_NS6_6detail15normal_iteratorINS6_10device_ptrIjEEEENSD_INSE_IS9_EEEEjNS1_19radix_merge_compareILb0ELb1EjNS0_19identity_decomposerEEEEE10hipError_tT0_T1_T2_jT3_P12ihipStream_tbPNSt15iterator_traitsISN_E10value_typeEPNST_ISO_E10value_typeEPSP_NS1_7vsmem_tEENKUlT_SN_SO_SP_E_clISG_PjSI_PS9_EESM_S12_SN_SO_SP_EUlS12_E_NS1_11comp_targetILNS1_3genE2ELNS1_11target_archE906ELNS1_3gpuE6ELNS1_3repE0EEENS1_48merge_mergepath_partition_config_static_selectorELNS0_4arch9wavefront6targetE0EEEvSO_.has_indirect_call, 0
	.section	.AMDGPU.csdata,"",@progbits
; Kernel info:
; codeLenInByte = 0
; TotalNumSgprs: 0
; NumVgprs: 0
; ScratchSize: 0
; MemoryBound: 0
; FloatMode: 240
; IeeeMode: 1
; LDSByteSize: 0 bytes/workgroup (compile time only)
; SGPRBlocks: 0
; VGPRBlocks: 0
; NumSGPRsForWavesPerEU: 1
; NumVGPRsForWavesPerEU: 1
; Occupancy: 16
; WaveLimiterHint : 0
; COMPUTE_PGM_RSRC2:SCRATCH_EN: 0
; COMPUTE_PGM_RSRC2:USER_SGPR: 6
; COMPUTE_PGM_RSRC2:TRAP_HANDLER: 0
; COMPUTE_PGM_RSRC2:TGID_X_EN: 1
; COMPUTE_PGM_RSRC2:TGID_Y_EN: 0
; COMPUTE_PGM_RSRC2:TGID_Z_EN: 0
; COMPUTE_PGM_RSRC2:TIDIG_COMP_CNT: 0
	.section	.text._ZN7rocprim17ROCPRIM_400000_NS6detail17trampoline_kernelINS0_14default_configENS1_38merge_sort_block_merge_config_selectorIjN6thrust23THRUST_200600_302600_NS5tupleIffNS6_9null_typeES8_S8_S8_S8_S8_S8_S8_EEEEZZNS1_27merge_sort_block_merge_implIS3_NS6_6detail15normal_iteratorINS6_10device_ptrIjEEEENSD_INSE_IS9_EEEEjNS1_19radix_merge_compareILb0ELb1EjNS0_19identity_decomposerEEEEE10hipError_tT0_T1_T2_jT3_P12ihipStream_tbPNSt15iterator_traitsISN_E10value_typeEPNST_ISO_E10value_typeEPSP_NS1_7vsmem_tEENKUlT_SN_SO_SP_E_clISG_PjSI_PS9_EESM_S12_SN_SO_SP_EUlS12_E_NS1_11comp_targetILNS1_3genE9ELNS1_11target_archE1100ELNS1_3gpuE3ELNS1_3repE0EEENS1_48merge_mergepath_partition_config_static_selectorELNS0_4arch9wavefront6targetE0EEEvSO_,"axG",@progbits,_ZN7rocprim17ROCPRIM_400000_NS6detail17trampoline_kernelINS0_14default_configENS1_38merge_sort_block_merge_config_selectorIjN6thrust23THRUST_200600_302600_NS5tupleIffNS6_9null_typeES8_S8_S8_S8_S8_S8_S8_EEEEZZNS1_27merge_sort_block_merge_implIS3_NS6_6detail15normal_iteratorINS6_10device_ptrIjEEEENSD_INSE_IS9_EEEEjNS1_19radix_merge_compareILb0ELb1EjNS0_19identity_decomposerEEEEE10hipError_tT0_T1_T2_jT3_P12ihipStream_tbPNSt15iterator_traitsISN_E10value_typeEPNST_ISO_E10value_typeEPSP_NS1_7vsmem_tEENKUlT_SN_SO_SP_E_clISG_PjSI_PS9_EESM_S12_SN_SO_SP_EUlS12_E_NS1_11comp_targetILNS1_3genE9ELNS1_11target_archE1100ELNS1_3gpuE3ELNS1_3repE0EEENS1_48merge_mergepath_partition_config_static_selectorELNS0_4arch9wavefront6targetE0EEEvSO_,comdat
	.protected	_ZN7rocprim17ROCPRIM_400000_NS6detail17trampoline_kernelINS0_14default_configENS1_38merge_sort_block_merge_config_selectorIjN6thrust23THRUST_200600_302600_NS5tupleIffNS6_9null_typeES8_S8_S8_S8_S8_S8_S8_EEEEZZNS1_27merge_sort_block_merge_implIS3_NS6_6detail15normal_iteratorINS6_10device_ptrIjEEEENSD_INSE_IS9_EEEEjNS1_19radix_merge_compareILb0ELb1EjNS0_19identity_decomposerEEEEE10hipError_tT0_T1_T2_jT3_P12ihipStream_tbPNSt15iterator_traitsISN_E10value_typeEPNST_ISO_E10value_typeEPSP_NS1_7vsmem_tEENKUlT_SN_SO_SP_E_clISG_PjSI_PS9_EESM_S12_SN_SO_SP_EUlS12_E_NS1_11comp_targetILNS1_3genE9ELNS1_11target_archE1100ELNS1_3gpuE3ELNS1_3repE0EEENS1_48merge_mergepath_partition_config_static_selectorELNS0_4arch9wavefront6targetE0EEEvSO_ ; -- Begin function _ZN7rocprim17ROCPRIM_400000_NS6detail17trampoline_kernelINS0_14default_configENS1_38merge_sort_block_merge_config_selectorIjN6thrust23THRUST_200600_302600_NS5tupleIffNS6_9null_typeES8_S8_S8_S8_S8_S8_S8_EEEEZZNS1_27merge_sort_block_merge_implIS3_NS6_6detail15normal_iteratorINS6_10device_ptrIjEEEENSD_INSE_IS9_EEEEjNS1_19radix_merge_compareILb0ELb1EjNS0_19identity_decomposerEEEEE10hipError_tT0_T1_T2_jT3_P12ihipStream_tbPNSt15iterator_traitsISN_E10value_typeEPNST_ISO_E10value_typeEPSP_NS1_7vsmem_tEENKUlT_SN_SO_SP_E_clISG_PjSI_PS9_EESM_S12_SN_SO_SP_EUlS12_E_NS1_11comp_targetILNS1_3genE9ELNS1_11target_archE1100ELNS1_3gpuE3ELNS1_3repE0EEENS1_48merge_mergepath_partition_config_static_selectorELNS0_4arch9wavefront6targetE0EEEvSO_
	.globl	_ZN7rocprim17ROCPRIM_400000_NS6detail17trampoline_kernelINS0_14default_configENS1_38merge_sort_block_merge_config_selectorIjN6thrust23THRUST_200600_302600_NS5tupleIffNS6_9null_typeES8_S8_S8_S8_S8_S8_S8_EEEEZZNS1_27merge_sort_block_merge_implIS3_NS6_6detail15normal_iteratorINS6_10device_ptrIjEEEENSD_INSE_IS9_EEEEjNS1_19radix_merge_compareILb0ELb1EjNS0_19identity_decomposerEEEEE10hipError_tT0_T1_T2_jT3_P12ihipStream_tbPNSt15iterator_traitsISN_E10value_typeEPNST_ISO_E10value_typeEPSP_NS1_7vsmem_tEENKUlT_SN_SO_SP_E_clISG_PjSI_PS9_EESM_S12_SN_SO_SP_EUlS12_E_NS1_11comp_targetILNS1_3genE9ELNS1_11target_archE1100ELNS1_3gpuE3ELNS1_3repE0EEENS1_48merge_mergepath_partition_config_static_selectorELNS0_4arch9wavefront6targetE0EEEvSO_
	.p2align	8
	.type	_ZN7rocprim17ROCPRIM_400000_NS6detail17trampoline_kernelINS0_14default_configENS1_38merge_sort_block_merge_config_selectorIjN6thrust23THRUST_200600_302600_NS5tupleIffNS6_9null_typeES8_S8_S8_S8_S8_S8_S8_EEEEZZNS1_27merge_sort_block_merge_implIS3_NS6_6detail15normal_iteratorINS6_10device_ptrIjEEEENSD_INSE_IS9_EEEEjNS1_19radix_merge_compareILb0ELb1EjNS0_19identity_decomposerEEEEE10hipError_tT0_T1_T2_jT3_P12ihipStream_tbPNSt15iterator_traitsISN_E10value_typeEPNST_ISO_E10value_typeEPSP_NS1_7vsmem_tEENKUlT_SN_SO_SP_E_clISG_PjSI_PS9_EESM_S12_SN_SO_SP_EUlS12_E_NS1_11comp_targetILNS1_3genE9ELNS1_11target_archE1100ELNS1_3gpuE3ELNS1_3repE0EEENS1_48merge_mergepath_partition_config_static_selectorELNS0_4arch9wavefront6targetE0EEEvSO_,@function
_ZN7rocprim17ROCPRIM_400000_NS6detail17trampoline_kernelINS0_14default_configENS1_38merge_sort_block_merge_config_selectorIjN6thrust23THRUST_200600_302600_NS5tupleIffNS6_9null_typeES8_S8_S8_S8_S8_S8_S8_EEEEZZNS1_27merge_sort_block_merge_implIS3_NS6_6detail15normal_iteratorINS6_10device_ptrIjEEEENSD_INSE_IS9_EEEEjNS1_19radix_merge_compareILb0ELb1EjNS0_19identity_decomposerEEEEE10hipError_tT0_T1_T2_jT3_P12ihipStream_tbPNSt15iterator_traitsISN_E10value_typeEPNST_ISO_E10value_typeEPSP_NS1_7vsmem_tEENKUlT_SN_SO_SP_E_clISG_PjSI_PS9_EESM_S12_SN_SO_SP_EUlS12_E_NS1_11comp_targetILNS1_3genE9ELNS1_11target_archE1100ELNS1_3gpuE3ELNS1_3repE0EEENS1_48merge_mergepath_partition_config_static_selectorELNS0_4arch9wavefront6targetE0EEEvSO_: ; @_ZN7rocprim17ROCPRIM_400000_NS6detail17trampoline_kernelINS0_14default_configENS1_38merge_sort_block_merge_config_selectorIjN6thrust23THRUST_200600_302600_NS5tupleIffNS6_9null_typeES8_S8_S8_S8_S8_S8_S8_EEEEZZNS1_27merge_sort_block_merge_implIS3_NS6_6detail15normal_iteratorINS6_10device_ptrIjEEEENSD_INSE_IS9_EEEEjNS1_19radix_merge_compareILb0ELb1EjNS0_19identity_decomposerEEEEE10hipError_tT0_T1_T2_jT3_P12ihipStream_tbPNSt15iterator_traitsISN_E10value_typeEPNST_ISO_E10value_typeEPSP_NS1_7vsmem_tEENKUlT_SN_SO_SP_E_clISG_PjSI_PS9_EESM_S12_SN_SO_SP_EUlS12_E_NS1_11comp_targetILNS1_3genE9ELNS1_11target_archE1100ELNS1_3gpuE3ELNS1_3repE0EEENS1_48merge_mergepath_partition_config_static_selectorELNS0_4arch9wavefront6targetE0EEEvSO_
; %bb.0:
	.section	.rodata,"a",@progbits
	.p2align	6, 0x0
	.amdhsa_kernel _ZN7rocprim17ROCPRIM_400000_NS6detail17trampoline_kernelINS0_14default_configENS1_38merge_sort_block_merge_config_selectorIjN6thrust23THRUST_200600_302600_NS5tupleIffNS6_9null_typeES8_S8_S8_S8_S8_S8_S8_EEEEZZNS1_27merge_sort_block_merge_implIS3_NS6_6detail15normal_iteratorINS6_10device_ptrIjEEEENSD_INSE_IS9_EEEEjNS1_19radix_merge_compareILb0ELb1EjNS0_19identity_decomposerEEEEE10hipError_tT0_T1_T2_jT3_P12ihipStream_tbPNSt15iterator_traitsISN_E10value_typeEPNST_ISO_E10value_typeEPSP_NS1_7vsmem_tEENKUlT_SN_SO_SP_E_clISG_PjSI_PS9_EESM_S12_SN_SO_SP_EUlS12_E_NS1_11comp_targetILNS1_3genE9ELNS1_11target_archE1100ELNS1_3gpuE3ELNS1_3repE0EEENS1_48merge_mergepath_partition_config_static_selectorELNS0_4arch9wavefront6targetE0EEEvSO_
		.amdhsa_group_segment_fixed_size 0
		.amdhsa_private_segment_fixed_size 0
		.amdhsa_kernarg_size 40
		.amdhsa_user_sgpr_count 6
		.amdhsa_user_sgpr_private_segment_buffer 1
		.amdhsa_user_sgpr_dispatch_ptr 0
		.amdhsa_user_sgpr_queue_ptr 0
		.amdhsa_user_sgpr_kernarg_segment_ptr 1
		.amdhsa_user_sgpr_dispatch_id 0
		.amdhsa_user_sgpr_flat_scratch_init 0
		.amdhsa_user_sgpr_private_segment_size 0
		.amdhsa_wavefront_size32 1
		.amdhsa_uses_dynamic_stack 0
		.amdhsa_system_sgpr_private_segment_wavefront_offset 0
		.amdhsa_system_sgpr_workgroup_id_x 1
		.amdhsa_system_sgpr_workgroup_id_y 0
		.amdhsa_system_sgpr_workgroup_id_z 0
		.amdhsa_system_sgpr_workgroup_info 0
		.amdhsa_system_vgpr_workitem_id 0
		.amdhsa_next_free_vgpr 1
		.amdhsa_next_free_sgpr 1
		.amdhsa_reserve_vcc 0
		.amdhsa_reserve_flat_scratch 0
		.amdhsa_float_round_mode_32 0
		.amdhsa_float_round_mode_16_64 0
		.amdhsa_float_denorm_mode_32 3
		.amdhsa_float_denorm_mode_16_64 3
		.amdhsa_dx10_clamp 1
		.amdhsa_ieee_mode 1
		.amdhsa_fp16_overflow 0
		.amdhsa_workgroup_processor_mode 1
		.amdhsa_memory_ordered 1
		.amdhsa_forward_progress 1
		.amdhsa_shared_vgpr_count 0
		.amdhsa_exception_fp_ieee_invalid_op 0
		.amdhsa_exception_fp_denorm_src 0
		.amdhsa_exception_fp_ieee_div_zero 0
		.amdhsa_exception_fp_ieee_overflow 0
		.amdhsa_exception_fp_ieee_underflow 0
		.amdhsa_exception_fp_ieee_inexact 0
		.amdhsa_exception_int_div_zero 0
	.end_amdhsa_kernel
	.section	.text._ZN7rocprim17ROCPRIM_400000_NS6detail17trampoline_kernelINS0_14default_configENS1_38merge_sort_block_merge_config_selectorIjN6thrust23THRUST_200600_302600_NS5tupleIffNS6_9null_typeES8_S8_S8_S8_S8_S8_S8_EEEEZZNS1_27merge_sort_block_merge_implIS3_NS6_6detail15normal_iteratorINS6_10device_ptrIjEEEENSD_INSE_IS9_EEEEjNS1_19radix_merge_compareILb0ELb1EjNS0_19identity_decomposerEEEEE10hipError_tT0_T1_T2_jT3_P12ihipStream_tbPNSt15iterator_traitsISN_E10value_typeEPNST_ISO_E10value_typeEPSP_NS1_7vsmem_tEENKUlT_SN_SO_SP_E_clISG_PjSI_PS9_EESM_S12_SN_SO_SP_EUlS12_E_NS1_11comp_targetILNS1_3genE9ELNS1_11target_archE1100ELNS1_3gpuE3ELNS1_3repE0EEENS1_48merge_mergepath_partition_config_static_selectorELNS0_4arch9wavefront6targetE0EEEvSO_,"axG",@progbits,_ZN7rocprim17ROCPRIM_400000_NS6detail17trampoline_kernelINS0_14default_configENS1_38merge_sort_block_merge_config_selectorIjN6thrust23THRUST_200600_302600_NS5tupleIffNS6_9null_typeES8_S8_S8_S8_S8_S8_S8_EEEEZZNS1_27merge_sort_block_merge_implIS3_NS6_6detail15normal_iteratorINS6_10device_ptrIjEEEENSD_INSE_IS9_EEEEjNS1_19radix_merge_compareILb0ELb1EjNS0_19identity_decomposerEEEEE10hipError_tT0_T1_T2_jT3_P12ihipStream_tbPNSt15iterator_traitsISN_E10value_typeEPNST_ISO_E10value_typeEPSP_NS1_7vsmem_tEENKUlT_SN_SO_SP_E_clISG_PjSI_PS9_EESM_S12_SN_SO_SP_EUlS12_E_NS1_11comp_targetILNS1_3genE9ELNS1_11target_archE1100ELNS1_3gpuE3ELNS1_3repE0EEENS1_48merge_mergepath_partition_config_static_selectorELNS0_4arch9wavefront6targetE0EEEvSO_,comdat
.Lfunc_end121:
	.size	_ZN7rocprim17ROCPRIM_400000_NS6detail17trampoline_kernelINS0_14default_configENS1_38merge_sort_block_merge_config_selectorIjN6thrust23THRUST_200600_302600_NS5tupleIffNS6_9null_typeES8_S8_S8_S8_S8_S8_S8_EEEEZZNS1_27merge_sort_block_merge_implIS3_NS6_6detail15normal_iteratorINS6_10device_ptrIjEEEENSD_INSE_IS9_EEEEjNS1_19radix_merge_compareILb0ELb1EjNS0_19identity_decomposerEEEEE10hipError_tT0_T1_T2_jT3_P12ihipStream_tbPNSt15iterator_traitsISN_E10value_typeEPNST_ISO_E10value_typeEPSP_NS1_7vsmem_tEENKUlT_SN_SO_SP_E_clISG_PjSI_PS9_EESM_S12_SN_SO_SP_EUlS12_E_NS1_11comp_targetILNS1_3genE9ELNS1_11target_archE1100ELNS1_3gpuE3ELNS1_3repE0EEENS1_48merge_mergepath_partition_config_static_selectorELNS0_4arch9wavefront6targetE0EEEvSO_, .Lfunc_end121-_ZN7rocprim17ROCPRIM_400000_NS6detail17trampoline_kernelINS0_14default_configENS1_38merge_sort_block_merge_config_selectorIjN6thrust23THRUST_200600_302600_NS5tupleIffNS6_9null_typeES8_S8_S8_S8_S8_S8_S8_EEEEZZNS1_27merge_sort_block_merge_implIS3_NS6_6detail15normal_iteratorINS6_10device_ptrIjEEEENSD_INSE_IS9_EEEEjNS1_19radix_merge_compareILb0ELb1EjNS0_19identity_decomposerEEEEE10hipError_tT0_T1_T2_jT3_P12ihipStream_tbPNSt15iterator_traitsISN_E10value_typeEPNST_ISO_E10value_typeEPSP_NS1_7vsmem_tEENKUlT_SN_SO_SP_E_clISG_PjSI_PS9_EESM_S12_SN_SO_SP_EUlS12_E_NS1_11comp_targetILNS1_3genE9ELNS1_11target_archE1100ELNS1_3gpuE3ELNS1_3repE0EEENS1_48merge_mergepath_partition_config_static_selectorELNS0_4arch9wavefront6targetE0EEEvSO_
                                        ; -- End function
	.set _ZN7rocprim17ROCPRIM_400000_NS6detail17trampoline_kernelINS0_14default_configENS1_38merge_sort_block_merge_config_selectorIjN6thrust23THRUST_200600_302600_NS5tupleIffNS6_9null_typeES8_S8_S8_S8_S8_S8_S8_EEEEZZNS1_27merge_sort_block_merge_implIS3_NS6_6detail15normal_iteratorINS6_10device_ptrIjEEEENSD_INSE_IS9_EEEEjNS1_19radix_merge_compareILb0ELb1EjNS0_19identity_decomposerEEEEE10hipError_tT0_T1_T2_jT3_P12ihipStream_tbPNSt15iterator_traitsISN_E10value_typeEPNST_ISO_E10value_typeEPSP_NS1_7vsmem_tEENKUlT_SN_SO_SP_E_clISG_PjSI_PS9_EESM_S12_SN_SO_SP_EUlS12_E_NS1_11comp_targetILNS1_3genE9ELNS1_11target_archE1100ELNS1_3gpuE3ELNS1_3repE0EEENS1_48merge_mergepath_partition_config_static_selectorELNS0_4arch9wavefront6targetE0EEEvSO_.num_vgpr, 0
	.set _ZN7rocprim17ROCPRIM_400000_NS6detail17trampoline_kernelINS0_14default_configENS1_38merge_sort_block_merge_config_selectorIjN6thrust23THRUST_200600_302600_NS5tupleIffNS6_9null_typeES8_S8_S8_S8_S8_S8_S8_EEEEZZNS1_27merge_sort_block_merge_implIS3_NS6_6detail15normal_iteratorINS6_10device_ptrIjEEEENSD_INSE_IS9_EEEEjNS1_19radix_merge_compareILb0ELb1EjNS0_19identity_decomposerEEEEE10hipError_tT0_T1_T2_jT3_P12ihipStream_tbPNSt15iterator_traitsISN_E10value_typeEPNST_ISO_E10value_typeEPSP_NS1_7vsmem_tEENKUlT_SN_SO_SP_E_clISG_PjSI_PS9_EESM_S12_SN_SO_SP_EUlS12_E_NS1_11comp_targetILNS1_3genE9ELNS1_11target_archE1100ELNS1_3gpuE3ELNS1_3repE0EEENS1_48merge_mergepath_partition_config_static_selectorELNS0_4arch9wavefront6targetE0EEEvSO_.num_agpr, 0
	.set _ZN7rocprim17ROCPRIM_400000_NS6detail17trampoline_kernelINS0_14default_configENS1_38merge_sort_block_merge_config_selectorIjN6thrust23THRUST_200600_302600_NS5tupleIffNS6_9null_typeES8_S8_S8_S8_S8_S8_S8_EEEEZZNS1_27merge_sort_block_merge_implIS3_NS6_6detail15normal_iteratorINS6_10device_ptrIjEEEENSD_INSE_IS9_EEEEjNS1_19radix_merge_compareILb0ELb1EjNS0_19identity_decomposerEEEEE10hipError_tT0_T1_T2_jT3_P12ihipStream_tbPNSt15iterator_traitsISN_E10value_typeEPNST_ISO_E10value_typeEPSP_NS1_7vsmem_tEENKUlT_SN_SO_SP_E_clISG_PjSI_PS9_EESM_S12_SN_SO_SP_EUlS12_E_NS1_11comp_targetILNS1_3genE9ELNS1_11target_archE1100ELNS1_3gpuE3ELNS1_3repE0EEENS1_48merge_mergepath_partition_config_static_selectorELNS0_4arch9wavefront6targetE0EEEvSO_.numbered_sgpr, 0
	.set _ZN7rocprim17ROCPRIM_400000_NS6detail17trampoline_kernelINS0_14default_configENS1_38merge_sort_block_merge_config_selectorIjN6thrust23THRUST_200600_302600_NS5tupleIffNS6_9null_typeES8_S8_S8_S8_S8_S8_S8_EEEEZZNS1_27merge_sort_block_merge_implIS3_NS6_6detail15normal_iteratorINS6_10device_ptrIjEEEENSD_INSE_IS9_EEEEjNS1_19radix_merge_compareILb0ELb1EjNS0_19identity_decomposerEEEEE10hipError_tT0_T1_T2_jT3_P12ihipStream_tbPNSt15iterator_traitsISN_E10value_typeEPNST_ISO_E10value_typeEPSP_NS1_7vsmem_tEENKUlT_SN_SO_SP_E_clISG_PjSI_PS9_EESM_S12_SN_SO_SP_EUlS12_E_NS1_11comp_targetILNS1_3genE9ELNS1_11target_archE1100ELNS1_3gpuE3ELNS1_3repE0EEENS1_48merge_mergepath_partition_config_static_selectorELNS0_4arch9wavefront6targetE0EEEvSO_.num_named_barrier, 0
	.set _ZN7rocprim17ROCPRIM_400000_NS6detail17trampoline_kernelINS0_14default_configENS1_38merge_sort_block_merge_config_selectorIjN6thrust23THRUST_200600_302600_NS5tupleIffNS6_9null_typeES8_S8_S8_S8_S8_S8_S8_EEEEZZNS1_27merge_sort_block_merge_implIS3_NS6_6detail15normal_iteratorINS6_10device_ptrIjEEEENSD_INSE_IS9_EEEEjNS1_19radix_merge_compareILb0ELb1EjNS0_19identity_decomposerEEEEE10hipError_tT0_T1_T2_jT3_P12ihipStream_tbPNSt15iterator_traitsISN_E10value_typeEPNST_ISO_E10value_typeEPSP_NS1_7vsmem_tEENKUlT_SN_SO_SP_E_clISG_PjSI_PS9_EESM_S12_SN_SO_SP_EUlS12_E_NS1_11comp_targetILNS1_3genE9ELNS1_11target_archE1100ELNS1_3gpuE3ELNS1_3repE0EEENS1_48merge_mergepath_partition_config_static_selectorELNS0_4arch9wavefront6targetE0EEEvSO_.private_seg_size, 0
	.set _ZN7rocprim17ROCPRIM_400000_NS6detail17trampoline_kernelINS0_14default_configENS1_38merge_sort_block_merge_config_selectorIjN6thrust23THRUST_200600_302600_NS5tupleIffNS6_9null_typeES8_S8_S8_S8_S8_S8_S8_EEEEZZNS1_27merge_sort_block_merge_implIS3_NS6_6detail15normal_iteratorINS6_10device_ptrIjEEEENSD_INSE_IS9_EEEEjNS1_19radix_merge_compareILb0ELb1EjNS0_19identity_decomposerEEEEE10hipError_tT0_T1_T2_jT3_P12ihipStream_tbPNSt15iterator_traitsISN_E10value_typeEPNST_ISO_E10value_typeEPSP_NS1_7vsmem_tEENKUlT_SN_SO_SP_E_clISG_PjSI_PS9_EESM_S12_SN_SO_SP_EUlS12_E_NS1_11comp_targetILNS1_3genE9ELNS1_11target_archE1100ELNS1_3gpuE3ELNS1_3repE0EEENS1_48merge_mergepath_partition_config_static_selectorELNS0_4arch9wavefront6targetE0EEEvSO_.uses_vcc, 0
	.set _ZN7rocprim17ROCPRIM_400000_NS6detail17trampoline_kernelINS0_14default_configENS1_38merge_sort_block_merge_config_selectorIjN6thrust23THRUST_200600_302600_NS5tupleIffNS6_9null_typeES8_S8_S8_S8_S8_S8_S8_EEEEZZNS1_27merge_sort_block_merge_implIS3_NS6_6detail15normal_iteratorINS6_10device_ptrIjEEEENSD_INSE_IS9_EEEEjNS1_19radix_merge_compareILb0ELb1EjNS0_19identity_decomposerEEEEE10hipError_tT0_T1_T2_jT3_P12ihipStream_tbPNSt15iterator_traitsISN_E10value_typeEPNST_ISO_E10value_typeEPSP_NS1_7vsmem_tEENKUlT_SN_SO_SP_E_clISG_PjSI_PS9_EESM_S12_SN_SO_SP_EUlS12_E_NS1_11comp_targetILNS1_3genE9ELNS1_11target_archE1100ELNS1_3gpuE3ELNS1_3repE0EEENS1_48merge_mergepath_partition_config_static_selectorELNS0_4arch9wavefront6targetE0EEEvSO_.uses_flat_scratch, 0
	.set _ZN7rocprim17ROCPRIM_400000_NS6detail17trampoline_kernelINS0_14default_configENS1_38merge_sort_block_merge_config_selectorIjN6thrust23THRUST_200600_302600_NS5tupleIffNS6_9null_typeES8_S8_S8_S8_S8_S8_S8_EEEEZZNS1_27merge_sort_block_merge_implIS3_NS6_6detail15normal_iteratorINS6_10device_ptrIjEEEENSD_INSE_IS9_EEEEjNS1_19radix_merge_compareILb0ELb1EjNS0_19identity_decomposerEEEEE10hipError_tT0_T1_T2_jT3_P12ihipStream_tbPNSt15iterator_traitsISN_E10value_typeEPNST_ISO_E10value_typeEPSP_NS1_7vsmem_tEENKUlT_SN_SO_SP_E_clISG_PjSI_PS9_EESM_S12_SN_SO_SP_EUlS12_E_NS1_11comp_targetILNS1_3genE9ELNS1_11target_archE1100ELNS1_3gpuE3ELNS1_3repE0EEENS1_48merge_mergepath_partition_config_static_selectorELNS0_4arch9wavefront6targetE0EEEvSO_.has_dyn_sized_stack, 0
	.set _ZN7rocprim17ROCPRIM_400000_NS6detail17trampoline_kernelINS0_14default_configENS1_38merge_sort_block_merge_config_selectorIjN6thrust23THRUST_200600_302600_NS5tupleIffNS6_9null_typeES8_S8_S8_S8_S8_S8_S8_EEEEZZNS1_27merge_sort_block_merge_implIS3_NS6_6detail15normal_iteratorINS6_10device_ptrIjEEEENSD_INSE_IS9_EEEEjNS1_19radix_merge_compareILb0ELb1EjNS0_19identity_decomposerEEEEE10hipError_tT0_T1_T2_jT3_P12ihipStream_tbPNSt15iterator_traitsISN_E10value_typeEPNST_ISO_E10value_typeEPSP_NS1_7vsmem_tEENKUlT_SN_SO_SP_E_clISG_PjSI_PS9_EESM_S12_SN_SO_SP_EUlS12_E_NS1_11comp_targetILNS1_3genE9ELNS1_11target_archE1100ELNS1_3gpuE3ELNS1_3repE0EEENS1_48merge_mergepath_partition_config_static_selectorELNS0_4arch9wavefront6targetE0EEEvSO_.has_recursion, 0
	.set _ZN7rocprim17ROCPRIM_400000_NS6detail17trampoline_kernelINS0_14default_configENS1_38merge_sort_block_merge_config_selectorIjN6thrust23THRUST_200600_302600_NS5tupleIffNS6_9null_typeES8_S8_S8_S8_S8_S8_S8_EEEEZZNS1_27merge_sort_block_merge_implIS3_NS6_6detail15normal_iteratorINS6_10device_ptrIjEEEENSD_INSE_IS9_EEEEjNS1_19radix_merge_compareILb0ELb1EjNS0_19identity_decomposerEEEEE10hipError_tT0_T1_T2_jT3_P12ihipStream_tbPNSt15iterator_traitsISN_E10value_typeEPNST_ISO_E10value_typeEPSP_NS1_7vsmem_tEENKUlT_SN_SO_SP_E_clISG_PjSI_PS9_EESM_S12_SN_SO_SP_EUlS12_E_NS1_11comp_targetILNS1_3genE9ELNS1_11target_archE1100ELNS1_3gpuE3ELNS1_3repE0EEENS1_48merge_mergepath_partition_config_static_selectorELNS0_4arch9wavefront6targetE0EEEvSO_.has_indirect_call, 0
	.section	.AMDGPU.csdata,"",@progbits
; Kernel info:
; codeLenInByte = 0
; TotalNumSgprs: 0
; NumVgprs: 0
; ScratchSize: 0
; MemoryBound: 0
; FloatMode: 240
; IeeeMode: 1
; LDSByteSize: 0 bytes/workgroup (compile time only)
; SGPRBlocks: 0
; VGPRBlocks: 0
; NumSGPRsForWavesPerEU: 1
; NumVGPRsForWavesPerEU: 1
; Occupancy: 16
; WaveLimiterHint : 0
; COMPUTE_PGM_RSRC2:SCRATCH_EN: 0
; COMPUTE_PGM_RSRC2:USER_SGPR: 6
; COMPUTE_PGM_RSRC2:TRAP_HANDLER: 0
; COMPUTE_PGM_RSRC2:TGID_X_EN: 1
; COMPUTE_PGM_RSRC2:TGID_Y_EN: 0
; COMPUTE_PGM_RSRC2:TGID_Z_EN: 0
; COMPUTE_PGM_RSRC2:TIDIG_COMP_CNT: 0
	.section	.text._ZN7rocprim17ROCPRIM_400000_NS6detail17trampoline_kernelINS0_14default_configENS1_38merge_sort_block_merge_config_selectorIjN6thrust23THRUST_200600_302600_NS5tupleIffNS6_9null_typeES8_S8_S8_S8_S8_S8_S8_EEEEZZNS1_27merge_sort_block_merge_implIS3_NS6_6detail15normal_iteratorINS6_10device_ptrIjEEEENSD_INSE_IS9_EEEEjNS1_19radix_merge_compareILb0ELb1EjNS0_19identity_decomposerEEEEE10hipError_tT0_T1_T2_jT3_P12ihipStream_tbPNSt15iterator_traitsISN_E10value_typeEPNST_ISO_E10value_typeEPSP_NS1_7vsmem_tEENKUlT_SN_SO_SP_E_clISG_PjSI_PS9_EESM_S12_SN_SO_SP_EUlS12_E_NS1_11comp_targetILNS1_3genE8ELNS1_11target_archE1030ELNS1_3gpuE2ELNS1_3repE0EEENS1_48merge_mergepath_partition_config_static_selectorELNS0_4arch9wavefront6targetE0EEEvSO_,"axG",@progbits,_ZN7rocprim17ROCPRIM_400000_NS6detail17trampoline_kernelINS0_14default_configENS1_38merge_sort_block_merge_config_selectorIjN6thrust23THRUST_200600_302600_NS5tupleIffNS6_9null_typeES8_S8_S8_S8_S8_S8_S8_EEEEZZNS1_27merge_sort_block_merge_implIS3_NS6_6detail15normal_iteratorINS6_10device_ptrIjEEEENSD_INSE_IS9_EEEEjNS1_19radix_merge_compareILb0ELb1EjNS0_19identity_decomposerEEEEE10hipError_tT0_T1_T2_jT3_P12ihipStream_tbPNSt15iterator_traitsISN_E10value_typeEPNST_ISO_E10value_typeEPSP_NS1_7vsmem_tEENKUlT_SN_SO_SP_E_clISG_PjSI_PS9_EESM_S12_SN_SO_SP_EUlS12_E_NS1_11comp_targetILNS1_3genE8ELNS1_11target_archE1030ELNS1_3gpuE2ELNS1_3repE0EEENS1_48merge_mergepath_partition_config_static_selectorELNS0_4arch9wavefront6targetE0EEEvSO_,comdat
	.protected	_ZN7rocprim17ROCPRIM_400000_NS6detail17trampoline_kernelINS0_14default_configENS1_38merge_sort_block_merge_config_selectorIjN6thrust23THRUST_200600_302600_NS5tupleIffNS6_9null_typeES8_S8_S8_S8_S8_S8_S8_EEEEZZNS1_27merge_sort_block_merge_implIS3_NS6_6detail15normal_iteratorINS6_10device_ptrIjEEEENSD_INSE_IS9_EEEEjNS1_19radix_merge_compareILb0ELb1EjNS0_19identity_decomposerEEEEE10hipError_tT0_T1_T2_jT3_P12ihipStream_tbPNSt15iterator_traitsISN_E10value_typeEPNST_ISO_E10value_typeEPSP_NS1_7vsmem_tEENKUlT_SN_SO_SP_E_clISG_PjSI_PS9_EESM_S12_SN_SO_SP_EUlS12_E_NS1_11comp_targetILNS1_3genE8ELNS1_11target_archE1030ELNS1_3gpuE2ELNS1_3repE0EEENS1_48merge_mergepath_partition_config_static_selectorELNS0_4arch9wavefront6targetE0EEEvSO_ ; -- Begin function _ZN7rocprim17ROCPRIM_400000_NS6detail17trampoline_kernelINS0_14default_configENS1_38merge_sort_block_merge_config_selectorIjN6thrust23THRUST_200600_302600_NS5tupleIffNS6_9null_typeES8_S8_S8_S8_S8_S8_S8_EEEEZZNS1_27merge_sort_block_merge_implIS3_NS6_6detail15normal_iteratorINS6_10device_ptrIjEEEENSD_INSE_IS9_EEEEjNS1_19radix_merge_compareILb0ELb1EjNS0_19identity_decomposerEEEEE10hipError_tT0_T1_T2_jT3_P12ihipStream_tbPNSt15iterator_traitsISN_E10value_typeEPNST_ISO_E10value_typeEPSP_NS1_7vsmem_tEENKUlT_SN_SO_SP_E_clISG_PjSI_PS9_EESM_S12_SN_SO_SP_EUlS12_E_NS1_11comp_targetILNS1_3genE8ELNS1_11target_archE1030ELNS1_3gpuE2ELNS1_3repE0EEENS1_48merge_mergepath_partition_config_static_selectorELNS0_4arch9wavefront6targetE0EEEvSO_
	.globl	_ZN7rocprim17ROCPRIM_400000_NS6detail17trampoline_kernelINS0_14default_configENS1_38merge_sort_block_merge_config_selectorIjN6thrust23THRUST_200600_302600_NS5tupleIffNS6_9null_typeES8_S8_S8_S8_S8_S8_S8_EEEEZZNS1_27merge_sort_block_merge_implIS3_NS6_6detail15normal_iteratorINS6_10device_ptrIjEEEENSD_INSE_IS9_EEEEjNS1_19radix_merge_compareILb0ELb1EjNS0_19identity_decomposerEEEEE10hipError_tT0_T1_T2_jT3_P12ihipStream_tbPNSt15iterator_traitsISN_E10value_typeEPNST_ISO_E10value_typeEPSP_NS1_7vsmem_tEENKUlT_SN_SO_SP_E_clISG_PjSI_PS9_EESM_S12_SN_SO_SP_EUlS12_E_NS1_11comp_targetILNS1_3genE8ELNS1_11target_archE1030ELNS1_3gpuE2ELNS1_3repE0EEENS1_48merge_mergepath_partition_config_static_selectorELNS0_4arch9wavefront6targetE0EEEvSO_
	.p2align	8
	.type	_ZN7rocprim17ROCPRIM_400000_NS6detail17trampoline_kernelINS0_14default_configENS1_38merge_sort_block_merge_config_selectorIjN6thrust23THRUST_200600_302600_NS5tupleIffNS6_9null_typeES8_S8_S8_S8_S8_S8_S8_EEEEZZNS1_27merge_sort_block_merge_implIS3_NS6_6detail15normal_iteratorINS6_10device_ptrIjEEEENSD_INSE_IS9_EEEEjNS1_19radix_merge_compareILb0ELb1EjNS0_19identity_decomposerEEEEE10hipError_tT0_T1_T2_jT3_P12ihipStream_tbPNSt15iterator_traitsISN_E10value_typeEPNST_ISO_E10value_typeEPSP_NS1_7vsmem_tEENKUlT_SN_SO_SP_E_clISG_PjSI_PS9_EESM_S12_SN_SO_SP_EUlS12_E_NS1_11comp_targetILNS1_3genE8ELNS1_11target_archE1030ELNS1_3gpuE2ELNS1_3repE0EEENS1_48merge_mergepath_partition_config_static_selectorELNS0_4arch9wavefront6targetE0EEEvSO_,@function
_ZN7rocprim17ROCPRIM_400000_NS6detail17trampoline_kernelINS0_14default_configENS1_38merge_sort_block_merge_config_selectorIjN6thrust23THRUST_200600_302600_NS5tupleIffNS6_9null_typeES8_S8_S8_S8_S8_S8_S8_EEEEZZNS1_27merge_sort_block_merge_implIS3_NS6_6detail15normal_iteratorINS6_10device_ptrIjEEEENSD_INSE_IS9_EEEEjNS1_19radix_merge_compareILb0ELb1EjNS0_19identity_decomposerEEEEE10hipError_tT0_T1_T2_jT3_P12ihipStream_tbPNSt15iterator_traitsISN_E10value_typeEPNST_ISO_E10value_typeEPSP_NS1_7vsmem_tEENKUlT_SN_SO_SP_E_clISG_PjSI_PS9_EESM_S12_SN_SO_SP_EUlS12_E_NS1_11comp_targetILNS1_3genE8ELNS1_11target_archE1030ELNS1_3gpuE2ELNS1_3repE0EEENS1_48merge_mergepath_partition_config_static_selectorELNS0_4arch9wavefront6targetE0EEEvSO_: ; @_ZN7rocprim17ROCPRIM_400000_NS6detail17trampoline_kernelINS0_14default_configENS1_38merge_sort_block_merge_config_selectorIjN6thrust23THRUST_200600_302600_NS5tupleIffNS6_9null_typeES8_S8_S8_S8_S8_S8_S8_EEEEZZNS1_27merge_sort_block_merge_implIS3_NS6_6detail15normal_iteratorINS6_10device_ptrIjEEEENSD_INSE_IS9_EEEEjNS1_19radix_merge_compareILb0ELb1EjNS0_19identity_decomposerEEEEE10hipError_tT0_T1_T2_jT3_P12ihipStream_tbPNSt15iterator_traitsISN_E10value_typeEPNST_ISO_E10value_typeEPSP_NS1_7vsmem_tEENKUlT_SN_SO_SP_E_clISG_PjSI_PS9_EESM_S12_SN_SO_SP_EUlS12_E_NS1_11comp_targetILNS1_3genE8ELNS1_11target_archE1030ELNS1_3gpuE2ELNS1_3repE0EEENS1_48merge_mergepath_partition_config_static_selectorELNS0_4arch9wavefront6targetE0EEEvSO_
; %bb.0:
	s_load_dword s0, s[4:5], 0x0
	v_lshl_or_b32 v0, s6, 7, v0
	s_waitcnt lgkmcnt(0)
	v_cmp_gt_u32_e32 vcc_lo, s0, v0
	s_and_saveexec_b32 s0, vcc_lo
	s_cbranch_execz .LBB122_6
; %bb.1:
	s_load_dwordx2 s[0:1], s[4:5], 0x4
	s_waitcnt lgkmcnt(0)
	s_lshr_b32 s2, s0, 9
	s_and_b32 s2, s2, 0x7ffffe
	s_sub_i32 s3, 0, s2
	s_add_i32 s2, s2, -1
	v_and_b32_e32 v1, s3, v0
	v_and_b32_e32 v5, s2, v0
	s_mov_b32 s3, 0
	s_mov_b32 s2, exec_lo
	v_lshlrev_b32_e32 v1, 10, v1
	v_add_nc_u32_e32 v2, s0, v1
	v_min_u32_e32 v4, s1, v2
	v_min_u32_e32 v2, s1, v1
	v_add_nc_u32_e32 v3, s0, v4
	v_min_u32_e32 v1, s1, v3
	s_load_dwordx2 s[0:1], s[4:5], 0x20
	v_lshlrev_b32_e32 v3, 10, v5
	v_sub_nc_u32_e32 v5, v1, v2
	v_sub_nc_u32_e32 v6, v1, v4
	v_min_u32_e32 v1, v5, v3
	v_sub_nc_u32_e32 v3, v4, v2
	v_sub_nc_u32_e64 v6, v1, v6 clamp
	v_min_u32_e32 v7, v1, v3
	v_cmpx_lt_u32_e64 v6, v7
	s_cbranch_execz .LBB122_5
; %bb.2:
	s_load_dwordx2 s[6:7], s[4:5], 0x10
	v_mov_b32_e32 v5, 0
	s_load_dword s4, s[4:5], 0x18
	v_mov_b32_e32 v3, v5
	v_lshlrev_b64 v[10:11], 2, v[4:5]
	v_lshlrev_b64 v[8:9], 2, v[2:3]
	s_waitcnt lgkmcnt(0)
	v_add_co_u32 v3, vcc_lo, s6, v8
	v_add_co_ci_u32_e64 v8, null, s7, v9, vcc_lo
	v_add_co_u32 v9, vcc_lo, s6, v10
	v_add_co_ci_u32_e64 v10, null, s7, v11, vcc_lo
	.p2align	6
.LBB122_3:                              ; =>This Inner Loop Header: Depth=1
	v_add_nc_u32_e32 v4, v7, v6
	v_mov_b32_e32 v12, v5
	v_lshrrev_b32_e32 v4, 1, v4
	v_xad_u32 v11, v4, -1, v1
	v_lshlrev_b64 v[13:14], 2, v[4:5]
	v_lshlrev_b64 v[11:12], 2, v[11:12]
	v_add_co_u32 v13, vcc_lo, v3, v13
	v_add_co_ci_u32_e64 v14, null, v8, v14, vcc_lo
	v_add_co_u32 v11, vcc_lo, v9, v11
	v_add_co_ci_u32_e64 v12, null, v10, v12, vcc_lo
	s_clause 0x1
	flat_load_dword v13, v[13:14]
	flat_load_dword v11, v[11:12]
	s_waitcnt vmcnt(1) lgkmcnt(1)
	v_and_b32_e32 v12, s4, v13
	s_waitcnt vmcnt(0) lgkmcnt(0)
	v_and_b32_e32 v11, s4, v11
	v_add_nc_u32_e32 v13, 1, v4
	v_cmp_gt_u32_e32 vcc_lo, v12, v11
	v_cndmask_b32_e32 v7, v7, v4, vcc_lo
	v_cndmask_b32_e32 v6, v13, v6, vcc_lo
	v_cmp_ge_u32_e32 vcc_lo, v6, v7
	s_or_b32 s3, vcc_lo, s3
	s_andn2_b32 exec_lo, exec_lo, s3
	s_cbranch_execnz .LBB122_3
; %bb.4:
	s_or_b32 exec_lo, exec_lo, s3
.LBB122_5:
	s_or_b32 exec_lo, exec_lo, s2
	v_mov_b32_e32 v1, 0
	v_add_nc_u32_e32 v2, v6, v2
	v_lshlrev_b64 v[0:1], 2, v[0:1]
	s_waitcnt lgkmcnt(0)
	v_add_co_u32 v0, vcc_lo, s0, v0
	v_add_co_ci_u32_e64 v1, null, s1, v1, vcc_lo
	global_store_dword v[0:1], v2, off
.LBB122_6:
	s_endpgm
	.section	.rodata,"a",@progbits
	.p2align	6, 0x0
	.amdhsa_kernel _ZN7rocprim17ROCPRIM_400000_NS6detail17trampoline_kernelINS0_14default_configENS1_38merge_sort_block_merge_config_selectorIjN6thrust23THRUST_200600_302600_NS5tupleIffNS6_9null_typeES8_S8_S8_S8_S8_S8_S8_EEEEZZNS1_27merge_sort_block_merge_implIS3_NS6_6detail15normal_iteratorINS6_10device_ptrIjEEEENSD_INSE_IS9_EEEEjNS1_19radix_merge_compareILb0ELb1EjNS0_19identity_decomposerEEEEE10hipError_tT0_T1_T2_jT3_P12ihipStream_tbPNSt15iterator_traitsISN_E10value_typeEPNST_ISO_E10value_typeEPSP_NS1_7vsmem_tEENKUlT_SN_SO_SP_E_clISG_PjSI_PS9_EESM_S12_SN_SO_SP_EUlS12_E_NS1_11comp_targetILNS1_3genE8ELNS1_11target_archE1030ELNS1_3gpuE2ELNS1_3repE0EEENS1_48merge_mergepath_partition_config_static_selectorELNS0_4arch9wavefront6targetE0EEEvSO_
		.amdhsa_group_segment_fixed_size 0
		.amdhsa_private_segment_fixed_size 0
		.amdhsa_kernarg_size 40
		.amdhsa_user_sgpr_count 6
		.amdhsa_user_sgpr_private_segment_buffer 1
		.amdhsa_user_sgpr_dispatch_ptr 0
		.amdhsa_user_sgpr_queue_ptr 0
		.amdhsa_user_sgpr_kernarg_segment_ptr 1
		.amdhsa_user_sgpr_dispatch_id 0
		.amdhsa_user_sgpr_flat_scratch_init 0
		.amdhsa_user_sgpr_private_segment_size 0
		.amdhsa_wavefront_size32 1
		.amdhsa_uses_dynamic_stack 0
		.amdhsa_system_sgpr_private_segment_wavefront_offset 0
		.amdhsa_system_sgpr_workgroup_id_x 1
		.amdhsa_system_sgpr_workgroup_id_y 0
		.amdhsa_system_sgpr_workgroup_id_z 0
		.amdhsa_system_sgpr_workgroup_info 0
		.amdhsa_system_vgpr_workitem_id 0
		.amdhsa_next_free_vgpr 15
		.amdhsa_next_free_sgpr 8
		.amdhsa_reserve_vcc 1
		.amdhsa_reserve_flat_scratch 1
		.amdhsa_float_round_mode_32 0
		.amdhsa_float_round_mode_16_64 0
		.amdhsa_float_denorm_mode_32 3
		.amdhsa_float_denorm_mode_16_64 3
		.amdhsa_dx10_clamp 1
		.amdhsa_ieee_mode 1
		.amdhsa_fp16_overflow 0
		.amdhsa_workgroup_processor_mode 1
		.amdhsa_memory_ordered 1
		.amdhsa_forward_progress 1
		.amdhsa_shared_vgpr_count 0
		.amdhsa_exception_fp_ieee_invalid_op 0
		.amdhsa_exception_fp_denorm_src 0
		.amdhsa_exception_fp_ieee_div_zero 0
		.amdhsa_exception_fp_ieee_overflow 0
		.amdhsa_exception_fp_ieee_underflow 0
		.amdhsa_exception_fp_ieee_inexact 0
		.amdhsa_exception_int_div_zero 0
	.end_amdhsa_kernel
	.section	.text._ZN7rocprim17ROCPRIM_400000_NS6detail17trampoline_kernelINS0_14default_configENS1_38merge_sort_block_merge_config_selectorIjN6thrust23THRUST_200600_302600_NS5tupleIffNS6_9null_typeES8_S8_S8_S8_S8_S8_S8_EEEEZZNS1_27merge_sort_block_merge_implIS3_NS6_6detail15normal_iteratorINS6_10device_ptrIjEEEENSD_INSE_IS9_EEEEjNS1_19radix_merge_compareILb0ELb1EjNS0_19identity_decomposerEEEEE10hipError_tT0_T1_T2_jT3_P12ihipStream_tbPNSt15iterator_traitsISN_E10value_typeEPNST_ISO_E10value_typeEPSP_NS1_7vsmem_tEENKUlT_SN_SO_SP_E_clISG_PjSI_PS9_EESM_S12_SN_SO_SP_EUlS12_E_NS1_11comp_targetILNS1_3genE8ELNS1_11target_archE1030ELNS1_3gpuE2ELNS1_3repE0EEENS1_48merge_mergepath_partition_config_static_selectorELNS0_4arch9wavefront6targetE0EEEvSO_,"axG",@progbits,_ZN7rocprim17ROCPRIM_400000_NS6detail17trampoline_kernelINS0_14default_configENS1_38merge_sort_block_merge_config_selectorIjN6thrust23THRUST_200600_302600_NS5tupleIffNS6_9null_typeES8_S8_S8_S8_S8_S8_S8_EEEEZZNS1_27merge_sort_block_merge_implIS3_NS6_6detail15normal_iteratorINS6_10device_ptrIjEEEENSD_INSE_IS9_EEEEjNS1_19radix_merge_compareILb0ELb1EjNS0_19identity_decomposerEEEEE10hipError_tT0_T1_T2_jT3_P12ihipStream_tbPNSt15iterator_traitsISN_E10value_typeEPNST_ISO_E10value_typeEPSP_NS1_7vsmem_tEENKUlT_SN_SO_SP_E_clISG_PjSI_PS9_EESM_S12_SN_SO_SP_EUlS12_E_NS1_11comp_targetILNS1_3genE8ELNS1_11target_archE1030ELNS1_3gpuE2ELNS1_3repE0EEENS1_48merge_mergepath_partition_config_static_selectorELNS0_4arch9wavefront6targetE0EEEvSO_,comdat
.Lfunc_end122:
	.size	_ZN7rocprim17ROCPRIM_400000_NS6detail17trampoline_kernelINS0_14default_configENS1_38merge_sort_block_merge_config_selectorIjN6thrust23THRUST_200600_302600_NS5tupleIffNS6_9null_typeES8_S8_S8_S8_S8_S8_S8_EEEEZZNS1_27merge_sort_block_merge_implIS3_NS6_6detail15normal_iteratorINS6_10device_ptrIjEEEENSD_INSE_IS9_EEEEjNS1_19radix_merge_compareILb0ELb1EjNS0_19identity_decomposerEEEEE10hipError_tT0_T1_T2_jT3_P12ihipStream_tbPNSt15iterator_traitsISN_E10value_typeEPNST_ISO_E10value_typeEPSP_NS1_7vsmem_tEENKUlT_SN_SO_SP_E_clISG_PjSI_PS9_EESM_S12_SN_SO_SP_EUlS12_E_NS1_11comp_targetILNS1_3genE8ELNS1_11target_archE1030ELNS1_3gpuE2ELNS1_3repE0EEENS1_48merge_mergepath_partition_config_static_selectorELNS0_4arch9wavefront6targetE0EEEvSO_, .Lfunc_end122-_ZN7rocprim17ROCPRIM_400000_NS6detail17trampoline_kernelINS0_14default_configENS1_38merge_sort_block_merge_config_selectorIjN6thrust23THRUST_200600_302600_NS5tupleIffNS6_9null_typeES8_S8_S8_S8_S8_S8_S8_EEEEZZNS1_27merge_sort_block_merge_implIS3_NS6_6detail15normal_iteratorINS6_10device_ptrIjEEEENSD_INSE_IS9_EEEEjNS1_19radix_merge_compareILb0ELb1EjNS0_19identity_decomposerEEEEE10hipError_tT0_T1_T2_jT3_P12ihipStream_tbPNSt15iterator_traitsISN_E10value_typeEPNST_ISO_E10value_typeEPSP_NS1_7vsmem_tEENKUlT_SN_SO_SP_E_clISG_PjSI_PS9_EESM_S12_SN_SO_SP_EUlS12_E_NS1_11comp_targetILNS1_3genE8ELNS1_11target_archE1030ELNS1_3gpuE2ELNS1_3repE0EEENS1_48merge_mergepath_partition_config_static_selectorELNS0_4arch9wavefront6targetE0EEEvSO_
                                        ; -- End function
	.set _ZN7rocprim17ROCPRIM_400000_NS6detail17trampoline_kernelINS0_14default_configENS1_38merge_sort_block_merge_config_selectorIjN6thrust23THRUST_200600_302600_NS5tupleIffNS6_9null_typeES8_S8_S8_S8_S8_S8_S8_EEEEZZNS1_27merge_sort_block_merge_implIS3_NS6_6detail15normal_iteratorINS6_10device_ptrIjEEEENSD_INSE_IS9_EEEEjNS1_19radix_merge_compareILb0ELb1EjNS0_19identity_decomposerEEEEE10hipError_tT0_T1_T2_jT3_P12ihipStream_tbPNSt15iterator_traitsISN_E10value_typeEPNST_ISO_E10value_typeEPSP_NS1_7vsmem_tEENKUlT_SN_SO_SP_E_clISG_PjSI_PS9_EESM_S12_SN_SO_SP_EUlS12_E_NS1_11comp_targetILNS1_3genE8ELNS1_11target_archE1030ELNS1_3gpuE2ELNS1_3repE0EEENS1_48merge_mergepath_partition_config_static_selectorELNS0_4arch9wavefront6targetE0EEEvSO_.num_vgpr, 15
	.set _ZN7rocprim17ROCPRIM_400000_NS6detail17trampoline_kernelINS0_14default_configENS1_38merge_sort_block_merge_config_selectorIjN6thrust23THRUST_200600_302600_NS5tupleIffNS6_9null_typeES8_S8_S8_S8_S8_S8_S8_EEEEZZNS1_27merge_sort_block_merge_implIS3_NS6_6detail15normal_iteratorINS6_10device_ptrIjEEEENSD_INSE_IS9_EEEEjNS1_19radix_merge_compareILb0ELb1EjNS0_19identity_decomposerEEEEE10hipError_tT0_T1_T2_jT3_P12ihipStream_tbPNSt15iterator_traitsISN_E10value_typeEPNST_ISO_E10value_typeEPSP_NS1_7vsmem_tEENKUlT_SN_SO_SP_E_clISG_PjSI_PS9_EESM_S12_SN_SO_SP_EUlS12_E_NS1_11comp_targetILNS1_3genE8ELNS1_11target_archE1030ELNS1_3gpuE2ELNS1_3repE0EEENS1_48merge_mergepath_partition_config_static_selectorELNS0_4arch9wavefront6targetE0EEEvSO_.num_agpr, 0
	.set _ZN7rocprim17ROCPRIM_400000_NS6detail17trampoline_kernelINS0_14default_configENS1_38merge_sort_block_merge_config_selectorIjN6thrust23THRUST_200600_302600_NS5tupleIffNS6_9null_typeES8_S8_S8_S8_S8_S8_S8_EEEEZZNS1_27merge_sort_block_merge_implIS3_NS6_6detail15normal_iteratorINS6_10device_ptrIjEEEENSD_INSE_IS9_EEEEjNS1_19radix_merge_compareILb0ELb1EjNS0_19identity_decomposerEEEEE10hipError_tT0_T1_T2_jT3_P12ihipStream_tbPNSt15iterator_traitsISN_E10value_typeEPNST_ISO_E10value_typeEPSP_NS1_7vsmem_tEENKUlT_SN_SO_SP_E_clISG_PjSI_PS9_EESM_S12_SN_SO_SP_EUlS12_E_NS1_11comp_targetILNS1_3genE8ELNS1_11target_archE1030ELNS1_3gpuE2ELNS1_3repE0EEENS1_48merge_mergepath_partition_config_static_selectorELNS0_4arch9wavefront6targetE0EEEvSO_.numbered_sgpr, 8
	.set _ZN7rocprim17ROCPRIM_400000_NS6detail17trampoline_kernelINS0_14default_configENS1_38merge_sort_block_merge_config_selectorIjN6thrust23THRUST_200600_302600_NS5tupleIffNS6_9null_typeES8_S8_S8_S8_S8_S8_S8_EEEEZZNS1_27merge_sort_block_merge_implIS3_NS6_6detail15normal_iteratorINS6_10device_ptrIjEEEENSD_INSE_IS9_EEEEjNS1_19radix_merge_compareILb0ELb1EjNS0_19identity_decomposerEEEEE10hipError_tT0_T1_T2_jT3_P12ihipStream_tbPNSt15iterator_traitsISN_E10value_typeEPNST_ISO_E10value_typeEPSP_NS1_7vsmem_tEENKUlT_SN_SO_SP_E_clISG_PjSI_PS9_EESM_S12_SN_SO_SP_EUlS12_E_NS1_11comp_targetILNS1_3genE8ELNS1_11target_archE1030ELNS1_3gpuE2ELNS1_3repE0EEENS1_48merge_mergepath_partition_config_static_selectorELNS0_4arch9wavefront6targetE0EEEvSO_.num_named_barrier, 0
	.set _ZN7rocprim17ROCPRIM_400000_NS6detail17trampoline_kernelINS0_14default_configENS1_38merge_sort_block_merge_config_selectorIjN6thrust23THRUST_200600_302600_NS5tupleIffNS6_9null_typeES8_S8_S8_S8_S8_S8_S8_EEEEZZNS1_27merge_sort_block_merge_implIS3_NS6_6detail15normal_iteratorINS6_10device_ptrIjEEEENSD_INSE_IS9_EEEEjNS1_19radix_merge_compareILb0ELb1EjNS0_19identity_decomposerEEEEE10hipError_tT0_T1_T2_jT3_P12ihipStream_tbPNSt15iterator_traitsISN_E10value_typeEPNST_ISO_E10value_typeEPSP_NS1_7vsmem_tEENKUlT_SN_SO_SP_E_clISG_PjSI_PS9_EESM_S12_SN_SO_SP_EUlS12_E_NS1_11comp_targetILNS1_3genE8ELNS1_11target_archE1030ELNS1_3gpuE2ELNS1_3repE0EEENS1_48merge_mergepath_partition_config_static_selectorELNS0_4arch9wavefront6targetE0EEEvSO_.private_seg_size, 0
	.set _ZN7rocprim17ROCPRIM_400000_NS6detail17trampoline_kernelINS0_14default_configENS1_38merge_sort_block_merge_config_selectorIjN6thrust23THRUST_200600_302600_NS5tupleIffNS6_9null_typeES8_S8_S8_S8_S8_S8_S8_EEEEZZNS1_27merge_sort_block_merge_implIS3_NS6_6detail15normal_iteratorINS6_10device_ptrIjEEEENSD_INSE_IS9_EEEEjNS1_19radix_merge_compareILb0ELb1EjNS0_19identity_decomposerEEEEE10hipError_tT0_T1_T2_jT3_P12ihipStream_tbPNSt15iterator_traitsISN_E10value_typeEPNST_ISO_E10value_typeEPSP_NS1_7vsmem_tEENKUlT_SN_SO_SP_E_clISG_PjSI_PS9_EESM_S12_SN_SO_SP_EUlS12_E_NS1_11comp_targetILNS1_3genE8ELNS1_11target_archE1030ELNS1_3gpuE2ELNS1_3repE0EEENS1_48merge_mergepath_partition_config_static_selectorELNS0_4arch9wavefront6targetE0EEEvSO_.uses_vcc, 1
	.set _ZN7rocprim17ROCPRIM_400000_NS6detail17trampoline_kernelINS0_14default_configENS1_38merge_sort_block_merge_config_selectorIjN6thrust23THRUST_200600_302600_NS5tupleIffNS6_9null_typeES8_S8_S8_S8_S8_S8_S8_EEEEZZNS1_27merge_sort_block_merge_implIS3_NS6_6detail15normal_iteratorINS6_10device_ptrIjEEEENSD_INSE_IS9_EEEEjNS1_19radix_merge_compareILb0ELb1EjNS0_19identity_decomposerEEEEE10hipError_tT0_T1_T2_jT3_P12ihipStream_tbPNSt15iterator_traitsISN_E10value_typeEPNST_ISO_E10value_typeEPSP_NS1_7vsmem_tEENKUlT_SN_SO_SP_E_clISG_PjSI_PS9_EESM_S12_SN_SO_SP_EUlS12_E_NS1_11comp_targetILNS1_3genE8ELNS1_11target_archE1030ELNS1_3gpuE2ELNS1_3repE0EEENS1_48merge_mergepath_partition_config_static_selectorELNS0_4arch9wavefront6targetE0EEEvSO_.uses_flat_scratch, 1
	.set _ZN7rocprim17ROCPRIM_400000_NS6detail17trampoline_kernelINS0_14default_configENS1_38merge_sort_block_merge_config_selectorIjN6thrust23THRUST_200600_302600_NS5tupleIffNS6_9null_typeES8_S8_S8_S8_S8_S8_S8_EEEEZZNS1_27merge_sort_block_merge_implIS3_NS6_6detail15normal_iteratorINS6_10device_ptrIjEEEENSD_INSE_IS9_EEEEjNS1_19radix_merge_compareILb0ELb1EjNS0_19identity_decomposerEEEEE10hipError_tT0_T1_T2_jT3_P12ihipStream_tbPNSt15iterator_traitsISN_E10value_typeEPNST_ISO_E10value_typeEPSP_NS1_7vsmem_tEENKUlT_SN_SO_SP_E_clISG_PjSI_PS9_EESM_S12_SN_SO_SP_EUlS12_E_NS1_11comp_targetILNS1_3genE8ELNS1_11target_archE1030ELNS1_3gpuE2ELNS1_3repE0EEENS1_48merge_mergepath_partition_config_static_selectorELNS0_4arch9wavefront6targetE0EEEvSO_.has_dyn_sized_stack, 0
	.set _ZN7rocprim17ROCPRIM_400000_NS6detail17trampoline_kernelINS0_14default_configENS1_38merge_sort_block_merge_config_selectorIjN6thrust23THRUST_200600_302600_NS5tupleIffNS6_9null_typeES8_S8_S8_S8_S8_S8_S8_EEEEZZNS1_27merge_sort_block_merge_implIS3_NS6_6detail15normal_iteratorINS6_10device_ptrIjEEEENSD_INSE_IS9_EEEEjNS1_19radix_merge_compareILb0ELb1EjNS0_19identity_decomposerEEEEE10hipError_tT0_T1_T2_jT3_P12ihipStream_tbPNSt15iterator_traitsISN_E10value_typeEPNST_ISO_E10value_typeEPSP_NS1_7vsmem_tEENKUlT_SN_SO_SP_E_clISG_PjSI_PS9_EESM_S12_SN_SO_SP_EUlS12_E_NS1_11comp_targetILNS1_3genE8ELNS1_11target_archE1030ELNS1_3gpuE2ELNS1_3repE0EEENS1_48merge_mergepath_partition_config_static_selectorELNS0_4arch9wavefront6targetE0EEEvSO_.has_recursion, 0
	.set _ZN7rocprim17ROCPRIM_400000_NS6detail17trampoline_kernelINS0_14default_configENS1_38merge_sort_block_merge_config_selectorIjN6thrust23THRUST_200600_302600_NS5tupleIffNS6_9null_typeES8_S8_S8_S8_S8_S8_S8_EEEEZZNS1_27merge_sort_block_merge_implIS3_NS6_6detail15normal_iteratorINS6_10device_ptrIjEEEENSD_INSE_IS9_EEEEjNS1_19radix_merge_compareILb0ELb1EjNS0_19identity_decomposerEEEEE10hipError_tT0_T1_T2_jT3_P12ihipStream_tbPNSt15iterator_traitsISN_E10value_typeEPNST_ISO_E10value_typeEPSP_NS1_7vsmem_tEENKUlT_SN_SO_SP_E_clISG_PjSI_PS9_EESM_S12_SN_SO_SP_EUlS12_E_NS1_11comp_targetILNS1_3genE8ELNS1_11target_archE1030ELNS1_3gpuE2ELNS1_3repE0EEENS1_48merge_mergepath_partition_config_static_selectorELNS0_4arch9wavefront6targetE0EEEvSO_.has_indirect_call, 0
	.section	.AMDGPU.csdata,"",@progbits
; Kernel info:
; codeLenInByte = 448
; TotalNumSgprs: 10
; NumVgprs: 15
; ScratchSize: 0
; MemoryBound: 0
; FloatMode: 240
; IeeeMode: 1
; LDSByteSize: 0 bytes/workgroup (compile time only)
; SGPRBlocks: 0
; VGPRBlocks: 1
; NumSGPRsForWavesPerEU: 10
; NumVGPRsForWavesPerEU: 15
; Occupancy: 16
; WaveLimiterHint : 0
; COMPUTE_PGM_RSRC2:SCRATCH_EN: 0
; COMPUTE_PGM_RSRC2:USER_SGPR: 6
; COMPUTE_PGM_RSRC2:TRAP_HANDLER: 0
; COMPUTE_PGM_RSRC2:TGID_X_EN: 1
; COMPUTE_PGM_RSRC2:TGID_Y_EN: 0
; COMPUTE_PGM_RSRC2:TGID_Z_EN: 0
; COMPUTE_PGM_RSRC2:TIDIG_COMP_CNT: 0
	.section	.text._ZN7rocprim17ROCPRIM_400000_NS6detail17trampoline_kernelINS0_14default_configENS1_38merge_sort_block_merge_config_selectorIjN6thrust23THRUST_200600_302600_NS5tupleIffNS6_9null_typeES8_S8_S8_S8_S8_S8_S8_EEEEZZNS1_27merge_sort_block_merge_implIS3_NS6_6detail15normal_iteratorINS6_10device_ptrIjEEEENSD_INSE_IS9_EEEEjNS1_19radix_merge_compareILb0ELb1EjNS0_19identity_decomposerEEEEE10hipError_tT0_T1_T2_jT3_P12ihipStream_tbPNSt15iterator_traitsISN_E10value_typeEPNST_ISO_E10value_typeEPSP_NS1_7vsmem_tEENKUlT_SN_SO_SP_E_clISG_PjSI_PS9_EESM_S12_SN_SO_SP_EUlS12_E0_NS1_11comp_targetILNS1_3genE0ELNS1_11target_archE4294967295ELNS1_3gpuE0ELNS1_3repE0EEENS1_38merge_mergepath_config_static_selectorELNS0_4arch9wavefront6targetE0EEEvSO_,"axG",@progbits,_ZN7rocprim17ROCPRIM_400000_NS6detail17trampoline_kernelINS0_14default_configENS1_38merge_sort_block_merge_config_selectorIjN6thrust23THRUST_200600_302600_NS5tupleIffNS6_9null_typeES8_S8_S8_S8_S8_S8_S8_EEEEZZNS1_27merge_sort_block_merge_implIS3_NS6_6detail15normal_iteratorINS6_10device_ptrIjEEEENSD_INSE_IS9_EEEEjNS1_19radix_merge_compareILb0ELb1EjNS0_19identity_decomposerEEEEE10hipError_tT0_T1_T2_jT3_P12ihipStream_tbPNSt15iterator_traitsISN_E10value_typeEPNST_ISO_E10value_typeEPSP_NS1_7vsmem_tEENKUlT_SN_SO_SP_E_clISG_PjSI_PS9_EESM_S12_SN_SO_SP_EUlS12_E0_NS1_11comp_targetILNS1_3genE0ELNS1_11target_archE4294967295ELNS1_3gpuE0ELNS1_3repE0EEENS1_38merge_mergepath_config_static_selectorELNS0_4arch9wavefront6targetE0EEEvSO_,comdat
	.protected	_ZN7rocprim17ROCPRIM_400000_NS6detail17trampoline_kernelINS0_14default_configENS1_38merge_sort_block_merge_config_selectorIjN6thrust23THRUST_200600_302600_NS5tupleIffNS6_9null_typeES8_S8_S8_S8_S8_S8_S8_EEEEZZNS1_27merge_sort_block_merge_implIS3_NS6_6detail15normal_iteratorINS6_10device_ptrIjEEEENSD_INSE_IS9_EEEEjNS1_19radix_merge_compareILb0ELb1EjNS0_19identity_decomposerEEEEE10hipError_tT0_T1_T2_jT3_P12ihipStream_tbPNSt15iterator_traitsISN_E10value_typeEPNST_ISO_E10value_typeEPSP_NS1_7vsmem_tEENKUlT_SN_SO_SP_E_clISG_PjSI_PS9_EESM_S12_SN_SO_SP_EUlS12_E0_NS1_11comp_targetILNS1_3genE0ELNS1_11target_archE4294967295ELNS1_3gpuE0ELNS1_3repE0EEENS1_38merge_mergepath_config_static_selectorELNS0_4arch9wavefront6targetE0EEEvSO_ ; -- Begin function _ZN7rocprim17ROCPRIM_400000_NS6detail17trampoline_kernelINS0_14default_configENS1_38merge_sort_block_merge_config_selectorIjN6thrust23THRUST_200600_302600_NS5tupleIffNS6_9null_typeES8_S8_S8_S8_S8_S8_S8_EEEEZZNS1_27merge_sort_block_merge_implIS3_NS6_6detail15normal_iteratorINS6_10device_ptrIjEEEENSD_INSE_IS9_EEEEjNS1_19radix_merge_compareILb0ELb1EjNS0_19identity_decomposerEEEEE10hipError_tT0_T1_T2_jT3_P12ihipStream_tbPNSt15iterator_traitsISN_E10value_typeEPNST_ISO_E10value_typeEPSP_NS1_7vsmem_tEENKUlT_SN_SO_SP_E_clISG_PjSI_PS9_EESM_S12_SN_SO_SP_EUlS12_E0_NS1_11comp_targetILNS1_3genE0ELNS1_11target_archE4294967295ELNS1_3gpuE0ELNS1_3repE0EEENS1_38merge_mergepath_config_static_selectorELNS0_4arch9wavefront6targetE0EEEvSO_
	.globl	_ZN7rocprim17ROCPRIM_400000_NS6detail17trampoline_kernelINS0_14default_configENS1_38merge_sort_block_merge_config_selectorIjN6thrust23THRUST_200600_302600_NS5tupleIffNS6_9null_typeES8_S8_S8_S8_S8_S8_S8_EEEEZZNS1_27merge_sort_block_merge_implIS3_NS6_6detail15normal_iteratorINS6_10device_ptrIjEEEENSD_INSE_IS9_EEEEjNS1_19radix_merge_compareILb0ELb1EjNS0_19identity_decomposerEEEEE10hipError_tT0_T1_T2_jT3_P12ihipStream_tbPNSt15iterator_traitsISN_E10value_typeEPNST_ISO_E10value_typeEPSP_NS1_7vsmem_tEENKUlT_SN_SO_SP_E_clISG_PjSI_PS9_EESM_S12_SN_SO_SP_EUlS12_E0_NS1_11comp_targetILNS1_3genE0ELNS1_11target_archE4294967295ELNS1_3gpuE0ELNS1_3repE0EEENS1_38merge_mergepath_config_static_selectorELNS0_4arch9wavefront6targetE0EEEvSO_
	.p2align	8
	.type	_ZN7rocprim17ROCPRIM_400000_NS6detail17trampoline_kernelINS0_14default_configENS1_38merge_sort_block_merge_config_selectorIjN6thrust23THRUST_200600_302600_NS5tupleIffNS6_9null_typeES8_S8_S8_S8_S8_S8_S8_EEEEZZNS1_27merge_sort_block_merge_implIS3_NS6_6detail15normal_iteratorINS6_10device_ptrIjEEEENSD_INSE_IS9_EEEEjNS1_19radix_merge_compareILb0ELb1EjNS0_19identity_decomposerEEEEE10hipError_tT0_T1_T2_jT3_P12ihipStream_tbPNSt15iterator_traitsISN_E10value_typeEPNST_ISO_E10value_typeEPSP_NS1_7vsmem_tEENKUlT_SN_SO_SP_E_clISG_PjSI_PS9_EESM_S12_SN_SO_SP_EUlS12_E0_NS1_11comp_targetILNS1_3genE0ELNS1_11target_archE4294967295ELNS1_3gpuE0ELNS1_3repE0EEENS1_38merge_mergepath_config_static_selectorELNS0_4arch9wavefront6targetE0EEEvSO_,@function
_ZN7rocprim17ROCPRIM_400000_NS6detail17trampoline_kernelINS0_14default_configENS1_38merge_sort_block_merge_config_selectorIjN6thrust23THRUST_200600_302600_NS5tupleIffNS6_9null_typeES8_S8_S8_S8_S8_S8_S8_EEEEZZNS1_27merge_sort_block_merge_implIS3_NS6_6detail15normal_iteratorINS6_10device_ptrIjEEEENSD_INSE_IS9_EEEEjNS1_19radix_merge_compareILb0ELb1EjNS0_19identity_decomposerEEEEE10hipError_tT0_T1_T2_jT3_P12ihipStream_tbPNSt15iterator_traitsISN_E10value_typeEPNST_ISO_E10value_typeEPSP_NS1_7vsmem_tEENKUlT_SN_SO_SP_E_clISG_PjSI_PS9_EESM_S12_SN_SO_SP_EUlS12_E0_NS1_11comp_targetILNS1_3genE0ELNS1_11target_archE4294967295ELNS1_3gpuE0ELNS1_3repE0EEENS1_38merge_mergepath_config_static_selectorELNS0_4arch9wavefront6targetE0EEEvSO_: ; @_ZN7rocprim17ROCPRIM_400000_NS6detail17trampoline_kernelINS0_14default_configENS1_38merge_sort_block_merge_config_selectorIjN6thrust23THRUST_200600_302600_NS5tupleIffNS6_9null_typeES8_S8_S8_S8_S8_S8_S8_EEEEZZNS1_27merge_sort_block_merge_implIS3_NS6_6detail15normal_iteratorINS6_10device_ptrIjEEEENSD_INSE_IS9_EEEEjNS1_19radix_merge_compareILb0ELb1EjNS0_19identity_decomposerEEEEE10hipError_tT0_T1_T2_jT3_P12ihipStream_tbPNSt15iterator_traitsISN_E10value_typeEPNST_ISO_E10value_typeEPSP_NS1_7vsmem_tEENKUlT_SN_SO_SP_E_clISG_PjSI_PS9_EESM_S12_SN_SO_SP_EUlS12_E0_NS1_11comp_targetILNS1_3genE0ELNS1_11target_archE4294967295ELNS1_3gpuE0ELNS1_3repE0EEENS1_38merge_mergepath_config_static_selectorELNS0_4arch9wavefront6targetE0EEEvSO_
; %bb.0:
	.section	.rodata,"a",@progbits
	.p2align	6, 0x0
	.amdhsa_kernel _ZN7rocprim17ROCPRIM_400000_NS6detail17trampoline_kernelINS0_14default_configENS1_38merge_sort_block_merge_config_selectorIjN6thrust23THRUST_200600_302600_NS5tupleIffNS6_9null_typeES8_S8_S8_S8_S8_S8_S8_EEEEZZNS1_27merge_sort_block_merge_implIS3_NS6_6detail15normal_iteratorINS6_10device_ptrIjEEEENSD_INSE_IS9_EEEEjNS1_19radix_merge_compareILb0ELb1EjNS0_19identity_decomposerEEEEE10hipError_tT0_T1_T2_jT3_P12ihipStream_tbPNSt15iterator_traitsISN_E10value_typeEPNST_ISO_E10value_typeEPSP_NS1_7vsmem_tEENKUlT_SN_SO_SP_E_clISG_PjSI_PS9_EESM_S12_SN_SO_SP_EUlS12_E0_NS1_11comp_targetILNS1_3genE0ELNS1_11target_archE4294967295ELNS1_3gpuE0ELNS1_3repE0EEENS1_38merge_mergepath_config_static_selectorELNS0_4arch9wavefront6targetE0EEEvSO_
		.amdhsa_group_segment_fixed_size 0
		.amdhsa_private_segment_fixed_size 0
		.amdhsa_kernarg_size 64
		.amdhsa_user_sgpr_count 6
		.amdhsa_user_sgpr_private_segment_buffer 1
		.amdhsa_user_sgpr_dispatch_ptr 0
		.amdhsa_user_sgpr_queue_ptr 0
		.amdhsa_user_sgpr_kernarg_segment_ptr 1
		.amdhsa_user_sgpr_dispatch_id 0
		.amdhsa_user_sgpr_flat_scratch_init 0
		.amdhsa_user_sgpr_private_segment_size 0
		.amdhsa_wavefront_size32 1
		.amdhsa_uses_dynamic_stack 0
		.amdhsa_system_sgpr_private_segment_wavefront_offset 0
		.amdhsa_system_sgpr_workgroup_id_x 1
		.amdhsa_system_sgpr_workgroup_id_y 0
		.amdhsa_system_sgpr_workgroup_id_z 0
		.amdhsa_system_sgpr_workgroup_info 0
		.amdhsa_system_vgpr_workitem_id 0
		.amdhsa_next_free_vgpr 1
		.amdhsa_next_free_sgpr 1
		.amdhsa_reserve_vcc 0
		.amdhsa_reserve_flat_scratch 0
		.amdhsa_float_round_mode_32 0
		.amdhsa_float_round_mode_16_64 0
		.amdhsa_float_denorm_mode_32 3
		.amdhsa_float_denorm_mode_16_64 3
		.amdhsa_dx10_clamp 1
		.amdhsa_ieee_mode 1
		.amdhsa_fp16_overflow 0
		.amdhsa_workgroup_processor_mode 1
		.amdhsa_memory_ordered 1
		.amdhsa_forward_progress 1
		.amdhsa_shared_vgpr_count 0
		.amdhsa_exception_fp_ieee_invalid_op 0
		.amdhsa_exception_fp_denorm_src 0
		.amdhsa_exception_fp_ieee_div_zero 0
		.amdhsa_exception_fp_ieee_overflow 0
		.amdhsa_exception_fp_ieee_underflow 0
		.amdhsa_exception_fp_ieee_inexact 0
		.amdhsa_exception_int_div_zero 0
	.end_amdhsa_kernel
	.section	.text._ZN7rocprim17ROCPRIM_400000_NS6detail17trampoline_kernelINS0_14default_configENS1_38merge_sort_block_merge_config_selectorIjN6thrust23THRUST_200600_302600_NS5tupleIffNS6_9null_typeES8_S8_S8_S8_S8_S8_S8_EEEEZZNS1_27merge_sort_block_merge_implIS3_NS6_6detail15normal_iteratorINS6_10device_ptrIjEEEENSD_INSE_IS9_EEEEjNS1_19radix_merge_compareILb0ELb1EjNS0_19identity_decomposerEEEEE10hipError_tT0_T1_T2_jT3_P12ihipStream_tbPNSt15iterator_traitsISN_E10value_typeEPNST_ISO_E10value_typeEPSP_NS1_7vsmem_tEENKUlT_SN_SO_SP_E_clISG_PjSI_PS9_EESM_S12_SN_SO_SP_EUlS12_E0_NS1_11comp_targetILNS1_3genE0ELNS1_11target_archE4294967295ELNS1_3gpuE0ELNS1_3repE0EEENS1_38merge_mergepath_config_static_selectorELNS0_4arch9wavefront6targetE0EEEvSO_,"axG",@progbits,_ZN7rocprim17ROCPRIM_400000_NS6detail17trampoline_kernelINS0_14default_configENS1_38merge_sort_block_merge_config_selectorIjN6thrust23THRUST_200600_302600_NS5tupleIffNS6_9null_typeES8_S8_S8_S8_S8_S8_S8_EEEEZZNS1_27merge_sort_block_merge_implIS3_NS6_6detail15normal_iteratorINS6_10device_ptrIjEEEENSD_INSE_IS9_EEEEjNS1_19radix_merge_compareILb0ELb1EjNS0_19identity_decomposerEEEEE10hipError_tT0_T1_T2_jT3_P12ihipStream_tbPNSt15iterator_traitsISN_E10value_typeEPNST_ISO_E10value_typeEPSP_NS1_7vsmem_tEENKUlT_SN_SO_SP_E_clISG_PjSI_PS9_EESM_S12_SN_SO_SP_EUlS12_E0_NS1_11comp_targetILNS1_3genE0ELNS1_11target_archE4294967295ELNS1_3gpuE0ELNS1_3repE0EEENS1_38merge_mergepath_config_static_selectorELNS0_4arch9wavefront6targetE0EEEvSO_,comdat
.Lfunc_end123:
	.size	_ZN7rocprim17ROCPRIM_400000_NS6detail17trampoline_kernelINS0_14default_configENS1_38merge_sort_block_merge_config_selectorIjN6thrust23THRUST_200600_302600_NS5tupleIffNS6_9null_typeES8_S8_S8_S8_S8_S8_S8_EEEEZZNS1_27merge_sort_block_merge_implIS3_NS6_6detail15normal_iteratorINS6_10device_ptrIjEEEENSD_INSE_IS9_EEEEjNS1_19radix_merge_compareILb0ELb1EjNS0_19identity_decomposerEEEEE10hipError_tT0_T1_T2_jT3_P12ihipStream_tbPNSt15iterator_traitsISN_E10value_typeEPNST_ISO_E10value_typeEPSP_NS1_7vsmem_tEENKUlT_SN_SO_SP_E_clISG_PjSI_PS9_EESM_S12_SN_SO_SP_EUlS12_E0_NS1_11comp_targetILNS1_3genE0ELNS1_11target_archE4294967295ELNS1_3gpuE0ELNS1_3repE0EEENS1_38merge_mergepath_config_static_selectorELNS0_4arch9wavefront6targetE0EEEvSO_, .Lfunc_end123-_ZN7rocprim17ROCPRIM_400000_NS6detail17trampoline_kernelINS0_14default_configENS1_38merge_sort_block_merge_config_selectorIjN6thrust23THRUST_200600_302600_NS5tupleIffNS6_9null_typeES8_S8_S8_S8_S8_S8_S8_EEEEZZNS1_27merge_sort_block_merge_implIS3_NS6_6detail15normal_iteratorINS6_10device_ptrIjEEEENSD_INSE_IS9_EEEEjNS1_19radix_merge_compareILb0ELb1EjNS0_19identity_decomposerEEEEE10hipError_tT0_T1_T2_jT3_P12ihipStream_tbPNSt15iterator_traitsISN_E10value_typeEPNST_ISO_E10value_typeEPSP_NS1_7vsmem_tEENKUlT_SN_SO_SP_E_clISG_PjSI_PS9_EESM_S12_SN_SO_SP_EUlS12_E0_NS1_11comp_targetILNS1_3genE0ELNS1_11target_archE4294967295ELNS1_3gpuE0ELNS1_3repE0EEENS1_38merge_mergepath_config_static_selectorELNS0_4arch9wavefront6targetE0EEEvSO_
                                        ; -- End function
	.set _ZN7rocprim17ROCPRIM_400000_NS6detail17trampoline_kernelINS0_14default_configENS1_38merge_sort_block_merge_config_selectorIjN6thrust23THRUST_200600_302600_NS5tupleIffNS6_9null_typeES8_S8_S8_S8_S8_S8_S8_EEEEZZNS1_27merge_sort_block_merge_implIS3_NS6_6detail15normal_iteratorINS6_10device_ptrIjEEEENSD_INSE_IS9_EEEEjNS1_19radix_merge_compareILb0ELb1EjNS0_19identity_decomposerEEEEE10hipError_tT0_T1_T2_jT3_P12ihipStream_tbPNSt15iterator_traitsISN_E10value_typeEPNST_ISO_E10value_typeEPSP_NS1_7vsmem_tEENKUlT_SN_SO_SP_E_clISG_PjSI_PS9_EESM_S12_SN_SO_SP_EUlS12_E0_NS1_11comp_targetILNS1_3genE0ELNS1_11target_archE4294967295ELNS1_3gpuE0ELNS1_3repE0EEENS1_38merge_mergepath_config_static_selectorELNS0_4arch9wavefront6targetE0EEEvSO_.num_vgpr, 0
	.set _ZN7rocprim17ROCPRIM_400000_NS6detail17trampoline_kernelINS0_14default_configENS1_38merge_sort_block_merge_config_selectorIjN6thrust23THRUST_200600_302600_NS5tupleIffNS6_9null_typeES8_S8_S8_S8_S8_S8_S8_EEEEZZNS1_27merge_sort_block_merge_implIS3_NS6_6detail15normal_iteratorINS6_10device_ptrIjEEEENSD_INSE_IS9_EEEEjNS1_19radix_merge_compareILb0ELb1EjNS0_19identity_decomposerEEEEE10hipError_tT0_T1_T2_jT3_P12ihipStream_tbPNSt15iterator_traitsISN_E10value_typeEPNST_ISO_E10value_typeEPSP_NS1_7vsmem_tEENKUlT_SN_SO_SP_E_clISG_PjSI_PS9_EESM_S12_SN_SO_SP_EUlS12_E0_NS1_11comp_targetILNS1_3genE0ELNS1_11target_archE4294967295ELNS1_3gpuE0ELNS1_3repE0EEENS1_38merge_mergepath_config_static_selectorELNS0_4arch9wavefront6targetE0EEEvSO_.num_agpr, 0
	.set _ZN7rocprim17ROCPRIM_400000_NS6detail17trampoline_kernelINS0_14default_configENS1_38merge_sort_block_merge_config_selectorIjN6thrust23THRUST_200600_302600_NS5tupleIffNS6_9null_typeES8_S8_S8_S8_S8_S8_S8_EEEEZZNS1_27merge_sort_block_merge_implIS3_NS6_6detail15normal_iteratorINS6_10device_ptrIjEEEENSD_INSE_IS9_EEEEjNS1_19radix_merge_compareILb0ELb1EjNS0_19identity_decomposerEEEEE10hipError_tT0_T1_T2_jT3_P12ihipStream_tbPNSt15iterator_traitsISN_E10value_typeEPNST_ISO_E10value_typeEPSP_NS1_7vsmem_tEENKUlT_SN_SO_SP_E_clISG_PjSI_PS9_EESM_S12_SN_SO_SP_EUlS12_E0_NS1_11comp_targetILNS1_3genE0ELNS1_11target_archE4294967295ELNS1_3gpuE0ELNS1_3repE0EEENS1_38merge_mergepath_config_static_selectorELNS0_4arch9wavefront6targetE0EEEvSO_.numbered_sgpr, 0
	.set _ZN7rocprim17ROCPRIM_400000_NS6detail17trampoline_kernelINS0_14default_configENS1_38merge_sort_block_merge_config_selectorIjN6thrust23THRUST_200600_302600_NS5tupleIffNS6_9null_typeES8_S8_S8_S8_S8_S8_S8_EEEEZZNS1_27merge_sort_block_merge_implIS3_NS6_6detail15normal_iteratorINS6_10device_ptrIjEEEENSD_INSE_IS9_EEEEjNS1_19radix_merge_compareILb0ELb1EjNS0_19identity_decomposerEEEEE10hipError_tT0_T1_T2_jT3_P12ihipStream_tbPNSt15iterator_traitsISN_E10value_typeEPNST_ISO_E10value_typeEPSP_NS1_7vsmem_tEENKUlT_SN_SO_SP_E_clISG_PjSI_PS9_EESM_S12_SN_SO_SP_EUlS12_E0_NS1_11comp_targetILNS1_3genE0ELNS1_11target_archE4294967295ELNS1_3gpuE0ELNS1_3repE0EEENS1_38merge_mergepath_config_static_selectorELNS0_4arch9wavefront6targetE0EEEvSO_.num_named_barrier, 0
	.set _ZN7rocprim17ROCPRIM_400000_NS6detail17trampoline_kernelINS0_14default_configENS1_38merge_sort_block_merge_config_selectorIjN6thrust23THRUST_200600_302600_NS5tupleIffNS6_9null_typeES8_S8_S8_S8_S8_S8_S8_EEEEZZNS1_27merge_sort_block_merge_implIS3_NS6_6detail15normal_iteratorINS6_10device_ptrIjEEEENSD_INSE_IS9_EEEEjNS1_19radix_merge_compareILb0ELb1EjNS0_19identity_decomposerEEEEE10hipError_tT0_T1_T2_jT3_P12ihipStream_tbPNSt15iterator_traitsISN_E10value_typeEPNST_ISO_E10value_typeEPSP_NS1_7vsmem_tEENKUlT_SN_SO_SP_E_clISG_PjSI_PS9_EESM_S12_SN_SO_SP_EUlS12_E0_NS1_11comp_targetILNS1_3genE0ELNS1_11target_archE4294967295ELNS1_3gpuE0ELNS1_3repE0EEENS1_38merge_mergepath_config_static_selectorELNS0_4arch9wavefront6targetE0EEEvSO_.private_seg_size, 0
	.set _ZN7rocprim17ROCPRIM_400000_NS6detail17trampoline_kernelINS0_14default_configENS1_38merge_sort_block_merge_config_selectorIjN6thrust23THRUST_200600_302600_NS5tupleIffNS6_9null_typeES8_S8_S8_S8_S8_S8_S8_EEEEZZNS1_27merge_sort_block_merge_implIS3_NS6_6detail15normal_iteratorINS6_10device_ptrIjEEEENSD_INSE_IS9_EEEEjNS1_19radix_merge_compareILb0ELb1EjNS0_19identity_decomposerEEEEE10hipError_tT0_T1_T2_jT3_P12ihipStream_tbPNSt15iterator_traitsISN_E10value_typeEPNST_ISO_E10value_typeEPSP_NS1_7vsmem_tEENKUlT_SN_SO_SP_E_clISG_PjSI_PS9_EESM_S12_SN_SO_SP_EUlS12_E0_NS1_11comp_targetILNS1_3genE0ELNS1_11target_archE4294967295ELNS1_3gpuE0ELNS1_3repE0EEENS1_38merge_mergepath_config_static_selectorELNS0_4arch9wavefront6targetE0EEEvSO_.uses_vcc, 0
	.set _ZN7rocprim17ROCPRIM_400000_NS6detail17trampoline_kernelINS0_14default_configENS1_38merge_sort_block_merge_config_selectorIjN6thrust23THRUST_200600_302600_NS5tupleIffNS6_9null_typeES8_S8_S8_S8_S8_S8_S8_EEEEZZNS1_27merge_sort_block_merge_implIS3_NS6_6detail15normal_iteratorINS6_10device_ptrIjEEEENSD_INSE_IS9_EEEEjNS1_19radix_merge_compareILb0ELb1EjNS0_19identity_decomposerEEEEE10hipError_tT0_T1_T2_jT3_P12ihipStream_tbPNSt15iterator_traitsISN_E10value_typeEPNST_ISO_E10value_typeEPSP_NS1_7vsmem_tEENKUlT_SN_SO_SP_E_clISG_PjSI_PS9_EESM_S12_SN_SO_SP_EUlS12_E0_NS1_11comp_targetILNS1_3genE0ELNS1_11target_archE4294967295ELNS1_3gpuE0ELNS1_3repE0EEENS1_38merge_mergepath_config_static_selectorELNS0_4arch9wavefront6targetE0EEEvSO_.uses_flat_scratch, 0
	.set _ZN7rocprim17ROCPRIM_400000_NS6detail17trampoline_kernelINS0_14default_configENS1_38merge_sort_block_merge_config_selectorIjN6thrust23THRUST_200600_302600_NS5tupleIffNS6_9null_typeES8_S8_S8_S8_S8_S8_S8_EEEEZZNS1_27merge_sort_block_merge_implIS3_NS6_6detail15normal_iteratorINS6_10device_ptrIjEEEENSD_INSE_IS9_EEEEjNS1_19radix_merge_compareILb0ELb1EjNS0_19identity_decomposerEEEEE10hipError_tT0_T1_T2_jT3_P12ihipStream_tbPNSt15iterator_traitsISN_E10value_typeEPNST_ISO_E10value_typeEPSP_NS1_7vsmem_tEENKUlT_SN_SO_SP_E_clISG_PjSI_PS9_EESM_S12_SN_SO_SP_EUlS12_E0_NS1_11comp_targetILNS1_3genE0ELNS1_11target_archE4294967295ELNS1_3gpuE0ELNS1_3repE0EEENS1_38merge_mergepath_config_static_selectorELNS0_4arch9wavefront6targetE0EEEvSO_.has_dyn_sized_stack, 0
	.set _ZN7rocprim17ROCPRIM_400000_NS6detail17trampoline_kernelINS0_14default_configENS1_38merge_sort_block_merge_config_selectorIjN6thrust23THRUST_200600_302600_NS5tupleIffNS6_9null_typeES8_S8_S8_S8_S8_S8_S8_EEEEZZNS1_27merge_sort_block_merge_implIS3_NS6_6detail15normal_iteratorINS6_10device_ptrIjEEEENSD_INSE_IS9_EEEEjNS1_19radix_merge_compareILb0ELb1EjNS0_19identity_decomposerEEEEE10hipError_tT0_T1_T2_jT3_P12ihipStream_tbPNSt15iterator_traitsISN_E10value_typeEPNST_ISO_E10value_typeEPSP_NS1_7vsmem_tEENKUlT_SN_SO_SP_E_clISG_PjSI_PS9_EESM_S12_SN_SO_SP_EUlS12_E0_NS1_11comp_targetILNS1_3genE0ELNS1_11target_archE4294967295ELNS1_3gpuE0ELNS1_3repE0EEENS1_38merge_mergepath_config_static_selectorELNS0_4arch9wavefront6targetE0EEEvSO_.has_recursion, 0
	.set _ZN7rocprim17ROCPRIM_400000_NS6detail17trampoline_kernelINS0_14default_configENS1_38merge_sort_block_merge_config_selectorIjN6thrust23THRUST_200600_302600_NS5tupleIffNS6_9null_typeES8_S8_S8_S8_S8_S8_S8_EEEEZZNS1_27merge_sort_block_merge_implIS3_NS6_6detail15normal_iteratorINS6_10device_ptrIjEEEENSD_INSE_IS9_EEEEjNS1_19radix_merge_compareILb0ELb1EjNS0_19identity_decomposerEEEEE10hipError_tT0_T1_T2_jT3_P12ihipStream_tbPNSt15iterator_traitsISN_E10value_typeEPNST_ISO_E10value_typeEPSP_NS1_7vsmem_tEENKUlT_SN_SO_SP_E_clISG_PjSI_PS9_EESM_S12_SN_SO_SP_EUlS12_E0_NS1_11comp_targetILNS1_3genE0ELNS1_11target_archE4294967295ELNS1_3gpuE0ELNS1_3repE0EEENS1_38merge_mergepath_config_static_selectorELNS0_4arch9wavefront6targetE0EEEvSO_.has_indirect_call, 0
	.section	.AMDGPU.csdata,"",@progbits
; Kernel info:
; codeLenInByte = 0
; TotalNumSgprs: 0
; NumVgprs: 0
; ScratchSize: 0
; MemoryBound: 0
; FloatMode: 240
; IeeeMode: 1
; LDSByteSize: 0 bytes/workgroup (compile time only)
; SGPRBlocks: 0
; VGPRBlocks: 0
; NumSGPRsForWavesPerEU: 1
; NumVGPRsForWavesPerEU: 1
; Occupancy: 16
; WaveLimiterHint : 0
; COMPUTE_PGM_RSRC2:SCRATCH_EN: 0
; COMPUTE_PGM_RSRC2:USER_SGPR: 6
; COMPUTE_PGM_RSRC2:TRAP_HANDLER: 0
; COMPUTE_PGM_RSRC2:TGID_X_EN: 1
; COMPUTE_PGM_RSRC2:TGID_Y_EN: 0
; COMPUTE_PGM_RSRC2:TGID_Z_EN: 0
; COMPUTE_PGM_RSRC2:TIDIG_COMP_CNT: 0
	.section	.text._ZN7rocprim17ROCPRIM_400000_NS6detail17trampoline_kernelINS0_14default_configENS1_38merge_sort_block_merge_config_selectorIjN6thrust23THRUST_200600_302600_NS5tupleIffNS6_9null_typeES8_S8_S8_S8_S8_S8_S8_EEEEZZNS1_27merge_sort_block_merge_implIS3_NS6_6detail15normal_iteratorINS6_10device_ptrIjEEEENSD_INSE_IS9_EEEEjNS1_19radix_merge_compareILb0ELb1EjNS0_19identity_decomposerEEEEE10hipError_tT0_T1_T2_jT3_P12ihipStream_tbPNSt15iterator_traitsISN_E10value_typeEPNST_ISO_E10value_typeEPSP_NS1_7vsmem_tEENKUlT_SN_SO_SP_E_clISG_PjSI_PS9_EESM_S12_SN_SO_SP_EUlS12_E0_NS1_11comp_targetILNS1_3genE10ELNS1_11target_archE1201ELNS1_3gpuE5ELNS1_3repE0EEENS1_38merge_mergepath_config_static_selectorELNS0_4arch9wavefront6targetE0EEEvSO_,"axG",@progbits,_ZN7rocprim17ROCPRIM_400000_NS6detail17trampoline_kernelINS0_14default_configENS1_38merge_sort_block_merge_config_selectorIjN6thrust23THRUST_200600_302600_NS5tupleIffNS6_9null_typeES8_S8_S8_S8_S8_S8_S8_EEEEZZNS1_27merge_sort_block_merge_implIS3_NS6_6detail15normal_iteratorINS6_10device_ptrIjEEEENSD_INSE_IS9_EEEEjNS1_19radix_merge_compareILb0ELb1EjNS0_19identity_decomposerEEEEE10hipError_tT0_T1_T2_jT3_P12ihipStream_tbPNSt15iterator_traitsISN_E10value_typeEPNST_ISO_E10value_typeEPSP_NS1_7vsmem_tEENKUlT_SN_SO_SP_E_clISG_PjSI_PS9_EESM_S12_SN_SO_SP_EUlS12_E0_NS1_11comp_targetILNS1_3genE10ELNS1_11target_archE1201ELNS1_3gpuE5ELNS1_3repE0EEENS1_38merge_mergepath_config_static_selectorELNS0_4arch9wavefront6targetE0EEEvSO_,comdat
	.protected	_ZN7rocprim17ROCPRIM_400000_NS6detail17trampoline_kernelINS0_14default_configENS1_38merge_sort_block_merge_config_selectorIjN6thrust23THRUST_200600_302600_NS5tupleIffNS6_9null_typeES8_S8_S8_S8_S8_S8_S8_EEEEZZNS1_27merge_sort_block_merge_implIS3_NS6_6detail15normal_iteratorINS6_10device_ptrIjEEEENSD_INSE_IS9_EEEEjNS1_19radix_merge_compareILb0ELb1EjNS0_19identity_decomposerEEEEE10hipError_tT0_T1_T2_jT3_P12ihipStream_tbPNSt15iterator_traitsISN_E10value_typeEPNST_ISO_E10value_typeEPSP_NS1_7vsmem_tEENKUlT_SN_SO_SP_E_clISG_PjSI_PS9_EESM_S12_SN_SO_SP_EUlS12_E0_NS1_11comp_targetILNS1_3genE10ELNS1_11target_archE1201ELNS1_3gpuE5ELNS1_3repE0EEENS1_38merge_mergepath_config_static_selectorELNS0_4arch9wavefront6targetE0EEEvSO_ ; -- Begin function _ZN7rocprim17ROCPRIM_400000_NS6detail17trampoline_kernelINS0_14default_configENS1_38merge_sort_block_merge_config_selectorIjN6thrust23THRUST_200600_302600_NS5tupleIffNS6_9null_typeES8_S8_S8_S8_S8_S8_S8_EEEEZZNS1_27merge_sort_block_merge_implIS3_NS6_6detail15normal_iteratorINS6_10device_ptrIjEEEENSD_INSE_IS9_EEEEjNS1_19radix_merge_compareILb0ELb1EjNS0_19identity_decomposerEEEEE10hipError_tT0_T1_T2_jT3_P12ihipStream_tbPNSt15iterator_traitsISN_E10value_typeEPNST_ISO_E10value_typeEPSP_NS1_7vsmem_tEENKUlT_SN_SO_SP_E_clISG_PjSI_PS9_EESM_S12_SN_SO_SP_EUlS12_E0_NS1_11comp_targetILNS1_3genE10ELNS1_11target_archE1201ELNS1_3gpuE5ELNS1_3repE0EEENS1_38merge_mergepath_config_static_selectorELNS0_4arch9wavefront6targetE0EEEvSO_
	.globl	_ZN7rocprim17ROCPRIM_400000_NS6detail17trampoline_kernelINS0_14default_configENS1_38merge_sort_block_merge_config_selectorIjN6thrust23THRUST_200600_302600_NS5tupleIffNS6_9null_typeES8_S8_S8_S8_S8_S8_S8_EEEEZZNS1_27merge_sort_block_merge_implIS3_NS6_6detail15normal_iteratorINS6_10device_ptrIjEEEENSD_INSE_IS9_EEEEjNS1_19radix_merge_compareILb0ELb1EjNS0_19identity_decomposerEEEEE10hipError_tT0_T1_T2_jT3_P12ihipStream_tbPNSt15iterator_traitsISN_E10value_typeEPNST_ISO_E10value_typeEPSP_NS1_7vsmem_tEENKUlT_SN_SO_SP_E_clISG_PjSI_PS9_EESM_S12_SN_SO_SP_EUlS12_E0_NS1_11comp_targetILNS1_3genE10ELNS1_11target_archE1201ELNS1_3gpuE5ELNS1_3repE0EEENS1_38merge_mergepath_config_static_selectorELNS0_4arch9wavefront6targetE0EEEvSO_
	.p2align	8
	.type	_ZN7rocprim17ROCPRIM_400000_NS6detail17trampoline_kernelINS0_14default_configENS1_38merge_sort_block_merge_config_selectorIjN6thrust23THRUST_200600_302600_NS5tupleIffNS6_9null_typeES8_S8_S8_S8_S8_S8_S8_EEEEZZNS1_27merge_sort_block_merge_implIS3_NS6_6detail15normal_iteratorINS6_10device_ptrIjEEEENSD_INSE_IS9_EEEEjNS1_19radix_merge_compareILb0ELb1EjNS0_19identity_decomposerEEEEE10hipError_tT0_T1_T2_jT3_P12ihipStream_tbPNSt15iterator_traitsISN_E10value_typeEPNST_ISO_E10value_typeEPSP_NS1_7vsmem_tEENKUlT_SN_SO_SP_E_clISG_PjSI_PS9_EESM_S12_SN_SO_SP_EUlS12_E0_NS1_11comp_targetILNS1_3genE10ELNS1_11target_archE1201ELNS1_3gpuE5ELNS1_3repE0EEENS1_38merge_mergepath_config_static_selectorELNS0_4arch9wavefront6targetE0EEEvSO_,@function
_ZN7rocprim17ROCPRIM_400000_NS6detail17trampoline_kernelINS0_14default_configENS1_38merge_sort_block_merge_config_selectorIjN6thrust23THRUST_200600_302600_NS5tupleIffNS6_9null_typeES8_S8_S8_S8_S8_S8_S8_EEEEZZNS1_27merge_sort_block_merge_implIS3_NS6_6detail15normal_iteratorINS6_10device_ptrIjEEEENSD_INSE_IS9_EEEEjNS1_19radix_merge_compareILb0ELb1EjNS0_19identity_decomposerEEEEE10hipError_tT0_T1_T2_jT3_P12ihipStream_tbPNSt15iterator_traitsISN_E10value_typeEPNST_ISO_E10value_typeEPSP_NS1_7vsmem_tEENKUlT_SN_SO_SP_E_clISG_PjSI_PS9_EESM_S12_SN_SO_SP_EUlS12_E0_NS1_11comp_targetILNS1_3genE10ELNS1_11target_archE1201ELNS1_3gpuE5ELNS1_3repE0EEENS1_38merge_mergepath_config_static_selectorELNS0_4arch9wavefront6targetE0EEEvSO_: ; @_ZN7rocprim17ROCPRIM_400000_NS6detail17trampoline_kernelINS0_14default_configENS1_38merge_sort_block_merge_config_selectorIjN6thrust23THRUST_200600_302600_NS5tupleIffNS6_9null_typeES8_S8_S8_S8_S8_S8_S8_EEEEZZNS1_27merge_sort_block_merge_implIS3_NS6_6detail15normal_iteratorINS6_10device_ptrIjEEEENSD_INSE_IS9_EEEEjNS1_19radix_merge_compareILb0ELb1EjNS0_19identity_decomposerEEEEE10hipError_tT0_T1_T2_jT3_P12ihipStream_tbPNSt15iterator_traitsISN_E10value_typeEPNST_ISO_E10value_typeEPSP_NS1_7vsmem_tEENKUlT_SN_SO_SP_E_clISG_PjSI_PS9_EESM_S12_SN_SO_SP_EUlS12_E0_NS1_11comp_targetILNS1_3genE10ELNS1_11target_archE1201ELNS1_3gpuE5ELNS1_3repE0EEENS1_38merge_mergepath_config_static_selectorELNS0_4arch9wavefront6targetE0EEEvSO_
; %bb.0:
	.section	.rodata,"a",@progbits
	.p2align	6, 0x0
	.amdhsa_kernel _ZN7rocprim17ROCPRIM_400000_NS6detail17trampoline_kernelINS0_14default_configENS1_38merge_sort_block_merge_config_selectorIjN6thrust23THRUST_200600_302600_NS5tupleIffNS6_9null_typeES8_S8_S8_S8_S8_S8_S8_EEEEZZNS1_27merge_sort_block_merge_implIS3_NS6_6detail15normal_iteratorINS6_10device_ptrIjEEEENSD_INSE_IS9_EEEEjNS1_19radix_merge_compareILb0ELb1EjNS0_19identity_decomposerEEEEE10hipError_tT0_T1_T2_jT3_P12ihipStream_tbPNSt15iterator_traitsISN_E10value_typeEPNST_ISO_E10value_typeEPSP_NS1_7vsmem_tEENKUlT_SN_SO_SP_E_clISG_PjSI_PS9_EESM_S12_SN_SO_SP_EUlS12_E0_NS1_11comp_targetILNS1_3genE10ELNS1_11target_archE1201ELNS1_3gpuE5ELNS1_3repE0EEENS1_38merge_mergepath_config_static_selectorELNS0_4arch9wavefront6targetE0EEEvSO_
		.amdhsa_group_segment_fixed_size 0
		.amdhsa_private_segment_fixed_size 0
		.amdhsa_kernarg_size 64
		.amdhsa_user_sgpr_count 6
		.amdhsa_user_sgpr_private_segment_buffer 1
		.amdhsa_user_sgpr_dispatch_ptr 0
		.amdhsa_user_sgpr_queue_ptr 0
		.amdhsa_user_sgpr_kernarg_segment_ptr 1
		.amdhsa_user_sgpr_dispatch_id 0
		.amdhsa_user_sgpr_flat_scratch_init 0
		.amdhsa_user_sgpr_private_segment_size 0
		.amdhsa_wavefront_size32 1
		.amdhsa_uses_dynamic_stack 0
		.amdhsa_system_sgpr_private_segment_wavefront_offset 0
		.amdhsa_system_sgpr_workgroup_id_x 1
		.amdhsa_system_sgpr_workgroup_id_y 0
		.amdhsa_system_sgpr_workgroup_id_z 0
		.amdhsa_system_sgpr_workgroup_info 0
		.amdhsa_system_vgpr_workitem_id 0
		.amdhsa_next_free_vgpr 1
		.amdhsa_next_free_sgpr 1
		.amdhsa_reserve_vcc 0
		.amdhsa_reserve_flat_scratch 0
		.amdhsa_float_round_mode_32 0
		.amdhsa_float_round_mode_16_64 0
		.amdhsa_float_denorm_mode_32 3
		.amdhsa_float_denorm_mode_16_64 3
		.amdhsa_dx10_clamp 1
		.amdhsa_ieee_mode 1
		.amdhsa_fp16_overflow 0
		.amdhsa_workgroup_processor_mode 1
		.amdhsa_memory_ordered 1
		.amdhsa_forward_progress 1
		.amdhsa_shared_vgpr_count 0
		.amdhsa_exception_fp_ieee_invalid_op 0
		.amdhsa_exception_fp_denorm_src 0
		.amdhsa_exception_fp_ieee_div_zero 0
		.amdhsa_exception_fp_ieee_overflow 0
		.amdhsa_exception_fp_ieee_underflow 0
		.amdhsa_exception_fp_ieee_inexact 0
		.amdhsa_exception_int_div_zero 0
	.end_amdhsa_kernel
	.section	.text._ZN7rocprim17ROCPRIM_400000_NS6detail17trampoline_kernelINS0_14default_configENS1_38merge_sort_block_merge_config_selectorIjN6thrust23THRUST_200600_302600_NS5tupleIffNS6_9null_typeES8_S8_S8_S8_S8_S8_S8_EEEEZZNS1_27merge_sort_block_merge_implIS3_NS6_6detail15normal_iteratorINS6_10device_ptrIjEEEENSD_INSE_IS9_EEEEjNS1_19radix_merge_compareILb0ELb1EjNS0_19identity_decomposerEEEEE10hipError_tT0_T1_T2_jT3_P12ihipStream_tbPNSt15iterator_traitsISN_E10value_typeEPNST_ISO_E10value_typeEPSP_NS1_7vsmem_tEENKUlT_SN_SO_SP_E_clISG_PjSI_PS9_EESM_S12_SN_SO_SP_EUlS12_E0_NS1_11comp_targetILNS1_3genE10ELNS1_11target_archE1201ELNS1_3gpuE5ELNS1_3repE0EEENS1_38merge_mergepath_config_static_selectorELNS0_4arch9wavefront6targetE0EEEvSO_,"axG",@progbits,_ZN7rocprim17ROCPRIM_400000_NS6detail17trampoline_kernelINS0_14default_configENS1_38merge_sort_block_merge_config_selectorIjN6thrust23THRUST_200600_302600_NS5tupleIffNS6_9null_typeES8_S8_S8_S8_S8_S8_S8_EEEEZZNS1_27merge_sort_block_merge_implIS3_NS6_6detail15normal_iteratorINS6_10device_ptrIjEEEENSD_INSE_IS9_EEEEjNS1_19radix_merge_compareILb0ELb1EjNS0_19identity_decomposerEEEEE10hipError_tT0_T1_T2_jT3_P12ihipStream_tbPNSt15iterator_traitsISN_E10value_typeEPNST_ISO_E10value_typeEPSP_NS1_7vsmem_tEENKUlT_SN_SO_SP_E_clISG_PjSI_PS9_EESM_S12_SN_SO_SP_EUlS12_E0_NS1_11comp_targetILNS1_3genE10ELNS1_11target_archE1201ELNS1_3gpuE5ELNS1_3repE0EEENS1_38merge_mergepath_config_static_selectorELNS0_4arch9wavefront6targetE0EEEvSO_,comdat
.Lfunc_end124:
	.size	_ZN7rocprim17ROCPRIM_400000_NS6detail17trampoline_kernelINS0_14default_configENS1_38merge_sort_block_merge_config_selectorIjN6thrust23THRUST_200600_302600_NS5tupleIffNS6_9null_typeES8_S8_S8_S8_S8_S8_S8_EEEEZZNS1_27merge_sort_block_merge_implIS3_NS6_6detail15normal_iteratorINS6_10device_ptrIjEEEENSD_INSE_IS9_EEEEjNS1_19radix_merge_compareILb0ELb1EjNS0_19identity_decomposerEEEEE10hipError_tT0_T1_T2_jT3_P12ihipStream_tbPNSt15iterator_traitsISN_E10value_typeEPNST_ISO_E10value_typeEPSP_NS1_7vsmem_tEENKUlT_SN_SO_SP_E_clISG_PjSI_PS9_EESM_S12_SN_SO_SP_EUlS12_E0_NS1_11comp_targetILNS1_3genE10ELNS1_11target_archE1201ELNS1_3gpuE5ELNS1_3repE0EEENS1_38merge_mergepath_config_static_selectorELNS0_4arch9wavefront6targetE0EEEvSO_, .Lfunc_end124-_ZN7rocprim17ROCPRIM_400000_NS6detail17trampoline_kernelINS0_14default_configENS1_38merge_sort_block_merge_config_selectorIjN6thrust23THRUST_200600_302600_NS5tupleIffNS6_9null_typeES8_S8_S8_S8_S8_S8_S8_EEEEZZNS1_27merge_sort_block_merge_implIS3_NS6_6detail15normal_iteratorINS6_10device_ptrIjEEEENSD_INSE_IS9_EEEEjNS1_19radix_merge_compareILb0ELb1EjNS0_19identity_decomposerEEEEE10hipError_tT0_T1_T2_jT3_P12ihipStream_tbPNSt15iterator_traitsISN_E10value_typeEPNST_ISO_E10value_typeEPSP_NS1_7vsmem_tEENKUlT_SN_SO_SP_E_clISG_PjSI_PS9_EESM_S12_SN_SO_SP_EUlS12_E0_NS1_11comp_targetILNS1_3genE10ELNS1_11target_archE1201ELNS1_3gpuE5ELNS1_3repE0EEENS1_38merge_mergepath_config_static_selectorELNS0_4arch9wavefront6targetE0EEEvSO_
                                        ; -- End function
	.set _ZN7rocprim17ROCPRIM_400000_NS6detail17trampoline_kernelINS0_14default_configENS1_38merge_sort_block_merge_config_selectorIjN6thrust23THRUST_200600_302600_NS5tupleIffNS6_9null_typeES8_S8_S8_S8_S8_S8_S8_EEEEZZNS1_27merge_sort_block_merge_implIS3_NS6_6detail15normal_iteratorINS6_10device_ptrIjEEEENSD_INSE_IS9_EEEEjNS1_19radix_merge_compareILb0ELb1EjNS0_19identity_decomposerEEEEE10hipError_tT0_T1_T2_jT3_P12ihipStream_tbPNSt15iterator_traitsISN_E10value_typeEPNST_ISO_E10value_typeEPSP_NS1_7vsmem_tEENKUlT_SN_SO_SP_E_clISG_PjSI_PS9_EESM_S12_SN_SO_SP_EUlS12_E0_NS1_11comp_targetILNS1_3genE10ELNS1_11target_archE1201ELNS1_3gpuE5ELNS1_3repE0EEENS1_38merge_mergepath_config_static_selectorELNS0_4arch9wavefront6targetE0EEEvSO_.num_vgpr, 0
	.set _ZN7rocprim17ROCPRIM_400000_NS6detail17trampoline_kernelINS0_14default_configENS1_38merge_sort_block_merge_config_selectorIjN6thrust23THRUST_200600_302600_NS5tupleIffNS6_9null_typeES8_S8_S8_S8_S8_S8_S8_EEEEZZNS1_27merge_sort_block_merge_implIS3_NS6_6detail15normal_iteratorINS6_10device_ptrIjEEEENSD_INSE_IS9_EEEEjNS1_19radix_merge_compareILb0ELb1EjNS0_19identity_decomposerEEEEE10hipError_tT0_T1_T2_jT3_P12ihipStream_tbPNSt15iterator_traitsISN_E10value_typeEPNST_ISO_E10value_typeEPSP_NS1_7vsmem_tEENKUlT_SN_SO_SP_E_clISG_PjSI_PS9_EESM_S12_SN_SO_SP_EUlS12_E0_NS1_11comp_targetILNS1_3genE10ELNS1_11target_archE1201ELNS1_3gpuE5ELNS1_3repE0EEENS1_38merge_mergepath_config_static_selectorELNS0_4arch9wavefront6targetE0EEEvSO_.num_agpr, 0
	.set _ZN7rocprim17ROCPRIM_400000_NS6detail17trampoline_kernelINS0_14default_configENS1_38merge_sort_block_merge_config_selectorIjN6thrust23THRUST_200600_302600_NS5tupleIffNS6_9null_typeES8_S8_S8_S8_S8_S8_S8_EEEEZZNS1_27merge_sort_block_merge_implIS3_NS6_6detail15normal_iteratorINS6_10device_ptrIjEEEENSD_INSE_IS9_EEEEjNS1_19radix_merge_compareILb0ELb1EjNS0_19identity_decomposerEEEEE10hipError_tT0_T1_T2_jT3_P12ihipStream_tbPNSt15iterator_traitsISN_E10value_typeEPNST_ISO_E10value_typeEPSP_NS1_7vsmem_tEENKUlT_SN_SO_SP_E_clISG_PjSI_PS9_EESM_S12_SN_SO_SP_EUlS12_E0_NS1_11comp_targetILNS1_3genE10ELNS1_11target_archE1201ELNS1_3gpuE5ELNS1_3repE0EEENS1_38merge_mergepath_config_static_selectorELNS0_4arch9wavefront6targetE0EEEvSO_.numbered_sgpr, 0
	.set _ZN7rocprim17ROCPRIM_400000_NS6detail17trampoline_kernelINS0_14default_configENS1_38merge_sort_block_merge_config_selectorIjN6thrust23THRUST_200600_302600_NS5tupleIffNS6_9null_typeES8_S8_S8_S8_S8_S8_S8_EEEEZZNS1_27merge_sort_block_merge_implIS3_NS6_6detail15normal_iteratorINS6_10device_ptrIjEEEENSD_INSE_IS9_EEEEjNS1_19radix_merge_compareILb0ELb1EjNS0_19identity_decomposerEEEEE10hipError_tT0_T1_T2_jT3_P12ihipStream_tbPNSt15iterator_traitsISN_E10value_typeEPNST_ISO_E10value_typeEPSP_NS1_7vsmem_tEENKUlT_SN_SO_SP_E_clISG_PjSI_PS9_EESM_S12_SN_SO_SP_EUlS12_E0_NS1_11comp_targetILNS1_3genE10ELNS1_11target_archE1201ELNS1_3gpuE5ELNS1_3repE0EEENS1_38merge_mergepath_config_static_selectorELNS0_4arch9wavefront6targetE0EEEvSO_.num_named_barrier, 0
	.set _ZN7rocprim17ROCPRIM_400000_NS6detail17trampoline_kernelINS0_14default_configENS1_38merge_sort_block_merge_config_selectorIjN6thrust23THRUST_200600_302600_NS5tupleIffNS6_9null_typeES8_S8_S8_S8_S8_S8_S8_EEEEZZNS1_27merge_sort_block_merge_implIS3_NS6_6detail15normal_iteratorINS6_10device_ptrIjEEEENSD_INSE_IS9_EEEEjNS1_19radix_merge_compareILb0ELb1EjNS0_19identity_decomposerEEEEE10hipError_tT0_T1_T2_jT3_P12ihipStream_tbPNSt15iterator_traitsISN_E10value_typeEPNST_ISO_E10value_typeEPSP_NS1_7vsmem_tEENKUlT_SN_SO_SP_E_clISG_PjSI_PS9_EESM_S12_SN_SO_SP_EUlS12_E0_NS1_11comp_targetILNS1_3genE10ELNS1_11target_archE1201ELNS1_3gpuE5ELNS1_3repE0EEENS1_38merge_mergepath_config_static_selectorELNS0_4arch9wavefront6targetE0EEEvSO_.private_seg_size, 0
	.set _ZN7rocprim17ROCPRIM_400000_NS6detail17trampoline_kernelINS0_14default_configENS1_38merge_sort_block_merge_config_selectorIjN6thrust23THRUST_200600_302600_NS5tupleIffNS6_9null_typeES8_S8_S8_S8_S8_S8_S8_EEEEZZNS1_27merge_sort_block_merge_implIS3_NS6_6detail15normal_iteratorINS6_10device_ptrIjEEEENSD_INSE_IS9_EEEEjNS1_19radix_merge_compareILb0ELb1EjNS0_19identity_decomposerEEEEE10hipError_tT0_T1_T2_jT3_P12ihipStream_tbPNSt15iterator_traitsISN_E10value_typeEPNST_ISO_E10value_typeEPSP_NS1_7vsmem_tEENKUlT_SN_SO_SP_E_clISG_PjSI_PS9_EESM_S12_SN_SO_SP_EUlS12_E0_NS1_11comp_targetILNS1_3genE10ELNS1_11target_archE1201ELNS1_3gpuE5ELNS1_3repE0EEENS1_38merge_mergepath_config_static_selectorELNS0_4arch9wavefront6targetE0EEEvSO_.uses_vcc, 0
	.set _ZN7rocprim17ROCPRIM_400000_NS6detail17trampoline_kernelINS0_14default_configENS1_38merge_sort_block_merge_config_selectorIjN6thrust23THRUST_200600_302600_NS5tupleIffNS6_9null_typeES8_S8_S8_S8_S8_S8_S8_EEEEZZNS1_27merge_sort_block_merge_implIS3_NS6_6detail15normal_iteratorINS6_10device_ptrIjEEEENSD_INSE_IS9_EEEEjNS1_19radix_merge_compareILb0ELb1EjNS0_19identity_decomposerEEEEE10hipError_tT0_T1_T2_jT3_P12ihipStream_tbPNSt15iterator_traitsISN_E10value_typeEPNST_ISO_E10value_typeEPSP_NS1_7vsmem_tEENKUlT_SN_SO_SP_E_clISG_PjSI_PS9_EESM_S12_SN_SO_SP_EUlS12_E0_NS1_11comp_targetILNS1_3genE10ELNS1_11target_archE1201ELNS1_3gpuE5ELNS1_3repE0EEENS1_38merge_mergepath_config_static_selectorELNS0_4arch9wavefront6targetE0EEEvSO_.uses_flat_scratch, 0
	.set _ZN7rocprim17ROCPRIM_400000_NS6detail17trampoline_kernelINS0_14default_configENS1_38merge_sort_block_merge_config_selectorIjN6thrust23THRUST_200600_302600_NS5tupleIffNS6_9null_typeES8_S8_S8_S8_S8_S8_S8_EEEEZZNS1_27merge_sort_block_merge_implIS3_NS6_6detail15normal_iteratorINS6_10device_ptrIjEEEENSD_INSE_IS9_EEEEjNS1_19radix_merge_compareILb0ELb1EjNS0_19identity_decomposerEEEEE10hipError_tT0_T1_T2_jT3_P12ihipStream_tbPNSt15iterator_traitsISN_E10value_typeEPNST_ISO_E10value_typeEPSP_NS1_7vsmem_tEENKUlT_SN_SO_SP_E_clISG_PjSI_PS9_EESM_S12_SN_SO_SP_EUlS12_E0_NS1_11comp_targetILNS1_3genE10ELNS1_11target_archE1201ELNS1_3gpuE5ELNS1_3repE0EEENS1_38merge_mergepath_config_static_selectorELNS0_4arch9wavefront6targetE0EEEvSO_.has_dyn_sized_stack, 0
	.set _ZN7rocprim17ROCPRIM_400000_NS6detail17trampoline_kernelINS0_14default_configENS1_38merge_sort_block_merge_config_selectorIjN6thrust23THRUST_200600_302600_NS5tupleIffNS6_9null_typeES8_S8_S8_S8_S8_S8_S8_EEEEZZNS1_27merge_sort_block_merge_implIS3_NS6_6detail15normal_iteratorINS6_10device_ptrIjEEEENSD_INSE_IS9_EEEEjNS1_19radix_merge_compareILb0ELb1EjNS0_19identity_decomposerEEEEE10hipError_tT0_T1_T2_jT3_P12ihipStream_tbPNSt15iterator_traitsISN_E10value_typeEPNST_ISO_E10value_typeEPSP_NS1_7vsmem_tEENKUlT_SN_SO_SP_E_clISG_PjSI_PS9_EESM_S12_SN_SO_SP_EUlS12_E0_NS1_11comp_targetILNS1_3genE10ELNS1_11target_archE1201ELNS1_3gpuE5ELNS1_3repE0EEENS1_38merge_mergepath_config_static_selectorELNS0_4arch9wavefront6targetE0EEEvSO_.has_recursion, 0
	.set _ZN7rocprim17ROCPRIM_400000_NS6detail17trampoline_kernelINS0_14default_configENS1_38merge_sort_block_merge_config_selectorIjN6thrust23THRUST_200600_302600_NS5tupleIffNS6_9null_typeES8_S8_S8_S8_S8_S8_S8_EEEEZZNS1_27merge_sort_block_merge_implIS3_NS6_6detail15normal_iteratorINS6_10device_ptrIjEEEENSD_INSE_IS9_EEEEjNS1_19radix_merge_compareILb0ELb1EjNS0_19identity_decomposerEEEEE10hipError_tT0_T1_T2_jT3_P12ihipStream_tbPNSt15iterator_traitsISN_E10value_typeEPNST_ISO_E10value_typeEPSP_NS1_7vsmem_tEENKUlT_SN_SO_SP_E_clISG_PjSI_PS9_EESM_S12_SN_SO_SP_EUlS12_E0_NS1_11comp_targetILNS1_3genE10ELNS1_11target_archE1201ELNS1_3gpuE5ELNS1_3repE0EEENS1_38merge_mergepath_config_static_selectorELNS0_4arch9wavefront6targetE0EEEvSO_.has_indirect_call, 0
	.section	.AMDGPU.csdata,"",@progbits
; Kernel info:
; codeLenInByte = 0
; TotalNumSgprs: 0
; NumVgprs: 0
; ScratchSize: 0
; MemoryBound: 0
; FloatMode: 240
; IeeeMode: 1
; LDSByteSize: 0 bytes/workgroup (compile time only)
; SGPRBlocks: 0
; VGPRBlocks: 0
; NumSGPRsForWavesPerEU: 1
; NumVGPRsForWavesPerEU: 1
; Occupancy: 16
; WaveLimiterHint : 0
; COMPUTE_PGM_RSRC2:SCRATCH_EN: 0
; COMPUTE_PGM_RSRC2:USER_SGPR: 6
; COMPUTE_PGM_RSRC2:TRAP_HANDLER: 0
; COMPUTE_PGM_RSRC2:TGID_X_EN: 1
; COMPUTE_PGM_RSRC2:TGID_Y_EN: 0
; COMPUTE_PGM_RSRC2:TGID_Z_EN: 0
; COMPUTE_PGM_RSRC2:TIDIG_COMP_CNT: 0
	.section	.text._ZN7rocprim17ROCPRIM_400000_NS6detail17trampoline_kernelINS0_14default_configENS1_38merge_sort_block_merge_config_selectorIjN6thrust23THRUST_200600_302600_NS5tupleIffNS6_9null_typeES8_S8_S8_S8_S8_S8_S8_EEEEZZNS1_27merge_sort_block_merge_implIS3_NS6_6detail15normal_iteratorINS6_10device_ptrIjEEEENSD_INSE_IS9_EEEEjNS1_19radix_merge_compareILb0ELb1EjNS0_19identity_decomposerEEEEE10hipError_tT0_T1_T2_jT3_P12ihipStream_tbPNSt15iterator_traitsISN_E10value_typeEPNST_ISO_E10value_typeEPSP_NS1_7vsmem_tEENKUlT_SN_SO_SP_E_clISG_PjSI_PS9_EESM_S12_SN_SO_SP_EUlS12_E0_NS1_11comp_targetILNS1_3genE5ELNS1_11target_archE942ELNS1_3gpuE9ELNS1_3repE0EEENS1_38merge_mergepath_config_static_selectorELNS0_4arch9wavefront6targetE0EEEvSO_,"axG",@progbits,_ZN7rocprim17ROCPRIM_400000_NS6detail17trampoline_kernelINS0_14default_configENS1_38merge_sort_block_merge_config_selectorIjN6thrust23THRUST_200600_302600_NS5tupleIffNS6_9null_typeES8_S8_S8_S8_S8_S8_S8_EEEEZZNS1_27merge_sort_block_merge_implIS3_NS6_6detail15normal_iteratorINS6_10device_ptrIjEEEENSD_INSE_IS9_EEEEjNS1_19radix_merge_compareILb0ELb1EjNS0_19identity_decomposerEEEEE10hipError_tT0_T1_T2_jT3_P12ihipStream_tbPNSt15iterator_traitsISN_E10value_typeEPNST_ISO_E10value_typeEPSP_NS1_7vsmem_tEENKUlT_SN_SO_SP_E_clISG_PjSI_PS9_EESM_S12_SN_SO_SP_EUlS12_E0_NS1_11comp_targetILNS1_3genE5ELNS1_11target_archE942ELNS1_3gpuE9ELNS1_3repE0EEENS1_38merge_mergepath_config_static_selectorELNS0_4arch9wavefront6targetE0EEEvSO_,comdat
	.protected	_ZN7rocprim17ROCPRIM_400000_NS6detail17trampoline_kernelINS0_14default_configENS1_38merge_sort_block_merge_config_selectorIjN6thrust23THRUST_200600_302600_NS5tupleIffNS6_9null_typeES8_S8_S8_S8_S8_S8_S8_EEEEZZNS1_27merge_sort_block_merge_implIS3_NS6_6detail15normal_iteratorINS6_10device_ptrIjEEEENSD_INSE_IS9_EEEEjNS1_19radix_merge_compareILb0ELb1EjNS0_19identity_decomposerEEEEE10hipError_tT0_T1_T2_jT3_P12ihipStream_tbPNSt15iterator_traitsISN_E10value_typeEPNST_ISO_E10value_typeEPSP_NS1_7vsmem_tEENKUlT_SN_SO_SP_E_clISG_PjSI_PS9_EESM_S12_SN_SO_SP_EUlS12_E0_NS1_11comp_targetILNS1_3genE5ELNS1_11target_archE942ELNS1_3gpuE9ELNS1_3repE0EEENS1_38merge_mergepath_config_static_selectorELNS0_4arch9wavefront6targetE0EEEvSO_ ; -- Begin function _ZN7rocprim17ROCPRIM_400000_NS6detail17trampoline_kernelINS0_14default_configENS1_38merge_sort_block_merge_config_selectorIjN6thrust23THRUST_200600_302600_NS5tupleIffNS6_9null_typeES8_S8_S8_S8_S8_S8_S8_EEEEZZNS1_27merge_sort_block_merge_implIS3_NS6_6detail15normal_iteratorINS6_10device_ptrIjEEEENSD_INSE_IS9_EEEEjNS1_19radix_merge_compareILb0ELb1EjNS0_19identity_decomposerEEEEE10hipError_tT0_T1_T2_jT3_P12ihipStream_tbPNSt15iterator_traitsISN_E10value_typeEPNST_ISO_E10value_typeEPSP_NS1_7vsmem_tEENKUlT_SN_SO_SP_E_clISG_PjSI_PS9_EESM_S12_SN_SO_SP_EUlS12_E0_NS1_11comp_targetILNS1_3genE5ELNS1_11target_archE942ELNS1_3gpuE9ELNS1_3repE0EEENS1_38merge_mergepath_config_static_selectorELNS0_4arch9wavefront6targetE0EEEvSO_
	.globl	_ZN7rocprim17ROCPRIM_400000_NS6detail17trampoline_kernelINS0_14default_configENS1_38merge_sort_block_merge_config_selectorIjN6thrust23THRUST_200600_302600_NS5tupleIffNS6_9null_typeES8_S8_S8_S8_S8_S8_S8_EEEEZZNS1_27merge_sort_block_merge_implIS3_NS6_6detail15normal_iteratorINS6_10device_ptrIjEEEENSD_INSE_IS9_EEEEjNS1_19radix_merge_compareILb0ELb1EjNS0_19identity_decomposerEEEEE10hipError_tT0_T1_T2_jT3_P12ihipStream_tbPNSt15iterator_traitsISN_E10value_typeEPNST_ISO_E10value_typeEPSP_NS1_7vsmem_tEENKUlT_SN_SO_SP_E_clISG_PjSI_PS9_EESM_S12_SN_SO_SP_EUlS12_E0_NS1_11comp_targetILNS1_3genE5ELNS1_11target_archE942ELNS1_3gpuE9ELNS1_3repE0EEENS1_38merge_mergepath_config_static_selectorELNS0_4arch9wavefront6targetE0EEEvSO_
	.p2align	8
	.type	_ZN7rocprim17ROCPRIM_400000_NS6detail17trampoline_kernelINS0_14default_configENS1_38merge_sort_block_merge_config_selectorIjN6thrust23THRUST_200600_302600_NS5tupleIffNS6_9null_typeES8_S8_S8_S8_S8_S8_S8_EEEEZZNS1_27merge_sort_block_merge_implIS3_NS6_6detail15normal_iteratorINS6_10device_ptrIjEEEENSD_INSE_IS9_EEEEjNS1_19radix_merge_compareILb0ELb1EjNS0_19identity_decomposerEEEEE10hipError_tT0_T1_T2_jT3_P12ihipStream_tbPNSt15iterator_traitsISN_E10value_typeEPNST_ISO_E10value_typeEPSP_NS1_7vsmem_tEENKUlT_SN_SO_SP_E_clISG_PjSI_PS9_EESM_S12_SN_SO_SP_EUlS12_E0_NS1_11comp_targetILNS1_3genE5ELNS1_11target_archE942ELNS1_3gpuE9ELNS1_3repE0EEENS1_38merge_mergepath_config_static_selectorELNS0_4arch9wavefront6targetE0EEEvSO_,@function
_ZN7rocprim17ROCPRIM_400000_NS6detail17trampoline_kernelINS0_14default_configENS1_38merge_sort_block_merge_config_selectorIjN6thrust23THRUST_200600_302600_NS5tupleIffNS6_9null_typeES8_S8_S8_S8_S8_S8_S8_EEEEZZNS1_27merge_sort_block_merge_implIS3_NS6_6detail15normal_iteratorINS6_10device_ptrIjEEEENSD_INSE_IS9_EEEEjNS1_19radix_merge_compareILb0ELb1EjNS0_19identity_decomposerEEEEE10hipError_tT0_T1_T2_jT3_P12ihipStream_tbPNSt15iterator_traitsISN_E10value_typeEPNST_ISO_E10value_typeEPSP_NS1_7vsmem_tEENKUlT_SN_SO_SP_E_clISG_PjSI_PS9_EESM_S12_SN_SO_SP_EUlS12_E0_NS1_11comp_targetILNS1_3genE5ELNS1_11target_archE942ELNS1_3gpuE9ELNS1_3repE0EEENS1_38merge_mergepath_config_static_selectorELNS0_4arch9wavefront6targetE0EEEvSO_: ; @_ZN7rocprim17ROCPRIM_400000_NS6detail17trampoline_kernelINS0_14default_configENS1_38merge_sort_block_merge_config_selectorIjN6thrust23THRUST_200600_302600_NS5tupleIffNS6_9null_typeES8_S8_S8_S8_S8_S8_S8_EEEEZZNS1_27merge_sort_block_merge_implIS3_NS6_6detail15normal_iteratorINS6_10device_ptrIjEEEENSD_INSE_IS9_EEEEjNS1_19radix_merge_compareILb0ELb1EjNS0_19identity_decomposerEEEEE10hipError_tT0_T1_T2_jT3_P12ihipStream_tbPNSt15iterator_traitsISN_E10value_typeEPNST_ISO_E10value_typeEPSP_NS1_7vsmem_tEENKUlT_SN_SO_SP_E_clISG_PjSI_PS9_EESM_S12_SN_SO_SP_EUlS12_E0_NS1_11comp_targetILNS1_3genE5ELNS1_11target_archE942ELNS1_3gpuE9ELNS1_3repE0EEENS1_38merge_mergepath_config_static_selectorELNS0_4arch9wavefront6targetE0EEEvSO_
; %bb.0:
	.section	.rodata,"a",@progbits
	.p2align	6, 0x0
	.amdhsa_kernel _ZN7rocprim17ROCPRIM_400000_NS6detail17trampoline_kernelINS0_14default_configENS1_38merge_sort_block_merge_config_selectorIjN6thrust23THRUST_200600_302600_NS5tupleIffNS6_9null_typeES8_S8_S8_S8_S8_S8_S8_EEEEZZNS1_27merge_sort_block_merge_implIS3_NS6_6detail15normal_iteratorINS6_10device_ptrIjEEEENSD_INSE_IS9_EEEEjNS1_19radix_merge_compareILb0ELb1EjNS0_19identity_decomposerEEEEE10hipError_tT0_T1_T2_jT3_P12ihipStream_tbPNSt15iterator_traitsISN_E10value_typeEPNST_ISO_E10value_typeEPSP_NS1_7vsmem_tEENKUlT_SN_SO_SP_E_clISG_PjSI_PS9_EESM_S12_SN_SO_SP_EUlS12_E0_NS1_11comp_targetILNS1_3genE5ELNS1_11target_archE942ELNS1_3gpuE9ELNS1_3repE0EEENS1_38merge_mergepath_config_static_selectorELNS0_4arch9wavefront6targetE0EEEvSO_
		.amdhsa_group_segment_fixed_size 0
		.amdhsa_private_segment_fixed_size 0
		.amdhsa_kernarg_size 64
		.amdhsa_user_sgpr_count 6
		.amdhsa_user_sgpr_private_segment_buffer 1
		.amdhsa_user_sgpr_dispatch_ptr 0
		.amdhsa_user_sgpr_queue_ptr 0
		.amdhsa_user_sgpr_kernarg_segment_ptr 1
		.amdhsa_user_sgpr_dispatch_id 0
		.amdhsa_user_sgpr_flat_scratch_init 0
		.amdhsa_user_sgpr_private_segment_size 0
		.amdhsa_wavefront_size32 1
		.amdhsa_uses_dynamic_stack 0
		.amdhsa_system_sgpr_private_segment_wavefront_offset 0
		.amdhsa_system_sgpr_workgroup_id_x 1
		.amdhsa_system_sgpr_workgroup_id_y 0
		.amdhsa_system_sgpr_workgroup_id_z 0
		.amdhsa_system_sgpr_workgroup_info 0
		.amdhsa_system_vgpr_workitem_id 0
		.amdhsa_next_free_vgpr 1
		.amdhsa_next_free_sgpr 1
		.amdhsa_reserve_vcc 0
		.amdhsa_reserve_flat_scratch 0
		.amdhsa_float_round_mode_32 0
		.amdhsa_float_round_mode_16_64 0
		.amdhsa_float_denorm_mode_32 3
		.amdhsa_float_denorm_mode_16_64 3
		.amdhsa_dx10_clamp 1
		.amdhsa_ieee_mode 1
		.amdhsa_fp16_overflow 0
		.amdhsa_workgroup_processor_mode 1
		.amdhsa_memory_ordered 1
		.amdhsa_forward_progress 1
		.amdhsa_shared_vgpr_count 0
		.amdhsa_exception_fp_ieee_invalid_op 0
		.amdhsa_exception_fp_denorm_src 0
		.amdhsa_exception_fp_ieee_div_zero 0
		.amdhsa_exception_fp_ieee_overflow 0
		.amdhsa_exception_fp_ieee_underflow 0
		.amdhsa_exception_fp_ieee_inexact 0
		.amdhsa_exception_int_div_zero 0
	.end_amdhsa_kernel
	.section	.text._ZN7rocprim17ROCPRIM_400000_NS6detail17trampoline_kernelINS0_14default_configENS1_38merge_sort_block_merge_config_selectorIjN6thrust23THRUST_200600_302600_NS5tupleIffNS6_9null_typeES8_S8_S8_S8_S8_S8_S8_EEEEZZNS1_27merge_sort_block_merge_implIS3_NS6_6detail15normal_iteratorINS6_10device_ptrIjEEEENSD_INSE_IS9_EEEEjNS1_19radix_merge_compareILb0ELb1EjNS0_19identity_decomposerEEEEE10hipError_tT0_T1_T2_jT3_P12ihipStream_tbPNSt15iterator_traitsISN_E10value_typeEPNST_ISO_E10value_typeEPSP_NS1_7vsmem_tEENKUlT_SN_SO_SP_E_clISG_PjSI_PS9_EESM_S12_SN_SO_SP_EUlS12_E0_NS1_11comp_targetILNS1_3genE5ELNS1_11target_archE942ELNS1_3gpuE9ELNS1_3repE0EEENS1_38merge_mergepath_config_static_selectorELNS0_4arch9wavefront6targetE0EEEvSO_,"axG",@progbits,_ZN7rocprim17ROCPRIM_400000_NS6detail17trampoline_kernelINS0_14default_configENS1_38merge_sort_block_merge_config_selectorIjN6thrust23THRUST_200600_302600_NS5tupleIffNS6_9null_typeES8_S8_S8_S8_S8_S8_S8_EEEEZZNS1_27merge_sort_block_merge_implIS3_NS6_6detail15normal_iteratorINS6_10device_ptrIjEEEENSD_INSE_IS9_EEEEjNS1_19radix_merge_compareILb0ELb1EjNS0_19identity_decomposerEEEEE10hipError_tT0_T1_T2_jT3_P12ihipStream_tbPNSt15iterator_traitsISN_E10value_typeEPNST_ISO_E10value_typeEPSP_NS1_7vsmem_tEENKUlT_SN_SO_SP_E_clISG_PjSI_PS9_EESM_S12_SN_SO_SP_EUlS12_E0_NS1_11comp_targetILNS1_3genE5ELNS1_11target_archE942ELNS1_3gpuE9ELNS1_3repE0EEENS1_38merge_mergepath_config_static_selectorELNS0_4arch9wavefront6targetE0EEEvSO_,comdat
.Lfunc_end125:
	.size	_ZN7rocprim17ROCPRIM_400000_NS6detail17trampoline_kernelINS0_14default_configENS1_38merge_sort_block_merge_config_selectorIjN6thrust23THRUST_200600_302600_NS5tupleIffNS6_9null_typeES8_S8_S8_S8_S8_S8_S8_EEEEZZNS1_27merge_sort_block_merge_implIS3_NS6_6detail15normal_iteratorINS6_10device_ptrIjEEEENSD_INSE_IS9_EEEEjNS1_19radix_merge_compareILb0ELb1EjNS0_19identity_decomposerEEEEE10hipError_tT0_T1_T2_jT3_P12ihipStream_tbPNSt15iterator_traitsISN_E10value_typeEPNST_ISO_E10value_typeEPSP_NS1_7vsmem_tEENKUlT_SN_SO_SP_E_clISG_PjSI_PS9_EESM_S12_SN_SO_SP_EUlS12_E0_NS1_11comp_targetILNS1_3genE5ELNS1_11target_archE942ELNS1_3gpuE9ELNS1_3repE0EEENS1_38merge_mergepath_config_static_selectorELNS0_4arch9wavefront6targetE0EEEvSO_, .Lfunc_end125-_ZN7rocprim17ROCPRIM_400000_NS6detail17trampoline_kernelINS0_14default_configENS1_38merge_sort_block_merge_config_selectorIjN6thrust23THRUST_200600_302600_NS5tupleIffNS6_9null_typeES8_S8_S8_S8_S8_S8_S8_EEEEZZNS1_27merge_sort_block_merge_implIS3_NS6_6detail15normal_iteratorINS6_10device_ptrIjEEEENSD_INSE_IS9_EEEEjNS1_19radix_merge_compareILb0ELb1EjNS0_19identity_decomposerEEEEE10hipError_tT0_T1_T2_jT3_P12ihipStream_tbPNSt15iterator_traitsISN_E10value_typeEPNST_ISO_E10value_typeEPSP_NS1_7vsmem_tEENKUlT_SN_SO_SP_E_clISG_PjSI_PS9_EESM_S12_SN_SO_SP_EUlS12_E0_NS1_11comp_targetILNS1_3genE5ELNS1_11target_archE942ELNS1_3gpuE9ELNS1_3repE0EEENS1_38merge_mergepath_config_static_selectorELNS0_4arch9wavefront6targetE0EEEvSO_
                                        ; -- End function
	.set _ZN7rocprim17ROCPRIM_400000_NS6detail17trampoline_kernelINS0_14default_configENS1_38merge_sort_block_merge_config_selectorIjN6thrust23THRUST_200600_302600_NS5tupleIffNS6_9null_typeES8_S8_S8_S8_S8_S8_S8_EEEEZZNS1_27merge_sort_block_merge_implIS3_NS6_6detail15normal_iteratorINS6_10device_ptrIjEEEENSD_INSE_IS9_EEEEjNS1_19radix_merge_compareILb0ELb1EjNS0_19identity_decomposerEEEEE10hipError_tT0_T1_T2_jT3_P12ihipStream_tbPNSt15iterator_traitsISN_E10value_typeEPNST_ISO_E10value_typeEPSP_NS1_7vsmem_tEENKUlT_SN_SO_SP_E_clISG_PjSI_PS9_EESM_S12_SN_SO_SP_EUlS12_E0_NS1_11comp_targetILNS1_3genE5ELNS1_11target_archE942ELNS1_3gpuE9ELNS1_3repE0EEENS1_38merge_mergepath_config_static_selectorELNS0_4arch9wavefront6targetE0EEEvSO_.num_vgpr, 0
	.set _ZN7rocprim17ROCPRIM_400000_NS6detail17trampoline_kernelINS0_14default_configENS1_38merge_sort_block_merge_config_selectorIjN6thrust23THRUST_200600_302600_NS5tupleIffNS6_9null_typeES8_S8_S8_S8_S8_S8_S8_EEEEZZNS1_27merge_sort_block_merge_implIS3_NS6_6detail15normal_iteratorINS6_10device_ptrIjEEEENSD_INSE_IS9_EEEEjNS1_19radix_merge_compareILb0ELb1EjNS0_19identity_decomposerEEEEE10hipError_tT0_T1_T2_jT3_P12ihipStream_tbPNSt15iterator_traitsISN_E10value_typeEPNST_ISO_E10value_typeEPSP_NS1_7vsmem_tEENKUlT_SN_SO_SP_E_clISG_PjSI_PS9_EESM_S12_SN_SO_SP_EUlS12_E0_NS1_11comp_targetILNS1_3genE5ELNS1_11target_archE942ELNS1_3gpuE9ELNS1_3repE0EEENS1_38merge_mergepath_config_static_selectorELNS0_4arch9wavefront6targetE0EEEvSO_.num_agpr, 0
	.set _ZN7rocprim17ROCPRIM_400000_NS6detail17trampoline_kernelINS0_14default_configENS1_38merge_sort_block_merge_config_selectorIjN6thrust23THRUST_200600_302600_NS5tupleIffNS6_9null_typeES8_S8_S8_S8_S8_S8_S8_EEEEZZNS1_27merge_sort_block_merge_implIS3_NS6_6detail15normal_iteratorINS6_10device_ptrIjEEEENSD_INSE_IS9_EEEEjNS1_19radix_merge_compareILb0ELb1EjNS0_19identity_decomposerEEEEE10hipError_tT0_T1_T2_jT3_P12ihipStream_tbPNSt15iterator_traitsISN_E10value_typeEPNST_ISO_E10value_typeEPSP_NS1_7vsmem_tEENKUlT_SN_SO_SP_E_clISG_PjSI_PS9_EESM_S12_SN_SO_SP_EUlS12_E0_NS1_11comp_targetILNS1_3genE5ELNS1_11target_archE942ELNS1_3gpuE9ELNS1_3repE0EEENS1_38merge_mergepath_config_static_selectorELNS0_4arch9wavefront6targetE0EEEvSO_.numbered_sgpr, 0
	.set _ZN7rocprim17ROCPRIM_400000_NS6detail17trampoline_kernelINS0_14default_configENS1_38merge_sort_block_merge_config_selectorIjN6thrust23THRUST_200600_302600_NS5tupleIffNS6_9null_typeES8_S8_S8_S8_S8_S8_S8_EEEEZZNS1_27merge_sort_block_merge_implIS3_NS6_6detail15normal_iteratorINS6_10device_ptrIjEEEENSD_INSE_IS9_EEEEjNS1_19radix_merge_compareILb0ELb1EjNS0_19identity_decomposerEEEEE10hipError_tT0_T1_T2_jT3_P12ihipStream_tbPNSt15iterator_traitsISN_E10value_typeEPNST_ISO_E10value_typeEPSP_NS1_7vsmem_tEENKUlT_SN_SO_SP_E_clISG_PjSI_PS9_EESM_S12_SN_SO_SP_EUlS12_E0_NS1_11comp_targetILNS1_3genE5ELNS1_11target_archE942ELNS1_3gpuE9ELNS1_3repE0EEENS1_38merge_mergepath_config_static_selectorELNS0_4arch9wavefront6targetE0EEEvSO_.num_named_barrier, 0
	.set _ZN7rocprim17ROCPRIM_400000_NS6detail17trampoline_kernelINS0_14default_configENS1_38merge_sort_block_merge_config_selectorIjN6thrust23THRUST_200600_302600_NS5tupleIffNS6_9null_typeES8_S8_S8_S8_S8_S8_S8_EEEEZZNS1_27merge_sort_block_merge_implIS3_NS6_6detail15normal_iteratorINS6_10device_ptrIjEEEENSD_INSE_IS9_EEEEjNS1_19radix_merge_compareILb0ELb1EjNS0_19identity_decomposerEEEEE10hipError_tT0_T1_T2_jT3_P12ihipStream_tbPNSt15iterator_traitsISN_E10value_typeEPNST_ISO_E10value_typeEPSP_NS1_7vsmem_tEENKUlT_SN_SO_SP_E_clISG_PjSI_PS9_EESM_S12_SN_SO_SP_EUlS12_E0_NS1_11comp_targetILNS1_3genE5ELNS1_11target_archE942ELNS1_3gpuE9ELNS1_3repE0EEENS1_38merge_mergepath_config_static_selectorELNS0_4arch9wavefront6targetE0EEEvSO_.private_seg_size, 0
	.set _ZN7rocprim17ROCPRIM_400000_NS6detail17trampoline_kernelINS0_14default_configENS1_38merge_sort_block_merge_config_selectorIjN6thrust23THRUST_200600_302600_NS5tupleIffNS6_9null_typeES8_S8_S8_S8_S8_S8_S8_EEEEZZNS1_27merge_sort_block_merge_implIS3_NS6_6detail15normal_iteratorINS6_10device_ptrIjEEEENSD_INSE_IS9_EEEEjNS1_19radix_merge_compareILb0ELb1EjNS0_19identity_decomposerEEEEE10hipError_tT0_T1_T2_jT3_P12ihipStream_tbPNSt15iterator_traitsISN_E10value_typeEPNST_ISO_E10value_typeEPSP_NS1_7vsmem_tEENKUlT_SN_SO_SP_E_clISG_PjSI_PS9_EESM_S12_SN_SO_SP_EUlS12_E0_NS1_11comp_targetILNS1_3genE5ELNS1_11target_archE942ELNS1_3gpuE9ELNS1_3repE0EEENS1_38merge_mergepath_config_static_selectorELNS0_4arch9wavefront6targetE0EEEvSO_.uses_vcc, 0
	.set _ZN7rocprim17ROCPRIM_400000_NS6detail17trampoline_kernelINS0_14default_configENS1_38merge_sort_block_merge_config_selectorIjN6thrust23THRUST_200600_302600_NS5tupleIffNS6_9null_typeES8_S8_S8_S8_S8_S8_S8_EEEEZZNS1_27merge_sort_block_merge_implIS3_NS6_6detail15normal_iteratorINS6_10device_ptrIjEEEENSD_INSE_IS9_EEEEjNS1_19radix_merge_compareILb0ELb1EjNS0_19identity_decomposerEEEEE10hipError_tT0_T1_T2_jT3_P12ihipStream_tbPNSt15iterator_traitsISN_E10value_typeEPNST_ISO_E10value_typeEPSP_NS1_7vsmem_tEENKUlT_SN_SO_SP_E_clISG_PjSI_PS9_EESM_S12_SN_SO_SP_EUlS12_E0_NS1_11comp_targetILNS1_3genE5ELNS1_11target_archE942ELNS1_3gpuE9ELNS1_3repE0EEENS1_38merge_mergepath_config_static_selectorELNS0_4arch9wavefront6targetE0EEEvSO_.uses_flat_scratch, 0
	.set _ZN7rocprim17ROCPRIM_400000_NS6detail17trampoline_kernelINS0_14default_configENS1_38merge_sort_block_merge_config_selectorIjN6thrust23THRUST_200600_302600_NS5tupleIffNS6_9null_typeES8_S8_S8_S8_S8_S8_S8_EEEEZZNS1_27merge_sort_block_merge_implIS3_NS6_6detail15normal_iteratorINS6_10device_ptrIjEEEENSD_INSE_IS9_EEEEjNS1_19radix_merge_compareILb0ELb1EjNS0_19identity_decomposerEEEEE10hipError_tT0_T1_T2_jT3_P12ihipStream_tbPNSt15iterator_traitsISN_E10value_typeEPNST_ISO_E10value_typeEPSP_NS1_7vsmem_tEENKUlT_SN_SO_SP_E_clISG_PjSI_PS9_EESM_S12_SN_SO_SP_EUlS12_E0_NS1_11comp_targetILNS1_3genE5ELNS1_11target_archE942ELNS1_3gpuE9ELNS1_3repE0EEENS1_38merge_mergepath_config_static_selectorELNS0_4arch9wavefront6targetE0EEEvSO_.has_dyn_sized_stack, 0
	.set _ZN7rocprim17ROCPRIM_400000_NS6detail17trampoline_kernelINS0_14default_configENS1_38merge_sort_block_merge_config_selectorIjN6thrust23THRUST_200600_302600_NS5tupleIffNS6_9null_typeES8_S8_S8_S8_S8_S8_S8_EEEEZZNS1_27merge_sort_block_merge_implIS3_NS6_6detail15normal_iteratorINS6_10device_ptrIjEEEENSD_INSE_IS9_EEEEjNS1_19radix_merge_compareILb0ELb1EjNS0_19identity_decomposerEEEEE10hipError_tT0_T1_T2_jT3_P12ihipStream_tbPNSt15iterator_traitsISN_E10value_typeEPNST_ISO_E10value_typeEPSP_NS1_7vsmem_tEENKUlT_SN_SO_SP_E_clISG_PjSI_PS9_EESM_S12_SN_SO_SP_EUlS12_E0_NS1_11comp_targetILNS1_3genE5ELNS1_11target_archE942ELNS1_3gpuE9ELNS1_3repE0EEENS1_38merge_mergepath_config_static_selectorELNS0_4arch9wavefront6targetE0EEEvSO_.has_recursion, 0
	.set _ZN7rocprim17ROCPRIM_400000_NS6detail17trampoline_kernelINS0_14default_configENS1_38merge_sort_block_merge_config_selectorIjN6thrust23THRUST_200600_302600_NS5tupleIffNS6_9null_typeES8_S8_S8_S8_S8_S8_S8_EEEEZZNS1_27merge_sort_block_merge_implIS3_NS6_6detail15normal_iteratorINS6_10device_ptrIjEEEENSD_INSE_IS9_EEEEjNS1_19radix_merge_compareILb0ELb1EjNS0_19identity_decomposerEEEEE10hipError_tT0_T1_T2_jT3_P12ihipStream_tbPNSt15iterator_traitsISN_E10value_typeEPNST_ISO_E10value_typeEPSP_NS1_7vsmem_tEENKUlT_SN_SO_SP_E_clISG_PjSI_PS9_EESM_S12_SN_SO_SP_EUlS12_E0_NS1_11comp_targetILNS1_3genE5ELNS1_11target_archE942ELNS1_3gpuE9ELNS1_3repE0EEENS1_38merge_mergepath_config_static_selectorELNS0_4arch9wavefront6targetE0EEEvSO_.has_indirect_call, 0
	.section	.AMDGPU.csdata,"",@progbits
; Kernel info:
; codeLenInByte = 0
; TotalNumSgprs: 0
; NumVgprs: 0
; ScratchSize: 0
; MemoryBound: 0
; FloatMode: 240
; IeeeMode: 1
; LDSByteSize: 0 bytes/workgroup (compile time only)
; SGPRBlocks: 0
; VGPRBlocks: 0
; NumSGPRsForWavesPerEU: 1
; NumVGPRsForWavesPerEU: 1
; Occupancy: 16
; WaveLimiterHint : 0
; COMPUTE_PGM_RSRC2:SCRATCH_EN: 0
; COMPUTE_PGM_RSRC2:USER_SGPR: 6
; COMPUTE_PGM_RSRC2:TRAP_HANDLER: 0
; COMPUTE_PGM_RSRC2:TGID_X_EN: 1
; COMPUTE_PGM_RSRC2:TGID_Y_EN: 0
; COMPUTE_PGM_RSRC2:TGID_Z_EN: 0
; COMPUTE_PGM_RSRC2:TIDIG_COMP_CNT: 0
	.section	.text._ZN7rocprim17ROCPRIM_400000_NS6detail17trampoline_kernelINS0_14default_configENS1_38merge_sort_block_merge_config_selectorIjN6thrust23THRUST_200600_302600_NS5tupleIffNS6_9null_typeES8_S8_S8_S8_S8_S8_S8_EEEEZZNS1_27merge_sort_block_merge_implIS3_NS6_6detail15normal_iteratorINS6_10device_ptrIjEEEENSD_INSE_IS9_EEEEjNS1_19radix_merge_compareILb0ELb1EjNS0_19identity_decomposerEEEEE10hipError_tT0_T1_T2_jT3_P12ihipStream_tbPNSt15iterator_traitsISN_E10value_typeEPNST_ISO_E10value_typeEPSP_NS1_7vsmem_tEENKUlT_SN_SO_SP_E_clISG_PjSI_PS9_EESM_S12_SN_SO_SP_EUlS12_E0_NS1_11comp_targetILNS1_3genE4ELNS1_11target_archE910ELNS1_3gpuE8ELNS1_3repE0EEENS1_38merge_mergepath_config_static_selectorELNS0_4arch9wavefront6targetE0EEEvSO_,"axG",@progbits,_ZN7rocprim17ROCPRIM_400000_NS6detail17trampoline_kernelINS0_14default_configENS1_38merge_sort_block_merge_config_selectorIjN6thrust23THRUST_200600_302600_NS5tupleIffNS6_9null_typeES8_S8_S8_S8_S8_S8_S8_EEEEZZNS1_27merge_sort_block_merge_implIS3_NS6_6detail15normal_iteratorINS6_10device_ptrIjEEEENSD_INSE_IS9_EEEEjNS1_19radix_merge_compareILb0ELb1EjNS0_19identity_decomposerEEEEE10hipError_tT0_T1_T2_jT3_P12ihipStream_tbPNSt15iterator_traitsISN_E10value_typeEPNST_ISO_E10value_typeEPSP_NS1_7vsmem_tEENKUlT_SN_SO_SP_E_clISG_PjSI_PS9_EESM_S12_SN_SO_SP_EUlS12_E0_NS1_11comp_targetILNS1_3genE4ELNS1_11target_archE910ELNS1_3gpuE8ELNS1_3repE0EEENS1_38merge_mergepath_config_static_selectorELNS0_4arch9wavefront6targetE0EEEvSO_,comdat
	.protected	_ZN7rocprim17ROCPRIM_400000_NS6detail17trampoline_kernelINS0_14default_configENS1_38merge_sort_block_merge_config_selectorIjN6thrust23THRUST_200600_302600_NS5tupleIffNS6_9null_typeES8_S8_S8_S8_S8_S8_S8_EEEEZZNS1_27merge_sort_block_merge_implIS3_NS6_6detail15normal_iteratorINS6_10device_ptrIjEEEENSD_INSE_IS9_EEEEjNS1_19radix_merge_compareILb0ELb1EjNS0_19identity_decomposerEEEEE10hipError_tT0_T1_T2_jT3_P12ihipStream_tbPNSt15iterator_traitsISN_E10value_typeEPNST_ISO_E10value_typeEPSP_NS1_7vsmem_tEENKUlT_SN_SO_SP_E_clISG_PjSI_PS9_EESM_S12_SN_SO_SP_EUlS12_E0_NS1_11comp_targetILNS1_3genE4ELNS1_11target_archE910ELNS1_3gpuE8ELNS1_3repE0EEENS1_38merge_mergepath_config_static_selectorELNS0_4arch9wavefront6targetE0EEEvSO_ ; -- Begin function _ZN7rocprim17ROCPRIM_400000_NS6detail17trampoline_kernelINS0_14default_configENS1_38merge_sort_block_merge_config_selectorIjN6thrust23THRUST_200600_302600_NS5tupleIffNS6_9null_typeES8_S8_S8_S8_S8_S8_S8_EEEEZZNS1_27merge_sort_block_merge_implIS3_NS6_6detail15normal_iteratorINS6_10device_ptrIjEEEENSD_INSE_IS9_EEEEjNS1_19radix_merge_compareILb0ELb1EjNS0_19identity_decomposerEEEEE10hipError_tT0_T1_T2_jT3_P12ihipStream_tbPNSt15iterator_traitsISN_E10value_typeEPNST_ISO_E10value_typeEPSP_NS1_7vsmem_tEENKUlT_SN_SO_SP_E_clISG_PjSI_PS9_EESM_S12_SN_SO_SP_EUlS12_E0_NS1_11comp_targetILNS1_3genE4ELNS1_11target_archE910ELNS1_3gpuE8ELNS1_3repE0EEENS1_38merge_mergepath_config_static_selectorELNS0_4arch9wavefront6targetE0EEEvSO_
	.globl	_ZN7rocprim17ROCPRIM_400000_NS6detail17trampoline_kernelINS0_14default_configENS1_38merge_sort_block_merge_config_selectorIjN6thrust23THRUST_200600_302600_NS5tupleIffNS6_9null_typeES8_S8_S8_S8_S8_S8_S8_EEEEZZNS1_27merge_sort_block_merge_implIS3_NS6_6detail15normal_iteratorINS6_10device_ptrIjEEEENSD_INSE_IS9_EEEEjNS1_19radix_merge_compareILb0ELb1EjNS0_19identity_decomposerEEEEE10hipError_tT0_T1_T2_jT3_P12ihipStream_tbPNSt15iterator_traitsISN_E10value_typeEPNST_ISO_E10value_typeEPSP_NS1_7vsmem_tEENKUlT_SN_SO_SP_E_clISG_PjSI_PS9_EESM_S12_SN_SO_SP_EUlS12_E0_NS1_11comp_targetILNS1_3genE4ELNS1_11target_archE910ELNS1_3gpuE8ELNS1_3repE0EEENS1_38merge_mergepath_config_static_selectorELNS0_4arch9wavefront6targetE0EEEvSO_
	.p2align	8
	.type	_ZN7rocprim17ROCPRIM_400000_NS6detail17trampoline_kernelINS0_14default_configENS1_38merge_sort_block_merge_config_selectorIjN6thrust23THRUST_200600_302600_NS5tupleIffNS6_9null_typeES8_S8_S8_S8_S8_S8_S8_EEEEZZNS1_27merge_sort_block_merge_implIS3_NS6_6detail15normal_iteratorINS6_10device_ptrIjEEEENSD_INSE_IS9_EEEEjNS1_19radix_merge_compareILb0ELb1EjNS0_19identity_decomposerEEEEE10hipError_tT0_T1_T2_jT3_P12ihipStream_tbPNSt15iterator_traitsISN_E10value_typeEPNST_ISO_E10value_typeEPSP_NS1_7vsmem_tEENKUlT_SN_SO_SP_E_clISG_PjSI_PS9_EESM_S12_SN_SO_SP_EUlS12_E0_NS1_11comp_targetILNS1_3genE4ELNS1_11target_archE910ELNS1_3gpuE8ELNS1_3repE0EEENS1_38merge_mergepath_config_static_selectorELNS0_4arch9wavefront6targetE0EEEvSO_,@function
_ZN7rocprim17ROCPRIM_400000_NS6detail17trampoline_kernelINS0_14default_configENS1_38merge_sort_block_merge_config_selectorIjN6thrust23THRUST_200600_302600_NS5tupleIffNS6_9null_typeES8_S8_S8_S8_S8_S8_S8_EEEEZZNS1_27merge_sort_block_merge_implIS3_NS6_6detail15normal_iteratorINS6_10device_ptrIjEEEENSD_INSE_IS9_EEEEjNS1_19radix_merge_compareILb0ELb1EjNS0_19identity_decomposerEEEEE10hipError_tT0_T1_T2_jT3_P12ihipStream_tbPNSt15iterator_traitsISN_E10value_typeEPNST_ISO_E10value_typeEPSP_NS1_7vsmem_tEENKUlT_SN_SO_SP_E_clISG_PjSI_PS9_EESM_S12_SN_SO_SP_EUlS12_E0_NS1_11comp_targetILNS1_3genE4ELNS1_11target_archE910ELNS1_3gpuE8ELNS1_3repE0EEENS1_38merge_mergepath_config_static_selectorELNS0_4arch9wavefront6targetE0EEEvSO_: ; @_ZN7rocprim17ROCPRIM_400000_NS6detail17trampoline_kernelINS0_14default_configENS1_38merge_sort_block_merge_config_selectorIjN6thrust23THRUST_200600_302600_NS5tupleIffNS6_9null_typeES8_S8_S8_S8_S8_S8_S8_EEEEZZNS1_27merge_sort_block_merge_implIS3_NS6_6detail15normal_iteratorINS6_10device_ptrIjEEEENSD_INSE_IS9_EEEEjNS1_19radix_merge_compareILb0ELb1EjNS0_19identity_decomposerEEEEE10hipError_tT0_T1_T2_jT3_P12ihipStream_tbPNSt15iterator_traitsISN_E10value_typeEPNST_ISO_E10value_typeEPSP_NS1_7vsmem_tEENKUlT_SN_SO_SP_E_clISG_PjSI_PS9_EESM_S12_SN_SO_SP_EUlS12_E0_NS1_11comp_targetILNS1_3genE4ELNS1_11target_archE910ELNS1_3gpuE8ELNS1_3repE0EEENS1_38merge_mergepath_config_static_selectorELNS0_4arch9wavefront6targetE0EEEvSO_
; %bb.0:
	.section	.rodata,"a",@progbits
	.p2align	6, 0x0
	.amdhsa_kernel _ZN7rocprim17ROCPRIM_400000_NS6detail17trampoline_kernelINS0_14default_configENS1_38merge_sort_block_merge_config_selectorIjN6thrust23THRUST_200600_302600_NS5tupleIffNS6_9null_typeES8_S8_S8_S8_S8_S8_S8_EEEEZZNS1_27merge_sort_block_merge_implIS3_NS6_6detail15normal_iteratorINS6_10device_ptrIjEEEENSD_INSE_IS9_EEEEjNS1_19radix_merge_compareILb0ELb1EjNS0_19identity_decomposerEEEEE10hipError_tT0_T1_T2_jT3_P12ihipStream_tbPNSt15iterator_traitsISN_E10value_typeEPNST_ISO_E10value_typeEPSP_NS1_7vsmem_tEENKUlT_SN_SO_SP_E_clISG_PjSI_PS9_EESM_S12_SN_SO_SP_EUlS12_E0_NS1_11comp_targetILNS1_3genE4ELNS1_11target_archE910ELNS1_3gpuE8ELNS1_3repE0EEENS1_38merge_mergepath_config_static_selectorELNS0_4arch9wavefront6targetE0EEEvSO_
		.amdhsa_group_segment_fixed_size 0
		.amdhsa_private_segment_fixed_size 0
		.amdhsa_kernarg_size 64
		.amdhsa_user_sgpr_count 6
		.amdhsa_user_sgpr_private_segment_buffer 1
		.amdhsa_user_sgpr_dispatch_ptr 0
		.amdhsa_user_sgpr_queue_ptr 0
		.amdhsa_user_sgpr_kernarg_segment_ptr 1
		.amdhsa_user_sgpr_dispatch_id 0
		.amdhsa_user_sgpr_flat_scratch_init 0
		.amdhsa_user_sgpr_private_segment_size 0
		.amdhsa_wavefront_size32 1
		.amdhsa_uses_dynamic_stack 0
		.amdhsa_system_sgpr_private_segment_wavefront_offset 0
		.amdhsa_system_sgpr_workgroup_id_x 1
		.amdhsa_system_sgpr_workgroup_id_y 0
		.amdhsa_system_sgpr_workgroup_id_z 0
		.amdhsa_system_sgpr_workgroup_info 0
		.amdhsa_system_vgpr_workitem_id 0
		.amdhsa_next_free_vgpr 1
		.amdhsa_next_free_sgpr 1
		.amdhsa_reserve_vcc 0
		.amdhsa_reserve_flat_scratch 0
		.amdhsa_float_round_mode_32 0
		.amdhsa_float_round_mode_16_64 0
		.amdhsa_float_denorm_mode_32 3
		.amdhsa_float_denorm_mode_16_64 3
		.amdhsa_dx10_clamp 1
		.amdhsa_ieee_mode 1
		.amdhsa_fp16_overflow 0
		.amdhsa_workgroup_processor_mode 1
		.amdhsa_memory_ordered 1
		.amdhsa_forward_progress 1
		.amdhsa_shared_vgpr_count 0
		.amdhsa_exception_fp_ieee_invalid_op 0
		.amdhsa_exception_fp_denorm_src 0
		.amdhsa_exception_fp_ieee_div_zero 0
		.amdhsa_exception_fp_ieee_overflow 0
		.amdhsa_exception_fp_ieee_underflow 0
		.amdhsa_exception_fp_ieee_inexact 0
		.amdhsa_exception_int_div_zero 0
	.end_amdhsa_kernel
	.section	.text._ZN7rocprim17ROCPRIM_400000_NS6detail17trampoline_kernelINS0_14default_configENS1_38merge_sort_block_merge_config_selectorIjN6thrust23THRUST_200600_302600_NS5tupleIffNS6_9null_typeES8_S8_S8_S8_S8_S8_S8_EEEEZZNS1_27merge_sort_block_merge_implIS3_NS6_6detail15normal_iteratorINS6_10device_ptrIjEEEENSD_INSE_IS9_EEEEjNS1_19radix_merge_compareILb0ELb1EjNS0_19identity_decomposerEEEEE10hipError_tT0_T1_T2_jT3_P12ihipStream_tbPNSt15iterator_traitsISN_E10value_typeEPNST_ISO_E10value_typeEPSP_NS1_7vsmem_tEENKUlT_SN_SO_SP_E_clISG_PjSI_PS9_EESM_S12_SN_SO_SP_EUlS12_E0_NS1_11comp_targetILNS1_3genE4ELNS1_11target_archE910ELNS1_3gpuE8ELNS1_3repE0EEENS1_38merge_mergepath_config_static_selectorELNS0_4arch9wavefront6targetE0EEEvSO_,"axG",@progbits,_ZN7rocprim17ROCPRIM_400000_NS6detail17trampoline_kernelINS0_14default_configENS1_38merge_sort_block_merge_config_selectorIjN6thrust23THRUST_200600_302600_NS5tupleIffNS6_9null_typeES8_S8_S8_S8_S8_S8_S8_EEEEZZNS1_27merge_sort_block_merge_implIS3_NS6_6detail15normal_iteratorINS6_10device_ptrIjEEEENSD_INSE_IS9_EEEEjNS1_19radix_merge_compareILb0ELb1EjNS0_19identity_decomposerEEEEE10hipError_tT0_T1_T2_jT3_P12ihipStream_tbPNSt15iterator_traitsISN_E10value_typeEPNST_ISO_E10value_typeEPSP_NS1_7vsmem_tEENKUlT_SN_SO_SP_E_clISG_PjSI_PS9_EESM_S12_SN_SO_SP_EUlS12_E0_NS1_11comp_targetILNS1_3genE4ELNS1_11target_archE910ELNS1_3gpuE8ELNS1_3repE0EEENS1_38merge_mergepath_config_static_selectorELNS0_4arch9wavefront6targetE0EEEvSO_,comdat
.Lfunc_end126:
	.size	_ZN7rocprim17ROCPRIM_400000_NS6detail17trampoline_kernelINS0_14default_configENS1_38merge_sort_block_merge_config_selectorIjN6thrust23THRUST_200600_302600_NS5tupleIffNS6_9null_typeES8_S8_S8_S8_S8_S8_S8_EEEEZZNS1_27merge_sort_block_merge_implIS3_NS6_6detail15normal_iteratorINS6_10device_ptrIjEEEENSD_INSE_IS9_EEEEjNS1_19radix_merge_compareILb0ELb1EjNS0_19identity_decomposerEEEEE10hipError_tT0_T1_T2_jT3_P12ihipStream_tbPNSt15iterator_traitsISN_E10value_typeEPNST_ISO_E10value_typeEPSP_NS1_7vsmem_tEENKUlT_SN_SO_SP_E_clISG_PjSI_PS9_EESM_S12_SN_SO_SP_EUlS12_E0_NS1_11comp_targetILNS1_3genE4ELNS1_11target_archE910ELNS1_3gpuE8ELNS1_3repE0EEENS1_38merge_mergepath_config_static_selectorELNS0_4arch9wavefront6targetE0EEEvSO_, .Lfunc_end126-_ZN7rocprim17ROCPRIM_400000_NS6detail17trampoline_kernelINS0_14default_configENS1_38merge_sort_block_merge_config_selectorIjN6thrust23THRUST_200600_302600_NS5tupleIffNS6_9null_typeES8_S8_S8_S8_S8_S8_S8_EEEEZZNS1_27merge_sort_block_merge_implIS3_NS6_6detail15normal_iteratorINS6_10device_ptrIjEEEENSD_INSE_IS9_EEEEjNS1_19radix_merge_compareILb0ELb1EjNS0_19identity_decomposerEEEEE10hipError_tT0_T1_T2_jT3_P12ihipStream_tbPNSt15iterator_traitsISN_E10value_typeEPNST_ISO_E10value_typeEPSP_NS1_7vsmem_tEENKUlT_SN_SO_SP_E_clISG_PjSI_PS9_EESM_S12_SN_SO_SP_EUlS12_E0_NS1_11comp_targetILNS1_3genE4ELNS1_11target_archE910ELNS1_3gpuE8ELNS1_3repE0EEENS1_38merge_mergepath_config_static_selectorELNS0_4arch9wavefront6targetE0EEEvSO_
                                        ; -- End function
	.set _ZN7rocprim17ROCPRIM_400000_NS6detail17trampoline_kernelINS0_14default_configENS1_38merge_sort_block_merge_config_selectorIjN6thrust23THRUST_200600_302600_NS5tupleIffNS6_9null_typeES8_S8_S8_S8_S8_S8_S8_EEEEZZNS1_27merge_sort_block_merge_implIS3_NS6_6detail15normal_iteratorINS6_10device_ptrIjEEEENSD_INSE_IS9_EEEEjNS1_19radix_merge_compareILb0ELb1EjNS0_19identity_decomposerEEEEE10hipError_tT0_T1_T2_jT3_P12ihipStream_tbPNSt15iterator_traitsISN_E10value_typeEPNST_ISO_E10value_typeEPSP_NS1_7vsmem_tEENKUlT_SN_SO_SP_E_clISG_PjSI_PS9_EESM_S12_SN_SO_SP_EUlS12_E0_NS1_11comp_targetILNS1_3genE4ELNS1_11target_archE910ELNS1_3gpuE8ELNS1_3repE0EEENS1_38merge_mergepath_config_static_selectorELNS0_4arch9wavefront6targetE0EEEvSO_.num_vgpr, 0
	.set _ZN7rocprim17ROCPRIM_400000_NS6detail17trampoline_kernelINS0_14default_configENS1_38merge_sort_block_merge_config_selectorIjN6thrust23THRUST_200600_302600_NS5tupleIffNS6_9null_typeES8_S8_S8_S8_S8_S8_S8_EEEEZZNS1_27merge_sort_block_merge_implIS3_NS6_6detail15normal_iteratorINS6_10device_ptrIjEEEENSD_INSE_IS9_EEEEjNS1_19radix_merge_compareILb0ELb1EjNS0_19identity_decomposerEEEEE10hipError_tT0_T1_T2_jT3_P12ihipStream_tbPNSt15iterator_traitsISN_E10value_typeEPNST_ISO_E10value_typeEPSP_NS1_7vsmem_tEENKUlT_SN_SO_SP_E_clISG_PjSI_PS9_EESM_S12_SN_SO_SP_EUlS12_E0_NS1_11comp_targetILNS1_3genE4ELNS1_11target_archE910ELNS1_3gpuE8ELNS1_3repE0EEENS1_38merge_mergepath_config_static_selectorELNS0_4arch9wavefront6targetE0EEEvSO_.num_agpr, 0
	.set _ZN7rocprim17ROCPRIM_400000_NS6detail17trampoline_kernelINS0_14default_configENS1_38merge_sort_block_merge_config_selectorIjN6thrust23THRUST_200600_302600_NS5tupleIffNS6_9null_typeES8_S8_S8_S8_S8_S8_S8_EEEEZZNS1_27merge_sort_block_merge_implIS3_NS6_6detail15normal_iteratorINS6_10device_ptrIjEEEENSD_INSE_IS9_EEEEjNS1_19radix_merge_compareILb0ELb1EjNS0_19identity_decomposerEEEEE10hipError_tT0_T1_T2_jT3_P12ihipStream_tbPNSt15iterator_traitsISN_E10value_typeEPNST_ISO_E10value_typeEPSP_NS1_7vsmem_tEENKUlT_SN_SO_SP_E_clISG_PjSI_PS9_EESM_S12_SN_SO_SP_EUlS12_E0_NS1_11comp_targetILNS1_3genE4ELNS1_11target_archE910ELNS1_3gpuE8ELNS1_3repE0EEENS1_38merge_mergepath_config_static_selectorELNS0_4arch9wavefront6targetE0EEEvSO_.numbered_sgpr, 0
	.set _ZN7rocprim17ROCPRIM_400000_NS6detail17trampoline_kernelINS0_14default_configENS1_38merge_sort_block_merge_config_selectorIjN6thrust23THRUST_200600_302600_NS5tupleIffNS6_9null_typeES8_S8_S8_S8_S8_S8_S8_EEEEZZNS1_27merge_sort_block_merge_implIS3_NS6_6detail15normal_iteratorINS6_10device_ptrIjEEEENSD_INSE_IS9_EEEEjNS1_19radix_merge_compareILb0ELb1EjNS0_19identity_decomposerEEEEE10hipError_tT0_T1_T2_jT3_P12ihipStream_tbPNSt15iterator_traitsISN_E10value_typeEPNST_ISO_E10value_typeEPSP_NS1_7vsmem_tEENKUlT_SN_SO_SP_E_clISG_PjSI_PS9_EESM_S12_SN_SO_SP_EUlS12_E0_NS1_11comp_targetILNS1_3genE4ELNS1_11target_archE910ELNS1_3gpuE8ELNS1_3repE0EEENS1_38merge_mergepath_config_static_selectorELNS0_4arch9wavefront6targetE0EEEvSO_.num_named_barrier, 0
	.set _ZN7rocprim17ROCPRIM_400000_NS6detail17trampoline_kernelINS0_14default_configENS1_38merge_sort_block_merge_config_selectorIjN6thrust23THRUST_200600_302600_NS5tupleIffNS6_9null_typeES8_S8_S8_S8_S8_S8_S8_EEEEZZNS1_27merge_sort_block_merge_implIS3_NS6_6detail15normal_iteratorINS6_10device_ptrIjEEEENSD_INSE_IS9_EEEEjNS1_19radix_merge_compareILb0ELb1EjNS0_19identity_decomposerEEEEE10hipError_tT0_T1_T2_jT3_P12ihipStream_tbPNSt15iterator_traitsISN_E10value_typeEPNST_ISO_E10value_typeEPSP_NS1_7vsmem_tEENKUlT_SN_SO_SP_E_clISG_PjSI_PS9_EESM_S12_SN_SO_SP_EUlS12_E0_NS1_11comp_targetILNS1_3genE4ELNS1_11target_archE910ELNS1_3gpuE8ELNS1_3repE0EEENS1_38merge_mergepath_config_static_selectorELNS0_4arch9wavefront6targetE0EEEvSO_.private_seg_size, 0
	.set _ZN7rocprim17ROCPRIM_400000_NS6detail17trampoline_kernelINS0_14default_configENS1_38merge_sort_block_merge_config_selectorIjN6thrust23THRUST_200600_302600_NS5tupleIffNS6_9null_typeES8_S8_S8_S8_S8_S8_S8_EEEEZZNS1_27merge_sort_block_merge_implIS3_NS6_6detail15normal_iteratorINS6_10device_ptrIjEEEENSD_INSE_IS9_EEEEjNS1_19radix_merge_compareILb0ELb1EjNS0_19identity_decomposerEEEEE10hipError_tT0_T1_T2_jT3_P12ihipStream_tbPNSt15iterator_traitsISN_E10value_typeEPNST_ISO_E10value_typeEPSP_NS1_7vsmem_tEENKUlT_SN_SO_SP_E_clISG_PjSI_PS9_EESM_S12_SN_SO_SP_EUlS12_E0_NS1_11comp_targetILNS1_3genE4ELNS1_11target_archE910ELNS1_3gpuE8ELNS1_3repE0EEENS1_38merge_mergepath_config_static_selectorELNS0_4arch9wavefront6targetE0EEEvSO_.uses_vcc, 0
	.set _ZN7rocprim17ROCPRIM_400000_NS6detail17trampoline_kernelINS0_14default_configENS1_38merge_sort_block_merge_config_selectorIjN6thrust23THRUST_200600_302600_NS5tupleIffNS6_9null_typeES8_S8_S8_S8_S8_S8_S8_EEEEZZNS1_27merge_sort_block_merge_implIS3_NS6_6detail15normal_iteratorINS6_10device_ptrIjEEEENSD_INSE_IS9_EEEEjNS1_19radix_merge_compareILb0ELb1EjNS0_19identity_decomposerEEEEE10hipError_tT0_T1_T2_jT3_P12ihipStream_tbPNSt15iterator_traitsISN_E10value_typeEPNST_ISO_E10value_typeEPSP_NS1_7vsmem_tEENKUlT_SN_SO_SP_E_clISG_PjSI_PS9_EESM_S12_SN_SO_SP_EUlS12_E0_NS1_11comp_targetILNS1_3genE4ELNS1_11target_archE910ELNS1_3gpuE8ELNS1_3repE0EEENS1_38merge_mergepath_config_static_selectorELNS0_4arch9wavefront6targetE0EEEvSO_.uses_flat_scratch, 0
	.set _ZN7rocprim17ROCPRIM_400000_NS6detail17trampoline_kernelINS0_14default_configENS1_38merge_sort_block_merge_config_selectorIjN6thrust23THRUST_200600_302600_NS5tupleIffNS6_9null_typeES8_S8_S8_S8_S8_S8_S8_EEEEZZNS1_27merge_sort_block_merge_implIS3_NS6_6detail15normal_iteratorINS6_10device_ptrIjEEEENSD_INSE_IS9_EEEEjNS1_19radix_merge_compareILb0ELb1EjNS0_19identity_decomposerEEEEE10hipError_tT0_T1_T2_jT3_P12ihipStream_tbPNSt15iterator_traitsISN_E10value_typeEPNST_ISO_E10value_typeEPSP_NS1_7vsmem_tEENKUlT_SN_SO_SP_E_clISG_PjSI_PS9_EESM_S12_SN_SO_SP_EUlS12_E0_NS1_11comp_targetILNS1_3genE4ELNS1_11target_archE910ELNS1_3gpuE8ELNS1_3repE0EEENS1_38merge_mergepath_config_static_selectorELNS0_4arch9wavefront6targetE0EEEvSO_.has_dyn_sized_stack, 0
	.set _ZN7rocprim17ROCPRIM_400000_NS6detail17trampoline_kernelINS0_14default_configENS1_38merge_sort_block_merge_config_selectorIjN6thrust23THRUST_200600_302600_NS5tupleIffNS6_9null_typeES8_S8_S8_S8_S8_S8_S8_EEEEZZNS1_27merge_sort_block_merge_implIS3_NS6_6detail15normal_iteratorINS6_10device_ptrIjEEEENSD_INSE_IS9_EEEEjNS1_19radix_merge_compareILb0ELb1EjNS0_19identity_decomposerEEEEE10hipError_tT0_T1_T2_jT3_P12ihipStream_tbPNSt15iterator_traitsISN_E10value_typeEPNST_ISO_E10value_typeEPSP_NS1_7vsmem_tEENKUlT_SN_SO_SP_E_clISG_PjSI_PS9_EESM_S12_SN_SO_SP_EUlS12_E0_NS1_11comp_targetILNS1_3genE4ELNS1_11target_archE910ELNS1_3gpuE8ELNS1_3repE0EEENS1_38merge_mergepath_config_static_selectorELNS0_4arch9wavefront6targetE0EEEvSO_.has_recursion, 0
	.set _ZN7rocprim17ROCPRIM_400000_NS6detail17trampoline_kernelINS0_14default_configENS1_38merge_sort_block_merge_config_selectorIjN6thrust23THRUST_200600_302600_NS5tupleIffNS6_9null_typeES8_S8_S8_S8_S8_S8_S8_EEEEZZNS1_27merge_sort_block_merge_implIS3_NS6_6detail15normal_iteratorINS6_10device_ptrIjEEEENSD_INSE_IS9_EEEEjNS1_19radix_merge_compareILb0ELb1EjNS0_19identity_decomposerEEEEE10hipError_tT0_T1_T2_jT3_P12ihipStream_tbPNSt15iterator_traitsISN_E10value_typeEPNST_ISO_E10value_typeEPSP_NS1_7vsmem_tEENKUlT_SN_SO_SP_E_clISG_PjSI_PS9_EESM_S12_SN_SO_SP_EUlS12_E0_NS1_11comp_targetILNS1_3genE4ELNS1_11target_archE910ELNS1_3gpuE8ELNS1_3repE0EEENS1_38merge_mergepath_config_static_selectorELNS0_4arch9wavefront6targetE0EEEvSO_.has_indirect_call, 0
	.section	.AMDGPU.csdata,"",@progbits
; Kernel info:
; codeLenInByte = 0
; TotalNumSgprs: 0
; NumVgprs: 0
; ScratchSize: 0
; MemoryBound: 0
; FloatMode: 240
; IeeeMode: 1
; LDSByteSize: 0 bytes/workgroup (compile time only)
; SGPRBlocks: 0
; VGPRBlocks: 0
; NumSGPRsForWavesPerEU: 1
; NumVGPRsForWavesPerEU: 1
; Occupancy: 16
; WaveLimiterHint : 0
; COMPUTE_PGM_RSRC2:SCRATCH_EN: 0
; COMPUTE_PGM_RSRC2:USER_SGPR: 6
; COMPUTE_PGM_RSRC2:TRAP_HANDLER: 0
; COMPUTE_PGM_RSRC2:TGID_X_EN: 1
; COMPUTE_PGM_RSRC2:TGID_Y_EN: 0
; COMPUTE_PGM_RSRC2:TGID_Z_EN: 0
; COMPUTE_PGM_RSRC2:TIDIG_COMP_CNT: 0
	.section	.text._ZN7rocprim17ROCPRIM_400000_NS6detail17trampoline_kernelINS0_14default_configENS1_38merge_sort_block_merge_config_selectorIjN6thrust23THRUST_200600_302600_NS5tupleIffNS6_9null_typeES8_S8_S8_S8_S8_S8_S8_EEEEZZNS1_27merge_sort_block_merge_implIS3_NS6_6detail15normal_iteratorINS6_10device_ptrIjEEEENSD_INSE_IS9_EEEEjNS1_19radix_merge_compareILb0ELb1EjNS0_19identity_decomposerEEEEE10hipError_tT0_T1_T2_jT3_P12ihipStream_tbPNSt15iterator_traitsISN_E10value_typeEPNST_ISO_E10value_typeEPSP_NS1_7vsmem_tEENKUlT_SN_SO_SP_E_clISG_PjSI_PS9_EESM_S12_SN_SO_SP_EUlS12_E0_NS1_11comp_targetILNS1_3genE3ELNS1_11target_archE908ELNS1_3gpuE7ELNS1_3repE0EEENS1_38merge_mergepath_config_static_selectorELNS0_4arch9wavefront6targetE0EEEvSO_,"axG",@progbits,_ZN7rocprim17ROCPRIM_400000_NS6detail17trampoline_kernelINS0_14default_configENS1_38merge_sort_block_merge_config_selectorIjN6thrust23THRUST_200600_302600_NS5tupleIffNS6_9null_typeES8_S8_S8_S8_S8_S8_S8_EEEEZZNS1_27merge_sort_block_merge_implIS3_NS6_6detail15normal_iteratorINS6_10device_ptrIjEEEENSD_INSE_IS9_EEEEjNS1_19radix_merge_compareILb0ELb1EjNS0_19identity_decomposerEEEEE10hipError_tT0_T1_T2_jT3_P12ihipStream_tbPNSt15iterator_traitsISN_E10value_typeEPNST_ISO_E10value_typeEPSP_NS1_7vsmem_tEENKUlT_SN_SO_SP_E_clISG_PjSI_PS9_EESM_S12_SN_SO_SP_EUlS12_E0_NS1_11comp_targetILNS1_3genE3ELNS1_11target_archE908ELNS1_3gpuE7ELNS1_3repE0EEENS1_38merge_mergepath_config_static_selectorELNS0_4arch9wavefront6targetE0EEEvSO_,comdat
	.protected	_ZN7rocprim17ROCPRIM_400000_NS6detail17trampoline_kernelINS0_14default_configENS1_38merge_sort_block_merge_config_selectorIjN6thrust23THRUST_200600_302600_NS5tupleIffNS6_9null_typeES8_S8_S8_S8_S8_S8_S8_EEEEZZNS1_27merge_sort_block_merge_implIS3_NS6_6detail15normal_iteratorINS6_10device_ptrIjEEEENSD_INSE_IS9_EEEEjNS1_19radix_merge_compareILb0ELb1EjNS0_19identity_decomposerEEEEE10hipError_tT0_T1_T2_jT3_P12ihipStream_tbPNSt15iterator_traitsISN_E10value_typeEPNST_ISO_E10value_typeEPSP_NS1_7vsmem_tEENKUlT_SN_SO_SP_E_clISG_PjSI_PS9_EESM_S12_SN_SO_SP_EUlS12_E0_NS1_11comp_targetILNS1_3genE3ELNS1_11target_archE908ELNS1_3gpuE7ELNS1_3repE0EEENS1_38merge_mergepath_config_static_selectorELNS0_4arch9wavefront6targetE0EEEvSO_ ; -- Begin function _ZN7rocprim17ROCPRIM_400000_NS6detail17trampoline_kernelINS0_14default_configENS1_38merge_sort_block_merge_config_selectorIjN6thrust23THRUST_200600_302600_NS5tupleIffNS6_9null_typeES8_S8_S8_S8_S8_S8_S8_EEEEZZNS1_27merge_sort_block_merge_implIS3_NS6_6detail15normal_iteratorINS6_10device_ptrIjEEEENSD_INSE_IS9_EEEEjNS1_19radix_merge_compareILb0ELb1EjNS0_19identity_decomposerEEEEE10hipError_tT0_T1_T2_jT3_P12ihipStream_tbPNSt15iterator_traitsISN_E10value_typeEPNST_ISO_E10value_typeEPSP_NS1_7vsmem_tEENKUlT_SN_SO_SP_E_clISG_PjSI_PS9_EESM_S12_SN_SO_SP_EUlS12_E0_NS1_11comp_targetILNS1_3genE3ELNS1_11target_archE908ELNS1_3gpuE7ELNS1_3repE0EEENS1_38merge_mergepath_config_static_selectorELNS0_4arch9wavefront6targetE0EEEvSO_
	.globl	_ZN7rocprim17ROCPRIM_400000_NS6detail17trampoline_kernelINS0_14default_configENS1_38merge_sort_block_merge_config_selectorIjN6thrust23THRUST_200600_302600_NS5tupleIffNS6_9null_typeES8_S8_S8_S8_S8_S8_S8_EEEEZZNS1_27merge_sort_block_merge_implIS3_NS6_6detail15normal_iteratorINS6_10device_ptrIjEEEENSD_INSE_IS9_EEEEjNS1_19radix_merge_compareILb0ELb1EjNS0_19identity_decomposerEEEEE10hipError_tT0_T1_T2_jT3_P12ihipStream_tbPNSt15iterator_traitsISN_E10value_typeEPNST_ISO_E10value_typeEPSP_NS1_7vsmem_tEENKUlT_SN_SO_SP_E_clISG_PjSI_PS9_EESM_S12_SN_SO_SP_EUlS12_E0_NS1_11comp_targetILNS1_3genE3ELNS1_11target_archE908ELNS1_3gpuE7ELNS1_3repE0EEENS1_38merge_mergepath_config_static_selectorELNS0_4arch9wavefront6targetE0EEEvSO_
	.p2align	8
	.type	_ZN7rocprim17ROCPRIM_400000_NS6detail17trampoline_kernelINS0_14default_configENS1_38merge_sort_block_merge_config_selectorIjN6thrust23THRUST_200600_302600_NS5tupleIffNS6_9null_typeES8_S8_S8_S8_S8_S8_S8_EEEEZZNS1_27merge_sort_block_merge_implIS3_NS6_6detail15normal_iteratorINS6_10device_ptrIjEEEENSD_INSE_IS9_EEEEjNS1_19radix_merge_compareILb0ELb1EjNS0_19identity_decomposerEEEEE10hipError_tT0_T1_T2_jT3_P12ihipStream_tbPNSt15iterator_traitsISN_E10value_typeEPNST_ISO_E10value_typeEPSP_NS1_7vsmem_tEENKUlT_SN_SO_SP_E_clISG_PjSI_PS9_EESM_S12_SN_SO_SP_EUlS12_E0_NS1_11comp_targetILNS1_3genE3ELNS1_11target_archE908ELNS1_3gpuE7ELNS1_3repE0EEENS1_38merge_mergepath_config_static_selectorELNS0_4arch9wavefront6targetE0EEEvSO_,@function
_ZN7rocprim17ROCPRIM_400000_NS6detail17trampoline_kernelINS0_14default_configENS1_38merge_sort_block_merge_config_selectorIjN6thrust23THRUST_200600_302600_NS5tupleIffNS6_9null_typeES8_S8_S8_S8_S8_S8_S8_EEEEZZNS1_27merge_sort_block_merge_implIS3_NS6_6detail15normal_iteratorINS6_10device_ptrIjEEEENSD_INSE_IS9_EEEEjNS1_19radix_merge_compareILb0ELb1EjNS0_19identity_decomposerEEEEE10hipError_tT0_T1_T2_jT3_P12ihipStream_tbPNSt15iterator_traitsISN_E10value_typeEPNST_ISO_E10value_typeEPSP_NS1_7vsmem_tEENKUlT_SN_SO_SP_E_clISG_PjSI_PS9_EESM_S12_SN_SO_SP_EUlS12_E0_NS1_11comp_targetILNS1_3genE3ELNS1_11target_archE908ELNS1_3gpuE7ELNS1_3repE0EEENS1_38merge_mergepath_config_static_selectorELNS0_4arch9wavefront6targetE0EEEvSO_: ; @_ZN7rocprim17ROCPRIM_400000_NS6detail17trampoline_kernelINS0_14default_configENS1_38merge_sort_block_merge_config_selectorIjN6thrust23THRUST_200600_302600_NS5tupleIffNS6_9null_typeES8_S8_S8_S8_S8_S8_S8_EEEEZZNS1_27merge_sort_block_merge_implIS3_NS6_6detail15normal_iteratorINS6_10device_ptrIjEEEENSD_INSE_IS9_EEEEjNS1_19radix_merge_compareILb0ELb1EjNS0_19identity_decomposerEEEEE10hipError_tT0_T1_T2_jT3_P12ihipStream_tbPNSt15iterator_traitsISN_E10value_typeEPNST_ISO_E10value_typeEPSP_NS1_7vsmem_tEENKUlT_SN_SO_SP_E_clISG_PjSI_PS9_EESM_S12_SN_SO_SP_EUlS12_E0_NS1_11comp_targetILNS1_3genE3ELNS1_11target_archE908ELNS1_3gpuE7ELNS1_3repE0EEENS1_38merge_mergepath_config_static_selectorELNS0_4arch9wavefront6targetE0EEEvSO_
; %bb.0:
	.section	.rodata,"a",@progbits
	.p2align	6, 0x0
	.amdhsa_kernel _ZN7rocprim17ROCPRIM_400000_NS6detail17trampoline_kernelINS0_14default_configENS1_38merge_sort_block_merge_config_selectorIjN6thrust23THRUST_200600_302600_NS5tupleIffNS6_9null_typeES8_S8_S8_S8_S8_S8_S8_EEEEZZNS1_27merge_sort_block_merge_implIS3_NS6_6detail15normal_iteratorINS6_10device_ptrIjEEEENSD_INSE_IS9_EEEEjNS1_19radix_merge_compareILb0ELb1EjNS0_19identity_decomposerEEEEE10hipError_tT0_T1_T2_jT3_P12ihipStream_tbPNSt15iterator_traitsISN_E10value_typeEPNST_ISO_E10value_typeEPSP_NS1_7vsmem_tEENKUlT_SN_SO_SP_E_clISG_PjSI_PS9_EESM_S12_SN_SO_SP_EUlS12_E0_NS1_11comp_targetILNS1_3genE3ELNS1_11target_archE908ELNS1_3gpuE7ELNS1_3repE0EEENS1_38merge_mergepath_config_static_selectorELNS0_4arch9wavefront6targetE0EEEvSO_
		.amdhsa_group_segment_fixed_size 0
		.amdhsa_private_segment_fixed_size 0
		.amdhsa_kernarg_size 64
		.amdhsa_user_sgpr_count 6
		.amdhsa_user_sgpr_private_segment_buffer 1
		.amdhsa_user_sgpr_dispatch_ptr 0
		.amdhsa_user_sgpr_queue_ptr 0
		.amdhsa_user_sgpr_kernarg_segment_ptr 1
		.amdhsa_user_sgpr_dispatch_id 0
		.amdhsa_user_sgpr_flat_scratch_init 0
		.amdhsa_user_sgpr_private_segment_size 0
		.amdhsa_wavefront_size32 1
		.amdhsa_uses_dynamic_stack 0
		.amdhsa_system_sgpr_private_segment_wavefront_offset 0
		.amdhsa_system_sgpr_workgroup_id_x 1
		.amdhsa_system_sgpr_workgroup_id_y 0
		.amdhsa_system_sgpr_workgroup_id_z 0
		.amdhsa_system_sgpr_workgroup_info 0
		.amdhsa_system_vgpr_workitem_id 0
		.amdhsa_next_free_vgpr 1
		.amdhsa_next_free_sgpr 1
		.amdhsa_reserve_vcc 0
		.amdhsa_reserve_flat_scratch 0
		.amdhsa_float_round_mode_32 0
		.amdhsa_float_round_mode_16_64 0
		.amdhsa_float_denorm_mode_32 3
		.amdhsa_float_denorm_mode_16_64 3
		.amdhsa_dx10_clamp 1
		.amdhsa_ieee_mode 1
		.amdhsa_fp16_overflow 0
		.amdhsa_workgroup_processor_mode 1
		.amdhsa_memory_ordered 1
		.amdhsa_forward_progress 1
		.amdhsa_shared_vgpr_count 0
		.amdhsa_exception_fp_ieee_invalid_op 0
		.amdhsa_exception_fp_denorm_src 0
		.amdhsa_exception_fp_ieee_div_zero 0
		.amdhsa_exception_fp_ieee_overflow 0
		.amdhsa_exception_fp_ieee_underflow 0
		.amdhsa_exception_fp_ieee_inexact 0
		.amdhsa_exception_int_div_zero 0
	.end_amdhsa_kernel
	.section	.text._ZN7rocprim17ROCPRIM_400000_NS6detail17trampoline_kernelINS0_14default_configENS1_38merge_sort_block_merge_config_selectorIjN6thrust23THRUST_200600_302600_NS5tupleIffNS6_9null_typeES8_S8_S8_S8_S8_S8_S8_EEEEZZNS1_27merge_sort_block_merge_implIS3_NS6_6detail15normal_iteratorINS6_10device_ptrIjEEEENSD_INSE_IS9_EEEEjNS1_19radix_merge_compareILb0ELb1EjNS0_19identity_decomposerEEEEE10hipError_tT0_T1_T2_jT3_P12ihipStream_tbPNSt15iterator_traitsISN_E10value_typeEPNST_ISO_E10value_typeEPSP_NS1_7vsmem_tEENKUlT_SN_SO_SP_E_clISG_PjSI_PS9_EESM_S12_SN_SO_SP_EUlS12_E0_NS1_11comp_targetILNS1_3genE3ELNS1_11target_archE908ELNS1_3gpuE7ELNS1_3repE0EEENS1_38merge_mergepath_config_static_selectorELNS0_4arch9wavefront6targetE0EEEvSO_,"axG",@progbits,_ZN7rocprim17ROCPRIM_400000_NS6detail17trampoline_kernelINS0_14default_configENS1_38merge_sort_block_merge_config_selectorIjN6thrust23THRUST_200600_302600_NS5tupleIffNS6_9null_typeES8_S8_S8_S8_S8_S8_S8_EEEEZZNS1_27merge_sort_block_merge_implIS3_NS6_6detail15normal_iteratorINS6_10device_ptrIjEEEENSD_INSE_IS9_EEEEjNS1_19radix_merge_compareILb0ELb1EjNS0_19identity_decomposerEEEEE10hipError_tT0_T1_T2_jT3_P12ihipStream_tbPNSt15iterator_traitsISN_E10value_typeEPNST_ISO_E10value_typeEPSP_NS1_7vsmem_tEENKUlT_SN_SO_SP_E_clISG_PjSI_PS9_EESM_S12_SN_SO_SP_EUlS12_E0_NS1_11comp_targetILNS1_3genE3ELNS1_11target_archE908ELNS1_3gpuE7ELNS1_3repE0EEENS1_38merge_mergepath_config_static_selectorELNS0_4arch9wavefront6targetE0EEEvSO_,comdat
.Lfunc_end127:
	.size	_ZN7rocprim17ROCPRIM_400000_NS6detail17trampoline_kernelINS0_14default_configENS1_38merge_sort_block_merge_config_selectorIjN6thrust23THRUST_200600_302600_NS5tupleIffNS6_9null_typeES8_S8_S8_S8_S8_S8_S8_EEEEZZNS1_27merge_sort_block_merge_implIS3_NS6_6detail15normal_iteratorINS6_10device_ptrIjEEEENSD_INSE_IS9_EEEEjNS1_19radix_merge_compareILb0ELb1EjNS0_19identity_decomposerEEEEE10hipError_tT0_T1_T2_jT3_P12ihipStream_tbPNSt15iterator_traitsISN_E10value_typeEPNST_ISO_E10value_typeEPSP_NS1_7vsmem_tEENKUlT_SN_SO_SP_E_clISG_PjSI_PS9_EESM_S12_SN_SO_SP_EUlS12_E0_NS1_11comp_targetILNS1_3genE3ELNS1_11target_archE908ELNS1_3gpuE7ELNS1_3repE0EEENS1_38merge_mergepath_config_static_selectorELNS0_4arch9wavefront6targetE0EEEvSO_, .Lfunc_end127-_ZN7rocprim17ROCPRIM_400000_NS6detail17trampoline_kernelINS0_14default_configENS1_38merge_sort_block_merge_config_selectorIjN6thrust23THRUST_200600_302600_NS5tupleIffNS6_9null_typeES8_S8_S8_S8_S8_S8_S8_EEEEZZNS1_27merge_sort_block_merge_implIS3_NS6_6detail15normal_iteratorINS6_10device_ptrIjEEEENSD_INSE_IS9_EEEEjNS1_19radix_merge_compareILb0ELb1EjNS0_19identity_decomposerEEEEE10hipError_tT0_T1_T2_jT3_P12ihipStream_tbPNSt15iterator_traitsISN_E10value_typeEPNST_ISO_E10value_typeEPSP_NS1_7vsmem_tEENKUlT_SN_SO_SP_E_clISG_PjSI_PS9_EESM_S12_SN_SO_SP_EUlS12_E0_NS1_11comp_targetILNS1_3genE3ELNS1_11target_archE908ELNS1_3gpuE7ELNS1_3repE0EEENS1_38merge_mergepath_config_static_selectorELNS0_4arch9wavefront6targetE0EEEvSO_
                                        ; -- End function
	.set _ZN7rocprim17ROCPRIM_400000_NS6detail17trampoline_kernelINS0_14default_configENS1_38merge_sort_block_merge_config_selectorIjN6thrust23THRUST_200600_302600_NS5tupleIffNS6_9null_typeES8_S8_S8_S8_S8_S8_S8_EEEEZZNS1_27merge_sort_block_merge_implIS3_NS6_6detail15normal_iteratorINS6_10device_ptrIjEEEENSD_INSE_IS9_EEEEjNS1_19radix_merge_compareILb0ELb1EjNS0_19identity_decomposerEEEEE10hipError_tT0_T1_T2_jT3_P12ihipStream_tbPNSt15iterator_traitsISN_E10value_typeEPNST_ISO_E10value_typeEPSP_NS1_7vsmem_tEENKUlT_SN_SO_SP_E_clISG_PjSI_PS9_EESM_S12_SN_SO_SP_EUlS12_E0_NS1_11comp_targetILNS1_3genE3ELNS1_11target_archE908ELNS1_3gpuE7ELNS1_3repE0EEENS1_38merge_mergepath_config_static_selectorELNS0_4arch9wavefront6targetE0EEEvSO_.num_vgpr, 0
	.set _ZN7rocprim17ROCPRIM_400000_NS6detail17trampoline_kernelINS0_14default_configENS1_38merge_sort_block_merge_config_selectorIjN6thrust23THRUST_200600_302600_NS5tupleIffNS6_9null_typeES8_S8_S8_S8_S8_S8_S8_EEEEZZNS1_27merge_sort_block_merge_implIS3_NS6_6detail15normal_iteratorINS6_10device_ptrIjEEEENSD_INSE_IS9_EEEEjNS1_19radix_merge_compareILb0ELb1EjNS0_19identity_decomposerEEEEE10hipError_tT0_T1_T2_jT3_P12ihipStream_tbPNSt15iterator_traitsISN_E10value_typeEPNST_ISO_E10value_typeEPSP_NS1_7vsmem_tEENKUlT_SN_SO_SP_E_clISG_PjSI_PS9_EESM_S12_SN_SO_SP_EUlS12_E0_NS1_11comp_targetILNS1_3genE3ELNS1_11target_archE908ELNS1_3gpuE7ELNS1_3repE0EEENS1_38merge_mergepath_config_static_selectorELNS0_4arch9wavefront6targetE0EEEvSO_.num_agpr, 0
	.set _ZN7rocprim17ROCPRIM_400000_NS6detail17trampoline_kernelINS0_14default_configENS1_38merge_sort_block_merge_config_selectorIjN6thrust23THRUST_200600_302600_NS5tupleIffNS6_9null_typeES8_S8_S8_S8_S8_S8_S8_EEEEZZNS1_27merge_sort_block_merge_implIS3_NS6_6detail15normal_iteratorINS6_10device_ptrIjEEEENSD_INSE_IS9_EEEEjNS1_19radix_merge_compareILb0ELb1EjNS0_19identity_decomposerEEEEE10hipError_tT0_T1_T2_jT3_P12ihipStream_tbPNSt15iterator_traitsISN_E10value_typeEPNST_ISO_E10value_typeEPSP_NS1_7vsmem_tEENKUlT_SN_SO_SP_E_clISG_PjSI_PS9_EESM_S12_SN_SO_SP_EUlS12_E0_NS1_11comp_targetILNS1_3genE3ELNS1_11target_archE908ELNS1_3gpuE7ELNS1_3repE0EEENS1_38merge_mergepath_config_static_selectorELNS0_4arch9wavefront6targetE0EEEvSO_.numbered_sgpr, 0
	.set _ZN7rocprim17ROCPRIM_400000_NS6detail17trampoline_kernelINS0_14default_configENS1_38merge_sort_block_merge_config_selectorIjN6thrust23THRUST_200600_302600_NS5tupleIffNS6_9null_typeES8_S8_S8_S8_S8_S8_S8_EEEEZZNS1_27merge_sort_block_merge_implIS3_NS6_6detail15normal_iteratorINS6_10device_ptrIjEEEENSD_INSE_IS9_EEEEjNS1_19radix_merge_compareILb0ELb1EjNS0_19identity_decomposerEEEEE10hipError_tT0_T1_T2_jT3_P12ihipStream_tbPNSt15iterator_traitsISN_E10value_typeEPNST_ISO_E10value_typeEPSP_NS1_7vsmem_tEENKUlT_SN_SO_SP_E_clISG_PjSI_PS9_EESM_S12_SN_SO_SP_EUlS12_E0_NS1_11comp_targetILNS1_3genE3ELNS1_11target_archE908ELNS1_3gpuE7ELNS1_3repE0EEENS1_38merge_mergepath_config_static_selectorELNS0_4arch9wavefront6targetE0EEEvSO_.num_named_barrier, 0
	.set _ZN7rocprim17ROCPRIM_400000_NS6detail17trampoline_kernelINS0_14default_configENS1_38merge_sort_block_merge_config_selectorIjN6thrust23THRUST_200600_302600_NS5tupleIffNS6_9null_typeES8_S8_S8_S8_S8_S8_S8_EEEEZZNS1_27merge_sort_block_merge_implIS3_NS6_6detail15normal_iteratorINS6_10device_ptrIjEEEENSD_INSE_IS9_EEEEjNS1_19radix_merge_compareILb0ELb1EjNS0_19identity_decomposerEEEEE10hipError_tT0_T1_T2_jT3_P12ihipStream_tbPNSt15iterator_traitsISN_E10value_typeEPNST_ISO_E10value_typeEPSP_NS1_7vsmem_tEENKUlT_SN_SO_SP_E_clISG_PjSI_PS9_EESM_S12_SN_SO_SP_EUlS12_E0_NS1_11comp_targetILNS1_3genE3ELNS1_11target_archE908ELNS1_3gpuE7ELNS1_3repE0EEENS1_38merge_mergepath_config_static_selectorELNS0_4arch9wavefront6targetE0EEEvSO_.private_seg_size, 0
	.set _ZN7rocprim17ROCPRIM_400000_NS6detail17trampoline_kernelINS0_14default_configENS1_38merge_sort_block_merge_config_selectorIjN6thrust23THRUST_200600_302600_NS5tupleIffNS6_9null_typeES8_S8_S8_S8_S8_S8_S8_EEEEZZNS1_27merge_sort_block_merge_implIS3_NS6_6detail15normal_iteratorINS6_10device_ptrIjEEEENSD_INSE_IS9_EEEEjNS1_19radix_merge_compareILb0ELb1EjNS0_19identity_decomposerEEEEE10hipError_tT0_T1_T2_jT3_P12ihipStream_tbPNSt15iterator_traitsISN_E10value_typeEPNST_ISO_E10value_typeEPSP_NS1_7vsmem_tEENKUlT_SN_SO_SP_E_clISG_PjSI_PS9_EESM_S12_SN_SO_SP_EUlS12_E0_NS1_11comp_targetILNS1_3genE3ELNS1_11target_archE908ELNS1_3gpuE7ELNS1_3repE0EEENS1_38merge_mergepath_config_static_selectorELNS0_4arch9wavefront6targetE0EEEvSO_.uses_vcc, 0
	.set _ZN7rocprim17ROCPRIM_400000_NS6detail17trampoline_kernelINS0_14default_configENS1_38merge_sort_block_merge_config_selectorIjN6thrust23THRUST_200600_302600_NS5tupleIffNS6_9null_typeES8_S8_S8_S8_S8_S8_S8_EEEEZZNS1_27merge_sort_block_merge_implIS3_NS6_6detail15normal_iteratorINS6_10device_ptrIjEEEENSD_INSE_IS9_EEEEjNS1_19radix_merge_compareILb0ELb1EjNS0_19identity_decomposerEEEEE10hipError_tT0_T1_T2_jT3_P12ihipStream_tbPNSt15iterator_traitsISN_E10value_typeEPNST_ISO_E10value_typeEPSP_NS1_7vsmem_tEENKUlT_SN_SO_SP_E_clISG_PjSI_PS9_EESM_S12_SN_SO_SP_EUlS12_E0_NS1_11comp_targetILNS1_3genE3ELNS1_11target_archE908ELNS1_3gpuE7ELNS1_3repE0EEENS1_38merge_mergepath_config_static_selectorELNS0_4arch9wavefront6targetE0EEEvSO_.uses_flat_scratch, 0
	.set _ZN7rocprim17ROCPRIM_400000_NS6detail17trampoline_kernelINS0_14default_configENS1_38merge_sort_block_merge_config_selectorIjN6thrust23THRUST_200600_302600_NS5tupleIffNS6_9null_typeES8_S8_S8_S8_S8_S8_S8_EEEEZZNS1_27merge_sort_block_merge_implIS3_NS6_6detail15normal_iteratorINS6_10device_ptrIjEEEENSD_INSE_IS9_EEEEjNS1_19radix_merge_compareILb0ELb1EjNS0_19identity_decomposerEEEEE10hipError_tT0_T1_T2_jT3_P12ihipStream_tbPNSt15iterator_traitsISN_E10value_typeEPNST_ISO_E10value_typeEPSP_NS1_7vsmem_tEENKUlT_SN_SO_SP_E_clISG_PjSI_PS9_EESM_S12_SN_SO_SP_EUlS12_E0_NS1_11comp_targetILNS1_3genE3ELNS1_11target_archE908ELNS1_3gpuE7ELNS1_3repE0EEENS1_38merge_mergepath_config_static_selectorELNS0_4arch9wavefront6targetE0EEEvSO_.has_dyn_sized_stack, 0
	.set _ZN7rocprim17ROCPRIM_400000_NS6detail17trampoline_kernelINS0_14default_configENS1_38merge_sort_block_merge_config_selectorIjN6thrust23THRUST_200600_302600_NS5tupleIffNS6_9null_typeES8_S8_S8_S8_S8_S8_S8_EEEEZZNS1_27merge_sort_block_merge_implIS3_NS6_6detail15normal_iteratorINS6_10device_ptrIjEEEENSD_INSE_IS9_EEEEjNS1_19radix_merge_compareILb0ELb1EjNS0_19identity_decomposerEEEEE10hipError_tT0_T1_T2_jT3_P12ihipStream_tbPNSt15iterator_traitsISN_E10value_typeEPNST_ISO_E10value_typeEPSP_NS1_7vsmem_tEENKUlT_SN_SO_SP_E_clISG_PjSI_PS9_EESM_S12_SN_SO_SP_EUlS12_E0_NS1_11comp_targetILNS1_3genE3ELNS1_11target_archE908ELNS1_3gpuE7ELNS1_3repE0EEENS1_38merge_mergepath_config_static_selectorELNS0_4arch9wavefront6targetE0EEEvSO_.has_recursion, 0
	.set _ZN7rocprim17ROCPRIM_400000_NS6detail17trampoline_kernelINS0_14default_configENS1_38merge_sort_block_merge_config_selectorIjN6thrust23THRUST_200600_302600_NS5tupleIffNS6_9null_typeES8_S8_S8_S8_S8_S8_S8_EEEEZZNS1_27merge_sort_block_merge_implIS3_NS6_6detail15normal_iteratorINS6_10device_ptrIjEEEENSD_INSE_IS9_EEEEjNS1_19radix_merge_compareILb0ELb1EjNS0_19identity_decomposerEEEEE10hipError_tT0_T1_T2_jT3_P12ihipStream_tbPNSt15iterator_traitsISN_E10value_typeEPNST_ISO_E10value_typeEPSP_NS1_7vsmem_tEENKUlT_SN_SO_SP_E_clISG_PjSI_PS9_EESM_S12_SN_SO_SP_EUlS12_E0_NS1_11comp_targetILNS1_3genE3ELNS1_11target_archE908ELNS1_3gpuE7ELNS1_3repE0EEENS1_38merge_mergepath_config_static_selectorELNS0_4arch9wavefront6targetE0EEEvSO_.has_indirect_call, 0
	.section	.AMDGPU.csdata,"",@progbits
; Kernel info:
; codeLenInByte = 0
; TotalNumSgprs: 0
; NumVgprs: 0
; ScratchSize: 0
; MemoryBound: 0
; FloatMode: 240
; IeeeMode: 1
; LDSByteSize: 0 bytes/workgroup (compile time only)
; SGPRBlocks: 0
; VGPRBlocks: 0
; NumSGPRsForWavesPerEU: 1
; NumVGPRsForWavesPerEU: 1
; Occupancy: 16
; WaveLimiterHint : 0
; COMPUTE_PGM_RSRC2:SCRATCH_EN: 0
; COMPUTE_PGM_RSRC2:USER_SGPR: 6
; COMPUTE_PGM_RSRC2:TRAP_HANDLER: 0
; COMPUTE_PGM_RSRC2:TGID_X_EN: 1
; COMPUTE_PGM_RSRC2:TGID_Y_EN: 0
; COMPUTE_PGM_RSRC2:TGID_Z_EN: 0
; COMPUTE_PGM_RSRC2:TIDIG_COMP_CNT: 0
	.section	.text._ZN7rocprim17ROCPRIM_400000_NS6detail17trampoline_kernelINS0_14default_configENS1_38merge_sort_block_merge_config_selectorIjN6thrust23THRUST_200600_302600_NS5tupleIffNS6_9null_typeES8_S8_S8_S8_S8_S8_S8_EEEEZZNS1_27merge_sort_block_merge_implIS3_NS6_6detail15normal_iteratorINS6_10device_ptrIjEEEENSD_INSE_IS9_EEEEjNS1_19radix_merge_compareILb0ELb1EjNS0_19identity_decomposerEEEEE10hipError_tT0_T1_T2_jT3_P12ihipStream_tbPNSt15iterator_traitsISN_E10value_typeEPNST_ISO_E10value_typeEPSP_NS1_7vsmem_tEENKUlT_SN_SO_SP_E_clISG_PjSI_PS9_EESM_S12_SN_SO_SP_EUlS12_E0_NS1_11comp_targetILNS1_3genE2ELNS1_11target_archE906ELNS1_3gpuE6ELNS1_3repE0EEENS1_38merge_mergepath_config_static_selectorELNS0_4arch9wavefront6targetE0EEEvSO_,"axG",@progbits,_ZN7rocprim17ROCPRIM_400000_NS6detail17trampoline_kernelINS0_14default_configENS1_38merge_sort_block_merge_config_selectorIjN6thrust23THRUST_200600_302600_NS5tupleIffNS6_9null_typeES8_S8_S8_S8_S8_S8_S8_EEEEZZNS1_27merge_sort_block_merge_implIS3_NS6_6detail15normal_iteratorINS6_10device_ptrIjEEEENSD_INSE_IS9_EEEEjNS1_19radix_merge_compareILb0ELb1EjNS0_19identity_decomposerEEEEE10hipError_tT0_T1_T2_jT3_P12ihipStream_tbPNSt15iterator_traitsISN_E10value_typeEPNST_ISO_E10value_typeEPSP_NS1_7vsmem_tEENKUlT_SN_SO_SP_E_clISG_PjSI_PS9_EESM_S12_SN_SO_SP_EUlS12_E0_NS1_11comp_targetILNS1_3genE2ELNS1_11target_archE906ELNS1_3gpuE6ELNS1_3repE0EEENS1_38merge_mergepath_config_static_selectorELNS0_4arch9wavefront6targetE0EEEvSO_,comdat
	.protected	_ZN7rocprim17ROCPRIM_400000_NS6detail17trampoline_kernelINS0_14default_configENS1_38merge_sort_block_merge_config_selectorIjN6thrust23THRUST_200600_302600_NS5tupleIffNS6_9null_typeES8_S8_S8_S8_S8_S8_S8_EEEEZZNS1_27merge_sort_block_merge_implIS3_NS6_6detail15normal_iteratorINS6_10device_ptrIjEEEENSD_INSE_IS9_EEEEjNS1_19radix_merge_compareILb0ELb1EjNS0_19identity_decomposerEEEEE10hipError_tT0_T1_T2_jT3_P12ihipStream_tbPNSt15iterator_traitsISN_E10value_typeEPNST_ISO_E10value_typeEPSP_NS1_7vsmem_tEENKUlT_SN_SO_SP_E_clISG_PjSI_PS9_EESM_S12_SN_SO_SP_EUlS12_E0_NS1_11comp_targetILNS1_3genE2ELNS1_11target_archE906ELNS1_3gpuE6ELNS1_3repE0EEENS1_38merge_mergepath_config_static_selectorELNS0_4arch9wavefront6targetE0EEEvSO_ ; -- Begin function _ZN7rocprim17ROCPRIM_400000_NS6detail17trampoline_kernelINS0_14default_configENS1_38merge_sort_block_merge_config_selectorIjN6thrust23THRUST_200600_302600_NS5tupleIffNS6_9null_typeES8_S8_S8_S8_S8_S8_S8_EEEEZZNS1_27merge_sort_block_merge_implIS3_NS6_6detail15normal_iteratorINS6_10device_ptrIjEEEENSD_INSE_IS9_EEEEjNS1_19radix_merge_compareILb0ELb1EjNS0_19identity_decomposerEEEEE10hipError_tT0_T1_T2_jT3_P12ihipStream_tbPNSt15iterator_traitsISN_E10value_typeEPNST_ISO_E10value_typeEPSP_NS1_7vsmem_tEENKUlT_SN_SO_SP_E_clISG_PjSI_PS9_EESM_S12_SN_SO_SP_EUlS12_E0_NS1_11comp_targetILNS1_3genE2ELNS1_11target_archE906ELNS1_3gpuE6ELNS1_3repE0EEENS1_38merge_mergepath_config_static_selectorELNS0_4arch9wavefront6targetE0EEEvSO_
	.globl	_ZN7rocprim17ROCPRIM_400000_NS6detail17trampoline_kernelINS0_14default_configENS1_38merge_sort_block_merge_config_selectorIjN6thrust23THRUST_200600_302600_NS5tupleIffNS6_9null_typeES8_S8_S8_S8_S8_S8_S8_EEEEZZNS1_27merge_sort_block_merge_implIS3_NS6_6detail15normal_iteratorINS6_10device_ptrIjEEEENSD_INSE_IS9_EEEEjNS1_19radix_merge_compareILb0ELb1EjNS0_19identity_decomposerEEEEE10hipError_tT0_T1_T2_jT3_P12ihipStream_tbPNSt15iterator_traitsISN_E10value_typeEPNST_ISO_E10value_typeEPSP_NS1_7vsmem_tEENKUlT_SN_SO_SP_E_clISG_PjSI_PS9_EESM_S12_SN_SO_SP_EUlS12_E0_NS1_11comp_targetILNS1_3genE2ELNS1_11target_archE906ELNS1_3gpuE6ELNS1_3repE0EEENS1_38merge_mergepath_config_static_selectorELNS0_4arch9wavefront6targetE0EEEvSO_
	.p2align	8
	.type	_ZN7rocprim17ROCPRIM_400000_NS6detail17trampoline_kernelINS0_14default_configENS1_38merge_sort_block_merge_config_selectorIjN6thrust23THRUST_200600_302600_NS5tupleIffNS6_9null_typeES8_S8_S8_S8_S8_S8_S8_EEEEZZNS1_27merge_sort_block_merge_implIS3_NS6_6detail15normal_iteratorINS6_10device_ptrIjEEEENSD_INSE_IS9_EEEEjNS1_19radix_merge_compareILb0ELb1EjNS0_19identity_decomposerEEEEE10hipError_tT0_T1_T2_jT3_P12ihipStream_tbPNSt15iterator_traitsISN_E10value_typeEPNST_ISO_E10value_typeEPSP_NS1_7vsmem_tEENKUlT_SN_SO_SP_E_clISG_PjSI_PS9_EESM_S12_SN_SO_SP_EUlS12_E0_NS1_11comp_targetILNS1_3genE2ELNS1_11target_archE906ELNS1_3gpuE6ELNS1_3repE0EEENS1_38merge_mergepath_config_static_selectorELNS0_4arch9wavefront6targetE0EEEvSO_,@function
_ZN7rocprim17ROCPRIM_400000_NS6detail17trampoline_kernelINS0_14default_configENS1_38merge_sort_block_merge_config_selectorIjN6thrust23THRUST_200600_302600_NS5tupleIffNS6_9null_typeES8_S8_S8_S8_S8_S8_S8_EEEEZZNS1_27merge_sort_block_merge_implIS3_NS6_6detail15normal_iteratorINS6_10device_ptrIjEEEENSD_INSE_IS9_EEEEjNS1_19radix_merge_compareILb0ELb1EjNS0_19identity_decomposerEEEEE10hipError_tT0_T1_T2_jT3_P12ihipStream_tbPNSt15iterator_traitsISN_E10value_typeEPNST_ISO_E10value_typeEPSP_NS1_7vsmem_tEENKUlT_SN_SO_SP_E_clISG_PjSI_PS9_EESM_S12_SN_SO_SP_EUlS12_E0_NS1_11comp_targetILNS1_3genE2ELNS1_11target_archE906ELNS1_3gpuE6ELNS1_3repE0EEENS1_38merge_mergepath_config_static_selectorELNS0_4arch9wavefront6targetE0EEEvSO_: ; @_ZN7rocprim17ROCPRIM_400000_NS6detail17trampoline_kernelINS0_14default_configENS1_38merge_sort_block_merge_config_selectorIjN6thrust23THRUST_200600_302600_NS5tupleIffNS6_9null_typeES8_S8_S8_S8_S8_S8_S8_EEEEZZNS1_27merge_sort_block_merge_implIS3_NS6_6detail15normal_iteratorINS6_10device_ptrIjEEEENSD_INSE_IS9_EEEEjNS1_19radix_merge_compareILb0ELb1EjNS0_19identity_decomposerEEEEE10hipError_tT0_T1_T2_jT3_P12ihipStream_tbPNSt15iterator_traitsISN_E10value_typeEPNST_ISO_E10value_typeEPSP_NS1_7vsmem_tEENKUlT_SN_SO_SP_E_clISG_PjSI_PS9_EESM_S12_SN_SO_SP_EUlS12_E0_NS1_11comp_targetILNS1_3genE2ELNS1_11target_archE906ELNS1_3gpuE6ELNS1_3repE0EEENS1_38merge_mergepath_config_static_selectorELNS0_4arch9wavefront6targetE0EEEvSO_
; %bb.0:
	.section	.rodata,"a",@progbits
	.p2align	6, 0x0
	.amdhsa_kernel _ZN7rocprim17ROCPRIM_400000_NS6detail17trampoline_kernelINS0_14default_configENS1_38merge_sort_block_merge_config_selectorIjN6thrust23THRUST_200600_302600_NS5tupleIffNS6_9null_typeES8_S8_S8_S8_S8_S8_S8_EEEEZZNS1_27merge_sort_block_merge_implIS3_NS6_6detail15normal_iteratorINS6_10device_ptrIjEEEENSD_INSE_IS9_EEEEjNS1_19radix_merge_compareILb0ELb1EjNS0_19identity_decomposerEEEEE10hipError_tT0_T1_T2_jT3_P12ihipStream_tbPNSt15iterator_traitsISN_E10value_typeEPNST_ISO_E10value_typeEPSP_NS1_7vsmem_tEENKUlT_SN_SO_SP_E_clISG_PjSI_PS9_EESM_S12_SN_SO_SP_EUlS12_E0_NS1_11comp_targetILNS1_3genE2ELNS1_11target_archE906ELNS1_3gpuE6ELNS1_3repE0EEENS1_38merge_mergepath_config_static_selectorELNS0_4arch9wavefront6targetE0EEEvSO_
		.amdhsa_group_segment_fixed_size 0
		.amdhsa_private_segment_fixed_size 0
		.amdhsa_kernarg_size 64
		.amdhsa_user_sgpr_count 6
		.amdhsa_user_sgpr_private_segment_buffer 1
		.amdhsa_user_sgpr_dispatch_ptr 0
		.amdhsa_user_sgpr_queue_ptr 0
		.amdhsa_user_sgpr_kernarg_segment_ptr 1
		.amdhsa_user_sgpr_dispatch_id 0
		.amdhsa_user_sgpr_flat_scratch_init 0
		.amdhsa_user_sgpr_private_segment_size 0
		.amdhsa_wavefront_size32 1
		.amdhsa_uses_dynamic_stack 0
		.amdhsa_system_sgpr_private_segment_wavefront_offset 0
		.amdhsa_system_sgpr_workgroup_id_x 1
		.amdhsa_system_sgpr_workgroup_id_y 0
		.amdhsa_system_sgpr_workgroup_id_z 0
		.amdhsa_system_sgpr_workgroup_info 0
		.amdhsa_system_vgpr_workitem_id 0
		.amdhsa_next_free_vgpr 1
		.amdhsa_next_free_sgpr 1
		.amdhsa_reserve_vcc 0
		.amdhsa_reserve_flat_scratch 0
		.amdhsa_float_round_mode_32 0
		.amdhsa_float_round_mode_16_64 0
		.amdhsa_float_denorm_mode_32 3
		.amdhsa_float_denorm_mode_16_64 3
		.amdhsa_dx10_clamp 1
		.amdhsa_ieee_mode 1
		.amdhsa_fp16_overflow 0
		.amdhsa_workgroup_processor_mode 1
		.amdhsa_memory_ordered 1
		.amdhsa_forward_progress 1
		.amdhsa_shared_vgpr_count 0
		.amdhsa_exception_fp_ieee_invalid_op 0
		.amdhsa_exception_fp_denorm_src 0
		.amdhsa_exception_fp_ieee_div_zero 0
		.amdhsa_exception_fp_ieee_overflow 0
		.amdhsa_exception_fp_ieee_underflow 0
		.amdhsa_exception_fp_ieee_inexact 0
		.amdhsa_exception_int_div_zero 0
	.end_amdhsa_kernel
	.section	.text._ZN7rocprim17ROCPRIM_400000_NS6detail17trampoline_kernelINS0_14default_configENS1_38merge_sort_block_merge_config_selectorIjN6thrust23THRUST_200600_302600_NS5tupleIffNS6_9null_typeES8_S8_S8_S8_S8_S8_S8_EEEEZZNS1_27merge_sort_block_merge_implIS3_NS6_6detail15normal_iteratorINS6_10device_ptrIjEEEENSD_INSE_IS9_EEEEjNS1_19radix_merge_compareILb0ELb1EjNS0_19identity_decomposerEEEEE10hipError_tT0_T1_T2_jT3_P12ihipStream_tbPNSt15iterator_traitsISN_E10value_typeEPNST_ISO_E10value_typeEPSP_NS1_7vsmem_tEENKUlT_SN_SO_SP_E_clISG_PjSI_PS9_EESM_S12_SN_SO_SP_EUlS12_E0_NS1_11comp_targetILNS1_3genE2ELNS1_11target_archE906ELNS1_3gpuE6ELNS1_3repE0EEENS1_38merge_mergepath_config_static_selectorELNS0_4arch9wavefront6targetE0EEEvSO_,"axG",@progbits,_ZN7rocprim17ROCPRIM_400000_NS6detail17trampoline_kernelINS0_14default_configENS1_38merge_sort_block_merge_config_selectorIjN6thrust23THRUST_200600_302600_NS5tupleIffNS6_9null_typeES8_S8_S8_S8_S8_S8_S8_EEEEZZNS1_27merge_sort_block_merge_implIS3_NS6_6detail15normal_iteratorINS6_10device_ptrIjEEEENSD_INSE_IS9_EEEEjNS1_19radix_merge_compareILb0ELb1EjNS0_19identity_decomposerEEEEE10hipError_tT0_T1_T2_jT3_P12ihipStream_tbPNSt15iterator_traitsISN_E10value_typeEPNST_ISO_E10value_typeEPSP_NS1_7vsmem_tEENKUlT_SN_SO_SP_E_clISG_PjSI_PS9_EESM_S12_SN_SO_SP_EUlS12_E0_NS1_11comp_targetILNS1_3genE2ELNS1_11target_archE906ELNS1_3gpuE6ELNS1_3repE0EEENS1_38merge_mergepath_config_static_selectorELNS0_4arch9wavefront6targetE0EEEvSO_,comdat
.Lfunc_end128:
	.size	_ZN7rocprim17ROCPRIM_400000_NS6detail17trampoline_kernelINS0_14default_configENS1_38merge_sort_block_merge_config_selectorIjN6thrust23THRUST_200600_302600_NS5tupleIffNS6_9null_typeES8_S8_S8_S8_S8_S8_S8_EEEEZZNS1_27merge_sort_block_merge_implIS3_NS6_6detail15normal_iteratorINS6_10device_ptrIjEEEENSD_INSE_IS9_EEEEjNS1_19radix_merge_compareILb0ELb1EjNS0_19identity_decomposerEEEEE10hipError_tT0_T1_T2_jT3_P12ihipStream_tbPNSt15iterator_traitsISN_E10value_typeEPNST_ISO_E10value_typeEPSP_NS1_7vsmem_tEENKUlT_SN_SO_SP_E_clISG_PjSI_PS9_EESM_S12_SN_SO_SP_EUlS12_E0_NS1_11comp_targetILNS1_3genE2ELNS1_11target_archE906ELNS1_3gpuE6ELNS1_3repE0EEENS1_38merge_mergepath_config_static_selectorELNS0_4arch9wavefront6targetE0EEEvSO_, .Lfunc_end128-_ZN7rocprim17ROCPRIM_400000_NS6detail17trampoline_kernelINS0_14default_configENS1_38merge_sort_block_merge_config_selectorIjN6thrust23THRUST_200600_302600_NS5tupleIffNS6_9null_typeES8_S8_S8_S8_S8_S8_S8_EEEEZZNS1_27merge_sort_block_merge_implIS3_NS6_6detail15normal_iteratorINS6_10device_ptrIjEEEENSD_INSE_IS9_EEEEjNS1_19radix_merge_compareILb0ELb1EjNS0_19identity_decomposerEEEEE10hipError_tT0_T1_T2_jT3_P12ihipStream_tbPNSt15iterator_traitsISN_E10value_typeEPNST_ISO_E10value_typeEPSP_NS1_7vsmem_tEENKUlT_SN_SO_SP_E_clISG_PjSI_PS9_EESM_S12_SN_SO_SP_EUlS12_E0_NS1_11comp_targetILNS1_3genE2ELNS1_11target_archE906ELNS1_3gpuE6ELNS1_3repE0EEENS1_38merge_mergepath_config_static_selectorELNS0_4arch9wavefront6targetE0EEEvSO_
                                        ; -- End function
	.set _ZN7rocprim17ROCPRIM_400000_NS6detail17trampoline_kernelINS0_14default_configENS1_38merge_sort_block_merge_config_selectorIjN6thrust23THRUST_200600_302600_NS5tupleIffNS6_9null_typeES8_S8_S8_S8_S8_S8_S8_EEEEZZNS1_27merge_sort_block_merge_implIS3_NS6_6detail15normal_iteratorINS6_10device_ptrIjEEEENSD_INSE_IS9_EEEEjNS1_19radix_merge_compareILb0ELb1EjNS0_19identity_decomposerEEEEE10hipError_tT0_T1_T2_jT3_P12ihipStream_tbPNSt15iterator_traitsISN_E10value_typeEPNST_ISO_E10value_typeEPSP_NS1_7vsmem_tEENKUlT_SN_SO_SP_E_clISG_PjSI_PS9_EESM_S12_SN_SO_SP_EUlS12_E0_NS1_11comp_targetILNS1_3genE2ELNS1_11target_archE906ELNS1_3gpuE6ELNS1_3repE0EEENS1_38merge_mergepath_config_static_selectorELNS0_4arch9wavefront6targetE0EEEvSO_.num_vgpr, 0
	.set _ZN7rocprim17ROCPRIM_400000_NS6detail17trampoline_kernelINS0_14default_configENS1_38merge_sort_block_merge_config_selectorIjN6thrust23THRUST_200600_302600_NS5tupleIffNS6_9null_typeES8_S8_S8_S8_S8_S8_S8_EEEEZZNS1_27merge_sort_block_merge_implIS3_NS6_6detail15normal_iteratorINS6_10device_ptrIjEEEENSD_INSE_IS9_EEEEjNS1_19radix_merge_compareILb0ELb1EjNS0_19identity_decomposerEEEEE10hipError_tT0_T1_T2_jT3_P12ihipStream_tbPNSt15iterator_traitsISN_E10value_typeEPNST_ISO_E10value_typeEPSP_NS1_7vsmem_tEENKUlT_SN_SO_SP_E_clISG_PjSI_PS9_EESM_S12_SN_SO_SP_EUlS12_E0_NS1_11comp_targetILNS1_3genE2ELNS1_11target_archE906ELNS1_3gpuE6ELNS1_3repE0EEENS1_38merge_mergepath_config_static_selectorELNS0_4arch9wavefront6targetE0EEEvSO_.num_agpr, 0
	.set _ZN7rocprim17ROCPRIM_400000_NS6detail17trampoline_kernelINS0_14default_configENS1_38merge_sort_block_merge_config_selectorIjN6thrust23THRUST_200600_302600_NS5tupleIffNS6_9null_typeES8_S8_S8_S8_S8_S8_S8_EEEEZZNS1_27merge_sort_block_merge_implIS3_NS6_6detail15normal_iteratorINS6_10device_ptrIjEEEENSD_INSE_IS9_EEEEjNS1_19radix_merge_compareILb0ELb1EjNS0_19identity_decomposerEEEEE10hipError_tT0_T1_T2_jT3_P12ihipStream_tbPNSt15iterator_traitsISN_E10value_typeEPNST_ISO_E10value_typeEPSP_NS1_7vsmem_tEENKUlT_SN_SO_SP_E_clISG_PjSI_PS9_EESM_S12_SN_SO_SP_EUlS12_E0_NS1_11comp_targetILNS1_3genE2ELNS1_11target_archE906ELNS1_3gpuE6ELNS1_3repE0EEENS1_38merge_mergepath_config_static_selectorELNS0_4arch9wavefront6targetE0EEEvSO_.numbered_sgpr, 0
	.set _ZN7rocprim17ROCPRIM_400000_NS6detail17trampoline_kernelINS0_14default_configENS1_38merge_sort_block_merge_config_selectorIjN6thrust23THRUST_200600_302600_NS5tupleIffNS6_9null_typeES8_S8_S8_S8_S8_S8_S8_EEEEZZNS1_27merge_sort_block_merge_implIS3_NS6_6detail15normal_iteratorINS6_10device_ptrIjEEEENSD_INSE_IS9_EEEEjNS1_19radix_merge_compareILb0ELb1EjNS0_19identity_decomposerEEEEE10hipError_tT0_T1_T2_jT3_P12ihipStream_tbPNSt15iterator_traitsISN_E10value_typeEPNST_ISO_E10value_typeEPSP_NS1_7vsmem_tEENKUlT_SN_SO_SP_E_clISG_PjSI_PS9_EESM_S12_SN_SO_SP_EUlS12_E0_NS1_11comp_targetILNS1_3genE2ELNS1_11target_archE906ELNS1_3gpuE6ELNS1_3repE0EEENS1_38merge_mergepath_config_static_selectorELNS0_4arch9wavefront6targetE0EEEvSO_.num_named_barrier, 0
	.set _ZN7rocprim17ROCPRIM_400000_NS6detail17trampoline_kernelINS0_14default_configENS1_38merge_sort_block_merge_config_selectorIjN6thrust23THRUST_200600_302600_NS5tupleIffNS6_9null_typeES8_S8_S8_S8_S8_S8_S8_EEEEZZNS1_27merge_sort_block_merge_implIS3_NS6_6detail15normal_iteratorINS6_10device_ptrIjEEEENSD_INSE_IS9_EEEEjNS1_19radix_merge_compareILb0ELb1EjNS0_19identity_decomposerEEEEE10hipError_tT0_T1_T2_jT3_P12ihipStream_tbPNSt15iterator_traitsISN_E10value_typeEPNST_ISO_E10value_typeEPSP_NS1_7vsmem_tEENKUlT_SN_SO_SP_E_clISG_PjSI_PS9_EESM_S12_SN_SO_SP_EUlS12_E0_NS1_11comp_targetILNS1_3genE2ELNS1_11target_archE906ELNS1_3gpuE6ELNS1_3repE0EEENS1_38merge_mergepath_config_static_selectorELNS0_4arch9wavefront6targetE0EEEvSO_.private_seg_size, 0
	.set _ZN7rocprim17ROCPRIM_400000_NS6detail17trampoline_kernelINS0_14default_configENS1_38merge_sort_block_merge_config_selectorIjN6thrust23THRUST_200600_302600_NS5tupleIffNS6_9null_typeES8_S8_S8_S8_S8_S8_S8_EEEEZZNS1_27merge_sort_block_merge_implIS3_NS6_6detail15normal_iteratorINS6_10device_ptrIjEEEENSD_INSE_IS9_EEEEjNS1_19radix_merge_compareILb0ELb1EjNS0_19identity_decomposerEEEEE10hipError_tT0_T1_T2_jT3_P12ihipStream_tbPNSt15iterator_traitsISN_E10value_typeEPNST_ISO_E10value_typeEPSP_NS1_7vsmem_tEENKUlT_SN_SO_SP_E_clISG_PjSI_PS9_EESM_S12_SN_SO_SP_EUlS12_E0_NS1_11comp_targetILNS1_3genE2ELNS1_11target_archE906ELNS1_3gpuE6ELNS1_3repE0EEENS1_38merge_mergepath_config_static_selectorELNS0_4arch9wavefront6targetE0EEEvSO_.uses_vcc, 0
	.set _ZN7rocprim17ROCPRIM_400000_NS6detail17trampoline_kernelINS0_14default_configENS1_38merge_sort_block_merge_config_selectorIjN6thrust23THRUST_200600_302600_NS5tupleIffNS6_9null_typeES8_S8_S8_S8_S8_S8_S8_EEEEZZNS1_27merge_sort_block_merge_implIS3_NS6_6detail15normal_iteratorINS6_10device_ptrIjEEEENSD_INSE_IS9_EEEEjNS1_19radix_merge_compareILb0ELb1EjNS0_19identity_decomposerEEEEE10hipError_tT0_T1_T2_jT3_P12ihipStream_tbPNSt15iterator_traitsISN_E10value_typeEPNST_ISO_E10value_typeEPSP_NS1_7vsmem_tEENKUlT_SN_SO_SP_E_clISG_PjSI_PS9_EESM_S12_SN_SO_SP_EUlS12_E0_NS1_11comp_targetILNS1_3genE2ELNS1_11target_archE906ELNS1_3gpuE6ELNS1_3repE0EEENS1_38merge_mergepath_config_static_selectorELNS0_4arch9wavefront6targetE0EEEvSO_.uses_flat_scratch, 0
	.set _ZN7rocprim17ROCPRIM_400000_NS6detail17trampoline_kernelINS0_14default_configENS1_38merge_sort_block_merge_config_selectorIjN6thrust23THRUST_200600_302600_NS5tupleIffNS6_9null_typeES8_S8_S8_S8_S8_S8_S8_EEEEZZNS1_27merge_sort_block_merge_implIS3_NS6_6detail15normal_iteratorINS6_10device_ptrIjEEEENSD_INSE_IS9_EEEEjNS1_19radix_merge_compareILb0ELb1EjNS0_19identity_decomposerEEEEE10hipError_tT0_T1_T2_jT3_P12ihipStream_tbPNSt15iterator_traitsISN_E10value_typeEPNST_ISO_E10value_typeEPSP_NS1_7vsmem_tEENKUlT_SN_SO_SP_E_clISG_PjSI_PS9_EESM_S12_SN_SO_SP_EUlS12_E0_NS1_11comp_targetILNS1_3genE2ELNS1_11target_archE906ELNS1_3gpuE6ELNS1_3repE0EEENS1_38merge_mergepath_config_static_selectorELNS0_4arch9wavefront6targetE0EEEvSO_.has_dyn_sized_stack, 0
	.set _ZN7rocprim17ROCPRIM_400000_NS6detail17trampoline_kernelINS0_14default_configENS1_38merge_sort_block_merge_config_selectorIjN6thrust23THRUST_200600_302600_NS5tupleIffNS6_9null_typeES8_S8_S8_S8_S8_S8_S8_EEEEZZNS1_27merge_sort_block_merge_implIS3_NS6_6detail15normal_iteratorINS6_10device_ptrIjEEEENSD_INSE_IS9_EEEEjNS1_19radix_merge_compareILb0ELb1EjNS0_19identity_decomposerEEEEE10hipError_tT0_T1_T2_jT3_P12ihipStream_tbPNSt15iterator_traitsISN_E10value_typeEPNST_ISO_E10value_typeEPSP_NS1_7vsmem_tEENKUlT_SN_SO_SP_E_clISG_PjSI_PS9_EESM_S12_SN_SO_SP_EUlS12_E0_NS1_11comp_targetILNS1_3genE2ELNS1_11target_archE906ELNS1_3gpuE6ELNS1_3repE0EEENS1_38merge_mergepath_config_static_selectorELNS0_4arch9wavefront6targetE0EEEvSO_.has_recursion, 0
	.set _ZN7rocprim17ROCPRIM_400000_NS6detail17trampoline_kernelINS0_14default_configENS1_38merge_sort_block_merge_config_selectorIjN6thrust23THRUST_200600_302600_NS5tupleIffNS6_9null_typeES8_S8_S8_S8_S8_S8_S8_EEEEZZNS1_27merge_sort_block_merge_implIS3_NS6_6detail15normal_iteratorINS6_10device_ptrIjEEEENSD_INSE_IS9_EEEEjNS1_19radix_merge_compareILb0ELb1EjNS0_19identity_decomposerEEEEE10hipError_tT0_T1_T2_jT3_P12ihipStream_tbPNSt15iterator_traitsISN_E10value_typeEPNST_ISO_E10value_typeEPSP_NS1_7vsmem_tEENKUlT_SN_SO_SP_E_clISG_PjSI_PS9_EESM_S12_SN_SO_SP_EUlS12_E0_NS1_11comp_targetILNS1_3genE2ELNS1_11target_archE906ELNS1_3gpuE6ELNS1_3repE0EEENS1_38merge_mergepath_config_static_selectorELNS0_4arch9wavefront6targetE0EEEvSO_.has_indirect_call, 0
	.section	.AMDGPU.csdata,"",@progbits
; Kernel info:
; codeLenInByte = 0
; TotalNumSgprs: 0
; NumVgprs: 0
; ScratchSize: 0
; MemoryBound: 0
; FloatMode: 240
; IeeeMode: 1
; LDSByteSize: 0 bytes/workgroup (compile time only)
; SGPRBlocks: 0
; VGPRBlocks: 0
; NumSGPRsForWavesPerEU: 1
; NumVGPRsForWavesPerEU: 1
; Occupancy: 16
; WaveLimiterHint : 0
; COMPUTE_PGM_RSRC2:SCRATCH_EN: 0
; COMPUTE_PGM_RSRC2:USER_SGPR: 6
; COMPUTE_PGM_RSRC2:TRAP_HANDLER: 0
; COMPUTE_PGM_RSRC2:TGID_X_EN: 1
; COMPUTE_PGM_RSRC2:TGID_Y_EN: 0
; COMPUTE_PGM_RSRC2:TGID_Z_EN: 0
; COMPUTE_PGM_RSRC2:TIDIG_COMP_CNT: 0
	.section	.text._ZN7rocprim17ROCPRIM_400000_NS6detail17trampoline_kernelINS0_14default_configENS1_38merge_sort_block_merge_config_selectorIjN6thrust23THRUST_200600_302600_NS5tupleIffNS6_9null_typeES8_S8_S8_S8_S8_S8_S8_EEEEZZNS1_27merge_sort_block_merge_implIS3_NS6_6detail15normal_iteratorINS6_10device_ptrIjEEEENSD_INSE_IS9_EEEEjNS1_19radix_merge_compareILb0ELb1EjNS0_19identity_decomposerEEEEE10hipError_tT0_T1_T2_jT3_P12ihipStream_tbPNSt15iterator_traitsISN_E10value_typeEPNST_ISO_E10value_typeEPSP_NS1_7vsmem_tEENKUlT_SN_SO_SP_E_clISG_PjSI_PS9_EESM_S12_SN_SO_SP_EUlS12_E0_NS1_11comp_targetILNS1_3genE9ELNS1_11target_archE1100ELNS1_3gpuE3ELNS1_3repE0EEENS1_38merge_mergepath_config_static_selectorELNS0_4arch9wavefront6targetE0EEEvSO_,"axG",@progbits,_ZN7rocprim17ROCPRIM_400000_NS6detail17trampoline_kernelINS0_14default_configENS1_38merge_sort_block_merge_config_selectorIjN6thrust23THRUST_200600_302600_NS5tupleIffNS6_9null_typeES8_S8_S8_S8_S8_S8_S8_EEEEZZNS1_27merge_sort_block_merge_implIS3_NS6_6detail15normal_iteratorINS6_10device_ptrIjEEEENSD_INSE_IS9_EEEEjNS1_19radix_merge_compareILb0ELb1EjNS0_19identity_decomposerEEEEE10hipError_tT0_T1_T2_jT3_P12ihipStream_tbPNSt15iterator_traitsISN_E10value_typeEPNST_ISO_E10value_typeEPSP_NS1_7vsmem_tEENKUlT_SN_SO_SP_E_clISG_PjSI_PS9_EESM_S12_SN_SO_SP_EUlS12_E0_NS1_11comp_targetILNS1_3genE9ELNS1_11target_archE1100ELNS1_3gpuE3ELNS1_3repE0EEENS1_38merge_mergepath_config_static_selectorELNS0_4arch9wavefront6targetE0EEEvSO_,comdat
	.protected	_ZN7rocprim17ROCPRIM_400000_NS6detail17trampoline_kernelINS0_14default_configENS1_38merge_sort_block_merge_config_selectorIjN6thrust23THRUST_200600_302600_NS5tupleIffNS6_9null_typeES8_S8_S8_S8_S8_S8_S8_EEEEZZNS1_27merge_sort_block_merge_implIS3_NS6_6detail15normal_iteratorINS6_10device_ptrIjEEEENSD_INSE_IS9_EEEEjNS1_19radix_merge_compareILb0ELb1EjNS0_19identity_decomposerEEEEE10hipError_tT0_T1_T2_jT3_P12ihipStream_tbPNSt15iterator_traitsISN_E10value_typeEPNST_ISO_E10value_typeEPSP_NS1_7vsmem_tEENKUlT_SN_SO_SP_E_clISG_PjSI_PS9_EESM_S12_SN_SO_SP_EUlS12_E0_NS1_11comp_targetILNS1_3genE9ELNS1_11target_archE1100ELNS1_3gpuE3ELNS1_3repE0EEENS1_38merge_mergepath_config_static_selectorELNS0_4arch9wavefront6targetE0EEEvSO_ ; -- Begin function _ZN7rocprim17ROCPRIM_400000_NS6detail17trampoline_kernelINS0_14default_configENS1_38merge_sort_block_merge_config_selectorIjN6thrust23THRUST_200600_302600_NS5tupleIffNS6_9null_typeES8_S8_S8_S8_S8_S8_S8_EEEEZZNS1_27merge_sort_block_merge_implIS3_NS6_6detail15normal_iteratorINS6_10device_ptrIjEEEENSD_INSE_IS9_EEEEjNS1_19radix_merge_compareILb0ELb1EjNS0_19identity_decomposerEEEEE10hipError_tT0_T1_T2_jT3_P12ihipStream_tbPNSt15iterator_traitsISN_E10value_typeEPNST_ISO_E10value_typeEPSP_NS1_7vsmem_tEENKUlT_SN_SO_SP_E_clISG_PjSI_PS9_EESM_S12_SN_SO_SP_EUlS12_E0_NS1_11comp_targetILNS1_3genE9ELNS1_11target_archE1100ELNS1_3gpuE3ELNS1_3repE0EEENS1_38merge_mergepath_config_static_selectorELNS0_4arch9wavefront6targetE0EEEvSO_
	.globl	_ZN7rocprim17ROCPRIM_400000_NS6detail17trampoline_kernelINS0_14default_configENS1_38merge_sort_block_merge_config_selectorIjN6thrust23THRUST_200600_302600_NS5tupleIffNS6_9null_typeES8_S8_S8_S8_S8_S8_S8_EEEEZZNS1_27merge_sort_block_merge_implIS3_NS6_6detail15normal_iteratorINS6_10device_ptrIjEEEENSD_INSE_IS9_EEEEjNS1_19radix_merge_compareILb0ELb1EjNS0_19identity_decomposerEEEEE10hipError_tT0_T1_T2_jT3_P12ihipStream_tbPNSt15iterator_traitsISN_E10value_typeEPNST_ISO_E10value_typeEPSP_NS1_7vsmem_tEENKUlT_SN_SO_SP_E_clISG_PjSI_PS9_EESM_S12_SN_SO_SP_EUlS12_E0_NS1_11comp_targetILNS1_3genE9ELNS1_11target_archE1100ELNS1_3gpuE3ELNS1_3repE0EEENS1_38merge_mergepath_config_static_selectorELNS0_4arch9wavefront6targetE0EEEvSO_
	.p2align	8
	.type	_ZN7rocprim17ROCPRIM_400000_NS6detail17trampoline_kernelINS0_14default_configENS1_38merge_sort_block_merge_config_selectorIjN6thrust23THRUST_200600_302600_NS5tupleIffNS6_9null_typeES8_S8_S8_S8_S8_S8_S8_EEEEZZNS1_27merge_sort_block_merge_implIS3_NS6_6detail15normal_iteratorINS6_10device_ptrIjEEEENSD_INSE_IS9_EEEEjNS1_19radix_merge_compareILb0ELb1EjNS0_19identity_decomposerEEEEE10hipError_tT0_T1_T2_jT3_P12ihipStream_tbPNSt15iterator_traitsISN_E10value_typeEPNST_ISO_E10value_typeEPSP_NS1_7vsmem_tEENKUlT_SN_SO_SP_E_clISG_PjSI_PS9_EESM_S12_SN_SO_SP_EUlS12_E0_NS1_11comp_targetILNS1_3genE9ELNS1_11target_archE1100ELNS1_3gpuE3ELNS1_3repE0EEENS1_38merge_mergepath_config_static_selectorELNS0_4arch9wavefront6targetE0EEEvSO_,@function
_ZN7rocprim17ROCPRIM_400000_NS6detail17trampoline_kernelINS0_14default_configENS1_38merge_sort_block_merge_config_selectorIjN6thrust23THRUST_200600_302600_NS5tupleIffNS6_9null_typeES8_S8_S8_S8_S8_S8_S8_EEEEZZNS1_27merge_sort_block_merge_implIS3_NS6_6detail15normal_iteratorINS6_10device_ptrIjEEEENSD_INSE_IS9_EEEEjNS1_19radix_merge_compareILb0ELb1EjNS0_19identity_decomposerEEEEE10hipError_tT0_T1_T2_jT3_P12ihipStream_tbPNSt15iterator_traitsISN_E10value_typeEPNST_ISO_E10value_typeEPSP_NS1_7vsmem_tEENKUlT_SN_SO_SP_E_clISG_PjSI_PS9_EESM_S12_SN_SO_SP_EUlS12_E0_NS1_11comp_targetILNS1_3genE9ELNS1_11target_archE1100ELNS1_3gpuE3ELNS1_3repE0EEENS1_38merge_mergepath_config_static_selectorELNS0_4arch9wavefront6targetE0EEEvSO_: ; @_ZN7rocprim17ROCPRIM_400000_NS6detail17trampoline_kernelINS0_14default_configENS1_38merge_sort_block_merge_config_selectorIjN6thrust23THRUST_200600_302600_NS5tupleIffNS6_9null_typeES8_S8_S8_S8_S8_S8_S8_EEEEZZNS1_27merge_sort_block_merge_implIS3_NS6_6detail15normal_iteratorINS6_10device_ptrIjEEEENSD_INSE_IS9_EEEEjNS1_19radix_merge_compareILb0ELb1EjNS0_19identity_decomposerEEEEE10hipError_tT0_T1_T2_jT3_P12ihipStream_tbPNSt15iterator_traitsISN_E10value_typeEPNST_ISO_E10value_typeEPSP_NS1_7vsmem_tEENKUlT_SN_SO_SP_E_clISG_PjSI_PS9_EESM_S12_SN_SO_SP_EUlS12_E0_NS1_11comp_targetILNS1_3genE9ELNS1_11target_archE1100ELNS1_3gpuE3ELNS1_3repE0EEENS1_38merge_mergepath_config_static_selectorELNS0_4arch9wavefront6targetE0EEEvSO_
; %bb.0:
	.section	.rodata,"a",@progbits
	.p2align	6, 0x0
	.amdhsa_kernel _ZN7rocprim17ROCPRIM_400000_NS6detail17trampoline_kernelINS0_14default_configENS1_38merge_sort_block_merge_config_selectorIjN6thrust23THRUST_200600_302600_NS5tupleIffNS6_9null_typeES8_S8_S8_S8_S8_S8_S8_EEEEZZNS1_27merge_sort_block_merge_implIS3_NS6_6detail15normal_iteratorINS6_10device_ptrIjEEEENSD_INSE_IS9_EEEEjNS1_19radix_merge_compareILb0ELb1EjNS0_19identity_decomposerEEEEE10hipError_tT0_T1_T2_jT3_P12ihipStream_tbPNSt15iterator_traitsISN_E10value_typeEPNST_ISO_E10value_typeEPSP_NS1_7vsmem_tEENKUlT_SN_SO_SP_E_clISG_PjSI_PS9_EESM_S12_SN_SO_SP_EUlS12_E0_NS1_11comp_targetILNS1_3genE9ELNS1_11target_archE1100ELNS1_3gpuE3ELNS1_3repE0EEENS1_38merge_mergepath_config_static_selectorELNS0_4arch9wavefront6targetE0EEEvSO_
		.amdhsa_group_segment_fixed_size 0
		.amdhsa_private_segment_fixed_size 0
		.amdhsa_kernarg_size 64
		.amdhsa_user_sgpr_count 6
		.amdhsa_user_sgpr_private_segment_buffer 1
		.amdhsa_user_sgpr_dispatch_ptr 0
		.amdhsa_user_sgpr_queue_ptr 0
		.amdhsa_user_sgpr_kernarg_segment_ptr 1
		.amdhsa_user_sgpr_dispatch_id 0
		.amdhsa_user_sgpr_flat_scratch_init 0
		.amdhsa_user_sgpr_private_segment_size 0
		.amdhsa_wavefront_size32 1
		.amdhsa_uses_dynamic_stack 0
		.amdhsa_system_sgpr_private_segment_wavefront_offset 0
		.amdhsa_system_sgpr_workgroup_id_x 1
		.amdhsa_system_sgpr_workgroup_id_y 0
		.amdhsa_system_sgpr_workgroup_id_z 0
		.amdhsa_system_sgpr_workgroup_info 0
		.amdhsa_system_vgpr_workitem_id 0
		.amdhsa_next_free_vgpr 1
		.amdhsa_next_free_sgpr 1
		.amdhsa_reserve_vcc 0
		.amdhsa_reserve_flat_scratch 0
		.amdhsa_float_round_mode_32 0
		.amdhsa_float_round_mode_16_64 0
		.amdhsa_float_denorm_mode_32 3
		.amdhsa_float_denorm_mode_16_64 3
		.amdhsa_dx10_clamp 1
		.amdhsa_ieee_mode 1
		.amdhsa_fp16_overflow 0
		.amdhsa_workgroup_processor_mode 1
		.amdhsa_memory_ordered 1
		.amdhsa_forward_progress 1
		.amdhsa_shared_vgpr_count 0
		.amdhsa_exception_fp_ieee_invalid_op 0
		.amdhsa_exception_fp_denorm_src 0
		.amdhsa_exception_fp_ieee_div_zero 0
		.amdhsa_exception_fp_ieee_overflow 0
		.amdhsa_exception_fp_ieee_underflow 0
		.amdhsa_exception_fp_ieee_inexact 0
		.amdhsa_exception_int_div_zero 0
	.end_amdhsa_kernel
	.section	.text._ZN7rocprim17ROCPRIM_400000_NS6detail17trampoline_kernelINS0_14default_configENS1_38merge_sort_block_merge_config_selectorIjN6thrust23THRUST_200600_302600_NS5tupleIffNS6_9null_typeES8_S8_S8_S8_S8_S8_S8_EEEEZZNS1_27merge_sort_block_merge_implIS3_NS6_6detail15normal_iteratorINS6_10device_ptrIjEEEENSD_INSE_IS9_EEEEjNS1_19radix_merge_compareILb0ELb1EjNS0_19identity_decomposerEEEEE10hipError_tT0_T1_T2_jT3_P12ihipStream_tbPNSt15iterator_traitsISN_E10value_typeEPNST_ISO_E10value_typeEPSP_NS1_7vsmem_tEENKUlT_SN_SO_SP_E_clISG_PjSI_PS9_EESM_S12_SN_SO_SP_EUlS12_E0_NS1_11comp_targetILNS1_3genE9ELNS1_11target_archE1100ELNS1_3gpuE3ELNS1_3repE0EEENS1_38merge_mergepath_config_static_selectorELNS0_4arch9wavefront6targetE0EEEvSO_,"axG",@progbits,_ZN7rocprim17ROCPRIM_400000_NS6detail17trampoline_kernelINS0_14default_configENS1_38merge_sort_block_merge_config_selectorIjN6thrust23THRUST_200600_302600_NS5tupleIffNS6_9null_typeES8_S8_S8_S8_S8_S8_S8_EEEEZZNS1_27merge_sort_block_merge_implIS3_NS6_6detail15normal_iteratorINS6_10device_ptrIjEEEENSD_INSE_IS9_EEEEjNS1_19radix_merge_compareILb0ELb1EjNS0_19identity_decomposerEEEEE10hipError_tT0_T1_T2_jT3_P12ihipStream_tbPNSt15iterator_traitsISN_E10value_typeEPNST_ISO_E10value_typeEPSP_NS1_7vsmem_tEENKUlT_SN_SO_SP_E_clISG_PjSI_PS9_EESM_S12_SN_SO_SP_EUlS12_E0_NS1_11comp_targetILNS1_3genE9ELNS1_11target_archE1100ELNS1_3gpuE3ELNS1_3repE0EEENS1_38merge_mergepath_config_static_selectorELNS0_4arch9wavefront6targetE0EEEvSO_,comdat
.Lfunc_end129:
	.size	_ZN7rocprim17ROCPRIM_400000_NS6detail17trampoline_kernelINS0_14default_configENS1_38merge_sort_block_merge_config_selectorIjN6thrust23THRUST_200600_302600_NS5tupleIffNS6_9null_typeES8_S8_S8_S8_S8_S8_S8_EEEEZZNS1_27merge_sort_block_merge_implIS3_NS6_6detail15normal_iteratorINS6_10device_ptrIjEEEENSD_INSE_IS9_EEEEjNS1_19radix_merge_compareILb0ELb1EjNS0_19identity_decomposerEEEEE10hipError_tT0_T1_T2_jT3_P12ihipStream_tbPNSt15iterator_traitsISN_E10value_typeEPNST_ISO_E10value_typeEPSP_NS1_7vsmem_tEENKUlT_SN_SO_SP_E_clISG_PjSI_PS9_EESM_S12_SN_SO_SP_EUlS12_E0_NS1_11comp_targetILNS1_3genE9ELNS1_11target_archE1100ELNS1_3gpuE3ELNS1_3repE0EEENS1_38merge_mergepath_config_static_selectorELNS0_4arch9wavefront6targetE0EEEvSO_, .Lfunc_end129-_ZN7rocprim17ROCPRIM_400000_NS6detail17trampoline_kernelINS0_14default_configENS1_38merge_sort_block_merge_config_selectorIjN6thrust23THRUST_200600_302600_NS5tupleIffNS6_9null_typeES8_S8_S8_S8_S8_S8_S8_EEEEZZNS1_27merge_sort_block_merge_implIS3_NS6_6detail15normal_iteratorINS6_10device_ptrIjEEEENSD_INSE_IS9_EEEEjNS1_19radix_merge_compareILb0ELb1EjNS0_19identity_decomposerEEEEE10hipError_tT0_T1_T2_jT3_P12ihipStream_tbPNSt15iterator_traitsISN_E10value_typeEPNST_ISO_E10value_typeEPSP_NS1_7vsmem_tEENKUlT_SN_SO_SP_E_clISG_PjSI_PS9_EESM_S12_SN_SO_SP_EUlS12_E0_NS1_11comp_targetILNS1_3genE9ELNS1_11target_archE1100ELNS1_3gpuE3ELNS1_3repE0EEENS1_38merge_mergepath_config_static_selectorELNS0_4arch9wavefront6targetE0EEEvSO_
                                        ; -- End function
	.set _ZN7rocprim17ROCPRIM_400000_NS6detail17trampoline_kernelINS0_14default_configENS1_38merge_sort_block_merge_config_selectorIjN6thrust23THRUST_200600_302600_NS5tupleIffNS6_9null_typeES8_S8_S8_S8_S8_S8_S8_EEEEZZNS1_27merge_sort_block_merge_implIS3_NS6_6detail15normal_iteratorINS6_10device_ptrIjEEEENSD_INSE_IS9_EEEEjNS1_19radix_merge_compareILb0ELb1EjNS0_19identity_decomposerEEEEE10hipError_tT0_T1_T2_jT3_P12ihipStream_tbPNSt15iterator_traitsISN_E10value_typeEPNST_ISO_E10value_typeEPSP_NS1_7vsmem_tEENKUlT_SN_SO_SP_E_clISG_PjSI_PS9_EESM_S12_SN_SO_SP_EUlS12_E0_NS1_11comp_targetILNS1_3genE9ELNS1_11target_archE1100ELNS1_3gpuE3ELNS1_3repE0EEENS1_38merge_mergepath_config_static_selectorELNS0_4arch9wavefront6targetE0EEEvSO_.num_vgpr, 0
	.set _ZN7rocprim17ROCPRIM_400000_NS6detail17trampoline_kernelINS0_14default_configENS1_38merge_sort_block_merge_config_selectorIjN6thrust23THRUST_200600_302600_NS5tupleIffNS6_9null_typeES8_S8_S8_S8_S8_S8_S8_EEEEZZNS1_27merge_sort_block_merge_implIS3_NS6_6detail15normal_iteratorINS6_10device_ptrIjEEEENSD_INSE_IS9_EEEEjNS1_19radix_merge_compareILb0ELb1EjNS0_19identity_decomposerEEEEE10hipError_tT0_T1_T2_jT3_P12ihipStream_tbPNSt15iterator_traitsISN_E10value_typeEPNST_ISO_E10value_typeEPSP_NS1_7vsmem_tEENKUlT_SN_SO_SP_E_clISG_PjSI_PS9_EESM_S12_SN_SO_SP_EUlS12_E0_NS1_11comp_targetILNS1_3genE9ELNS1_11target_archE1100ELNS1_3gpuE3ELNS1_3repE0EEENS1_38merge_mergepath_config_static_selectorELNS0_4arch9wavefront6targetE0EEEvSO_.num_agpr, 0
	.set _ZN7rocprim17ROCPRIM_400000_NS6detail17trampoline_kernelINS0_14default_configENS1_38merge_sort_block_merge_config_selectorIjN6thrust23THRUST_200600_302600_NS5tupleIffNS6_9null_typeES8_S8_S8_S8_S8_S8_S8_EEEEZZNS1_27merge_sort_block_merge_implIS3_NS6_6detail15normal_iteratorINS6_10device_ptrIjEEEENSD_INSE_IS9_EEEEjNS1_19radix_merge_compareILb0ELb1EjNS0_19identity_decomposerEEEEE10hipError_tT0_T1_T2_jT3_P12ihipStream_tbPNSt15iterator_traitsISN_E10value_typeEPNST_ISO_E10value_typeEPSP_NS1_7vsmem_tEENKUlT_SN_SO_SP_E_clISG_PjSI_PS9_EESM_S12_SN_SO_SP_EUlS12_E0_NS1_11comp_targetILNS1_3genE9ELNS1_11target_archE1100ELNS1_3gpuE3ELNS1_3repE0EEENS1_38merge_mergepath_config_static_selectorELNS0_4arch9wavefront6targetE0EEEvSO_.numbered_sgpr, 0
	.set _ZN7rocprim17ROCPRIM_400000_NS6detail17trampoline_kernelINS0_14default_configENS1_38merge_sort_block_merge_config_selectorIjN6thrust23THRUST_200600_302600_NS5tupleIffNS6_9null_typeES8_S8_S8_S8_S8_S8_S8_EEEEZZNS1_27merge_sort_block_merge_implIS3_NS6_6detail15normal_iteratorINS6_10device_ptrIjEEEENSD_INSE_IS9_EEEEjNS1_19radix_merge_compareILb0ELb1EjNS0_19identity_decomposerEEEEE10hipError_tT0_T1_T2_jT3_P12ihipStream_tbPNSt15iterator_traitsISN_E10value_typeEPNST_ISO_E10value_typeEPSP_NS1_7vsmem_tEENKUlT_SN_SO_SP_E_clISG_PjSI_PS9_EESM_S12_SN_SO_SP_EUlS12_E0_NS1_11comp_targetILNS1_3genE9ELNS1_11target_archE1100ELNS1_3gpuE3ELNS1_3repE0EEENS1_38merge_mergepath_config_static_selectorELNS0_4arch9wavefront6targetE0EEEvSO_.num_named_barrier, 0
	.set _ZN7rocprim17ROCPRIM_400000_NS6detail17trampoline_kernelINS0_14default_configENS1_38merge_sort_block_merge_config_selectorIjN6thrust23THRUST_200600_302600_NS5tupleIffNS6_9null_typeES8_S8_S8_S8_S8_S8_S8_EEEEZZNS1_27merge_sort_block_merge_implIS3_NS6_6detail15normal_iteratorINS6_10device_ptrIjEEEENSD_INSE_IS9_EEEEjNS1_19radix_merge_compareILb0ELb1EjNS0_19identity_decomposerEEEEE10hipError_tT0_T1_T2_jT3_P12ihipStream_tbPNSt15iterator_traitsISN_E10value_typeEPNST_ISO_E10value_typeEPSP_NS1_7vsmem_tEENKUlT_SN_SO_SP_E_clISG_PjSI_PS9_EESM_S12_SN_SO_SP_EUlS12_E0_NS1_11comp_targetILNS1_3genE9ELNS1_11target_archE1100ELNS1_3gpuE3ELNS1_3repE0EEENS1_38merge_mergepath_config_static_selectorELNS0_4arch9wavefront6targetE0EEEvSO_.private_seg_size, 0
	.set _ZN7rocprim17ROCPRIM_400000_NS6detail17trampoline_kernelINS0_14default_configENS1_38merge_sort_block_merge_config_selectorIjN6thrust23THRUST_200600_302600_NS5tupleIffNS6_9null_typeES8_S8_S8_S8_S8_S8_S8_EEEEZZNS1_27merge_sort_block_merge_implIS3_NS6_6detail15normal_iteratorINS6_10device_ptrIjEEEENSD_INSE_IS9_EEEEjNS1_19radix_merge_compareILb0ELb1EjNS0_19identity_decomposerEEEEE10hipError_tT0_T1_T2_jT3_P12ihipStream_tbPNSt15iterator_traitsISN_E10value_typeEPNST_ISO_E10value_typeEPSP_NS1_7vsmem_tEENKUlT_SN_SO_SP_E_clISG_PjSI_PS9_EESM_S12_SN_SO_SP_EUlS12_E0_NS1_11comp_targetILNS1_3genE9ELNS1_11target_archE1100ELNS1_3gpuE3ELNS1_3repE0EEENS1_38merge_mergepath_config_static_selectorELNS0_4arch9wavefront6targetE0EEEvSO_.uses_vcc, 0
	.set _ZN7rocprim17ROCPRIM_400000_NS6detail17trampoline_kernelINS0_14default_configENS1_38merge_sort_block_merge_config_selectorIjN6thrust23THRUST_200600_302600_NS5tupleIffNS6_9null_typeES8_S8_S8_S8_S8_S8_S8_EEEEZZNS1_27merge_sort_block_merge_implIS3_NS6_6detail15normal_iteratorINS6_10device_ptrIjEEEENSD_INSE_IS9_EEEEjNS1_19radix_merge_compareILb0ELb1EjNS0_19identity_decomposerEEEEE10hipError_tT0_T1_T2_jT3_P12ihipStream_tbPNSt15iterator_traitsISN_E10value_typeEPNST_ISO_E10value_typeEPSP_NS1_7vsmem_tEENKUlT_SN_SO_SP_E_clISG_PjSI_PS9_EESM_S12_SN_SO_SP_EUlS12_E0_NS1_11comp_targetILNS1_3genE9ELNS1_11target_archE1100ELNS1_3gpuE3ELNS1_3repE0EEENS1_38merge_mergepath_config_static_selectorELNS0_4arch9wavefront6targetE0EEEvSO_.uses_flat_scratch, 0
	.set _ZN7rocprim17ROCPRIM_400000_NS6detail17trampoline_kernelINS0_14default_configENS1_38merge_sort_block_merge_config_selectorIjN6thrust23THRUST_200600_302600_NS5tupleIffNS6_9null_typeES8_S8_S8_S8_S8_S8_S8_EEEEZZNS1_27merge_sort_block_merge_implIS3_NS6_6detail15normal_iteratorINS6_10device_ptrIjEEEENSD_INSE_IS9_EEEEjNS1_19radix_merge_compareILb0ELb1EjNS0_19identity_decomposerEEEEE10hipError_tT0_T1_T2_jT3_P12ihipStream_tbPNSt15iterator_traitsISN_E10value_typeEPNST_ISO_E10value_typeEPSP_NS1_7vsmem_tEENKUlT_SN_SO_SP_E_clISG_PjSI_PS9_EESM_S12_SN_SO_SP_EUlS12_E0_NS1_11comp_targetILNS1_3genE9ELNS1_11target_archE1100ELNS1_3gpuE3ELNS1_3repE0EEENS1_38merge_mergepath_config_static_selectorELNS0_4arch9wavefront6targetE0EEEvSO_.has_dyn_sized_stack, 0
	.set _ZN7rocprim17ROCPRIM_400000_NS6detail17trampoline_kernelINS0_14default_configENS1_38merge_sort_block_merge_config_selectorIjN6thrust23THRUST_200600_302600_NS5tupleIffNS6_9null_typeES8_S8_S8_S8_S8_S8_S8_EEEEZZNS1_27merge_sort_block_merge_implIS3_NS6_6detail15normal_iteratorINS6_10device_ptrIjEEEENSD_INSE_IS9_EEEEjNS1_19radix_merge_compareILb0ELb1EjNS0_19identity_decomposerEEEEE10hipError_tT0_T1_T2_jT3_P12ihipStream_tbPNSt15iterator_traitsISN_E10value_typeEPNST_ISO_E10value_typeEPSP_NS1_7vsmem_tEENKUlT_SN_SO_SP_E_clISG_PjSI_PS9_EESM_S12_SN_SO_SP_EUlS12_E0_NS1_11comp_targetILNS1_3genE9ELNS1_11target_archE1100ELNS1_3gpuE3ELNS1_3repE0EEENS1_38merge_mergepath_config_static_selectorELNS0_4arch9wavefront6targetE0EEEvSO_.has_recursion, 0
	.set _ZN7rocprim17ROCPRIM_400000_NS6detail17trampoline_kernelINS0_14default_configENS1_38merge_sort_block_merge_config_selectorIjN6thrust23THRUST_200600_302600_NS5tupleIffNS6_9null_typeES8_S8_S8_S8_S8_S8_S8_EEEEZZNS1_27merge_sort_block_merge_implIS3_NS6_6detail15normal_iteratorINS6_10device_ptrIjEEEENSD_INSE_IS9_EEEEjNS1_19radix_merge_compareILb0ELb1EjNS0_19identity_decomposerEEEEE10hipError_tT0_T1_T2_jT3_P12ihipStream_tbPNSt15iterator_traitsISN_E10value_typeEPNST_ISO_E10value_typeEPSP_NS1_7vsmem_tEENKUlT_SN_SO_SP_E_clISG_PjSI_PS9_EESM_S12_SN_SO_SP_EUlS12_E0_NS1_11comp_targetILNS1_3genE9ELNS1_11target_archE1100ELNS1_3gpuE3ELNS1_3repE0EEENS1_38merge_mergepath_config_static_selectorELNS0_4arch9wavefront6targetE0EEEvSO_.has_indirect_call, 0
	.section	.AMDGPU.csdata,"",@progbits
; Kernel info:
; codeLenInByte = 0
; TotalNumSgprs: 0
; NumVgprs: 0
; ScratchSize: 0
; MemoryBound: 0
; FloatMode: 240
; IeeeMode: 1
; LDSByteSize: 0 bytes/workgroup (compile time only)
; SGPRBlocks: 0
; VGPRBlocks: 0
; NumSGPRsForWavesPerEU: 1
; NumVGPRsForWavesPerEU: 1
; Occupancy: 16
; WaveLimiterHint : 0
; COMPUTE_PGM_RSRC2:SCRATCH_EN: 0
; COMPUTE_PGM_RSRC2:USER_SGPR: 6
; COMPUTE_PGM_RSRC2:TRAP_HANDLER: 0
; COMPUTE_PGM_RSRC2:TGID_X_EN: 1
; COMPUTE_PGM_RSRC2:TGID_Y_EN: 0
; COMPUTE_PGM_RSRC2:TGID_Z_EN: 0
; COMPUTE_PGM_RSRC2:TIDIG_COMP_CNT: 0
	.section	.text._ZN7rocprim17ROCPRIM_400000_NS6detail17trampoline_kernelINS0_14default_configENS1_38merge_sort_block_merge_config_selectorIjN6thrust23THRUST_200600_302600_NS5tupleIffNS6_9null_typeES8_S8_S8_S8_S8_S8_S8_EEEEZZNS1_27merge_sort_block_merge_implIS3_NS6_6detail15normal_iteratorINS6_10device_ptrIjEEEENSD_INSE_IS9_EEEEjNS1_19radix_merge_compareILb0ELb1EjNS0_19identity_decomposerEEEEE10hipError_tT0_T1_T2_jT3_P12ihipStream_tbPNSt15iterator_traitsISN_E10value_typeEPNST_ISO_E10value_typeEPSP_NS1_7vsmem_tEENKUlT_SN_SO_SP_E_clISG_PjSI_PS9_EESM_S12_SN_SO_SP_EUlS12_E0_NS1_11comp_targetILNS1_3genE8ELNS1_11target_archE1030ELNS1_3gpuE2ELNS1_3repE0EEENS1_38merge_mergepath_config_static_selectorELNS0_4arch9wavefront6targetE0EEEvSO_,"axG",@progbits,_ZN7rocprim17ROCPRIM_400000_NS6detail17trampoline_kernelINS0_14default_configENS1_38merge_sort_block_merge_config_selectorIjN6thrust23THRUST_200600_302600_NS5tupleIffNS6_9null_typeES8_S8_S8_S8_S8_S8_S8_EEEEZZNS1_27merge_sort_block_merge_implIS3_NS6_6detail15normal_iteratorINS6_10device_ptrIjEEEENSD_INSE_IS9_EEEEjNS1_19radix_merge_compareILb0ELb1EjNS0_19identity_decomposerEEEEE10hipError_tT0_T1_T2_jT3_P12ihipStream_tbPNSt15iterator_traitsISN_E10value_typeEPNST_ISO_E10value_typeEPSP_NS1_7vsmem_tEENKUlT_SN_SO_SP_E_clISG_PjSI_PS9_EESM_S12_SN_SO_SP_EUlS12_E0_NS1_11comp_targetILNS1_3genE8ELNS1_11target_archE1030ELNS1_3gpuE2ELNS1_3repE0EEENS1_38merge_mergepath_config_static_selectorELNS0_4arch9wavefront6targetE0EEEvSO_,comdat
	.protected	_ZN7rocprim17ROCPRIM_400000_NS6detail17trampoline_kernelINS0_14default_configENS1_38merge_sort_block_merge_config_selectorIjN6thrust23THRUST_200600_302600_NS5tupleIffNS6_9null_typeES8_S8_S8_S8_S8_S8_S8_EEEEZZNS1_27merge_sort_block_merge_implIS3_NS6_6detail15normal_iteratorINS6_10device_ptrIjEEEENSD_INSE_IS9_EEEEjNS1_19radix_merge_compareILb0ELb1EjNS0_19identity_decomposerEEEEE10hipError_tT0_T1_T2_jT3_P12ihipStream_tbPNSt15iterator_traitsISN_E10value_typeEPNST_ISO_E10value_typeEPSP_NS1_7vsmem_tEENKUlT_SN_SO_SP_E_clISG_PjSI_PS9_EESM_S12_SN_SO_SP_EUlS12_E0_NS1_11comp_targetILNS1_3genE8ELNS1_11target_archE1030ELNS1_3gpuE2ELNS1_3repE0EEENS1_38merge_mergepath_config_static_selectorELNS0_4arch9wavefront6targetE0EEEvSO_ ; -- Begin function _ZN7rocprim17ROCPRIM_400000_NS6detail17trampoline_kernelINS0_14default_configENS1_38merge_sort_block_merge_config_selectorIjN6thrust23THRUST_200600_302600_NS5tupleIffNS6_9null_typeES8_S8_S8_S8_S8_S8_S8_EEEEZZNS1_27merge_sort_block_merge_implIS3_NS6_6detail15normal_iteratorINS6_10device_ptrIjEEEENSD_INSE_IS9_EEEEjNS1_19radix_merge_compareILb0ELb1EjNS0_19identity_decomposerEEEEE10hipError_tT0_T1_T2_jT3_P12ihipStream_tbPNSt15iterator_traitsISN_E10value_typeEPNST_ISO_E10value_typeEPSP_NS1_7vsmem_tEENKUlT_SN_SO_SP_E_clISG_PjSI_PS9_EESM_S12_SN_SO_SP_EUlS12_E0_NS1_11comp_targetILNS1_3genE8ELNS1_11target_archE1030ELNS1_3gpuE2ELNS1_3repE0EEENS1_38merge_mergepath_config_static_selectorELNS0_4arch9wavefront6targetE0EEEvSO_
	.globl	_ZN7rocprim17ROCPRIM_400000_NS6detail17trampoline_kernelINS0_14default_configENS1_38merge_sort_block_merge_config_selectorIjN6thrust23THRUST_200600_302600_NS5tupleIffNS6_9null_typeES8_S8_S8_S8_S8_S8_S8_EEEEZZNS1_27merge_sort_block_merge_implIS3_NS6_6detail15normal_iteratorINS6_10device_ptrIjEEEENSD_INSE_IS9_EEEEjNS1_19radix_merge_compareILb0ELb1EjNS0_19identity_decomposerEEEEE10hipError_tT0_T1_T2_jT3_P12ihipStream_tbPNSt15iterator_traitsISN_E10value_typeEPNST_ISO_E10value_typeEPSP_NS1_7vsmem_tEENKUlT_SN_SO_SP_E_clISG_PjSI_PS9_EESM_S12_SN_SO_SP_EUlS12_E0_NS1_11comp_targetILNS1_3genE8ELNS1_11target_archE1030ELNS1_3gpuE2ELNS1_3repE0EEENS1_38merge_mergepath_config_static_selectorELNS0_4arch9wavefront6targetE0EEEvSO_
	.p2align	8
	.type	_ZN7rocprim17ROCPRIM_400000_NS6detail17trampoline_kernelINS0_14default_configENS1_38merge_sort_block_merge_config_selectorIjN6thrust23THRUST_200600_302600_NS5tupleIffNS6_9null_typeES8_S8_S8_S8_S8_S8_S8_EEEEZZNS1_27merge_sort_block_merge_implIS3_NS6_6detail15normal_iteratorINS6_10device_ptrIjEEEENSD_INSE_IS9_EEEEjNS1_19radix_merge_compareILb0ELb1EjNS0_19identity_decomposerEEEEE10hipError_tT0_T1_T2_jT3_P12ihipStream_tbPNSt15iterator_traitsISN_E10value_typeEPNST_ISO_E10value_typeEPSP_NS1_7vsmem_tEENKUlT_SN_SO_SP_E_clISG_PjSI_PS9_EESM_S12_SN_SO_SP_EUlS12_E0_NS1_11comp_targetILNS1_3genE8ELNS1_11target_archE1030ELNS1_3gpuE2ELNS1_3repE0EEENS1_38merge_mergepath_config_static_selectorELNS0_4arch9wavefront6targetE0EEEvSO_,@function
_ZN7rocprim17ROCPRIM_400000_NS6detail17trampoline_kernelINS0_14default_configENS1_38merge_sort_block_merge_config_selectorIjN6thrust23THRUST_200600_302600_NS5tupleIffNS6_9null_typeES8_S8_S8_S8_S8_S8_S8_EEEEZZNS1_27merge_sort_block_merge_implIS3_NS6_6detail15normal_iteratorINS6_10device_ptrIjEEEENSD_INSE_IS9_EEEEjNS1_19radix_merge_compareILb0ELb1EjNS0_19identity_decomposerEEEEE10hipError_tT0_T1_T2_jT3_P12ihipStream_tbPNSt15iterator_traitsISN_E10value_typeEPNST_ISO_E10value_typeEPSP_NS1_7vsmem_tEENKUlT_SN_SO_SP_E_clISG_PjSI_PS9_EESM_S12_SN_SO_SP_EUlS12_E0_NS1_11comp_targetILNS1_3genE8ELNS1_11target_archE1030ELNS1_3gpuE2ELNS1_3repE0EEENS1_38merge_mergepath_config_static_selectorELNS0_4arch9wavefront6targetE0EEEvSO_: ; @_ZN7rocprim17ROCPRIM_400000_NS6detail17trampoline_kernelINS0_14default_configENS1_38merge_sort_block_merge_config_selectorIjN6thrust23THRUST_200600_302600_NS5tupleIffNS6_9null_typeES8_S8_S8_S8_S8_S8_S8_EEEEZZNS1_27merge_sort_block_merge_implIS3_NS6_6detail15normal_iteratorINS6_10device_ptrIjEEEENSD_INSE_IS9_EEEEjNS1_19radix_merge_compareILb0ELb1EjNS0_19identity_decomposerEEEEE10hipError_tT0_T1_T2_jT3_P12ihipStream_tbPNSt15iterator_traitsISN_E10value_typeEPNST_ISO_E10value_typeEPSP_NS1_7vsmem_tEENKUlT_SN_SO_SP_E_clISG_PjSI_PS9_EESM_S12_SN_SO_SP_EUlS12_E0_NS1_11comp_targetILNS1_3genE8ELNS1_11target_archE1030ELNS1_3gpuE2ELNS1_3repE0EEENS1_38merge_mergepath_config_static_selectorELNS0_4arch9wavefront6targetE0EEEvSO_
; %bb.0:
	s_clause 0x1
	s_load_dwordx2 s[0:1], s[4:5], 0x40
	s_load_dwordx2 s[2:3], s[4:5], 0x30
	s_waitcnt lgkmcnt(0)
	s_mul_i32 s1, s1, s8
	s_add_i32 s1, s1, s7
	s_mul_i32 s0, s1, s0
	s_add_i32 s0, s0, s6
	s_cmp_ge_u32 s0, s2
	s_cbranch_scc1 .LBB130_29
; %bb.1:
	s_clause 0x1
	s_load_dwordx8 s[8:15], s[4:5], 0x10
	s_load_dwordx2 s[6:7], s[4:5], 0x38
	s_mov_b32 s1, 0
	v_lshlrev_b32_e32 v3, 2, v0
                                        ; implicit-def: $vgpr1_vgpr2
	s_waitcnt lgkmcnt(0)
	s_lshr_b32 s24, s14, 10
	s_cmp_lg_u32 s0, s24
	s_cselect_b32 s16, -1, 0
	s_lshl_b64 s[18:19], s[0:1], 2
	s_add_u32 s6, s6, s18
	s_addc_u32 s7, s7, s19
	s_lshr_b32 s2, s15, 9
	s_load_dwordx2 s[6:7], s[6:7], 0x0
	s_and_b32 s2, s2, 0x7ffffe
	s_load_dwordx2 s[18:19], s[4:5], 0x8
	s_sub_i32 s4, 0, s2
	s_lshl_b32 s2, s0, 10
	s_and_b32 s5, s0, s4
	s_or_b32 s17, s0, s4
	s_lshl_b32 s4, s5, 11
	s_lshl_b32 s5, s5, 10
	s_add_i32 s4, s4, s15
	s_sub_i32 s20, s2, s5
	s_sub_i32 s5, s4, s5
	s_add_i32 s4, s4, s20
	s_min_u32 s20, s14, s5
	s_add_i32 s15, s5, s15
	s_waitcnt lgkmcnt(0)
	s_sub_i32 s5, s4, s6
	s_sub_i32 s21, s4, s7
	s_min_u32 s4, s14, s5
	s_addk_i32 s21, 0x400
	s_cmp_eq_u32 s17, -1
	s_mov_b32 s5, s1
	s_cselect_b32 s22, s20, s7
	s_mov_b32 s7, s1
	s_cselect_b32 s15, s15, s21
	s_lshl_b64 s[20:21], s[6:7], 2
	s_min_u32 s17, s15, s14
	s_sub_i32 s15, s22, s6
	s_add_u32 s20, s18, s20
	s_addc_u32 s21, s19, s21
	s_lshl_b64 s[22:23], s[4:5], 2
	s_add_u32 s18, s18, s22
	s_addc_u32 s19, s19, s23
	s_cmp_eq_u32 s0, s24
	s_mov_b32 s0, -1
	s_cbranch_scc0 .LBB130_7
; %bb.2:
	s_andn2_b32 vcc_lo, exec_lo, s0
	s_sub_i32 s17, s17, s4
	s_cbranch_vccz .LBB130_8
.LBB130_3:
                                        ; implicit-def: $vgpr5
	s_and_saveexec_b32 s0, s1
	s_cbranch_execz .LBB130_5
.LBB130_4:
	global_load_dword v5, v[1:2], off
.LBB130_5:
	s_or_b32 exec_lo, exec_lo, s0
	s_lshl_b64 s[0:1], s[6:7], 3
	v_mov_b32_e32 v2, 0
	s_add_u32 s6, s10, s0
	s_addc_u32 s7, s11, s1
	s_lshl_b64 s[0:1], s[4:5], 3
	v_lshlrev_b32_e32 v4, 3, v0
	s_add_u32 s4, s10, s0
	s_addc_u32 s5, s11, s1
	s_andn2_b32 vcc_lo, exec_lo, s16
	s_waitcnt vmcnt(0)
	ds_write_b32 v3, v5
	s_cbranch_vccnz .LBB130_11
; %bb.6:
	v_sub_co_u32 v1, vcc_lo, v0, s15
	v_add_co_u32 v6, s0, s6, v4
	v_add_co_ci_u32_e64 v7, null, s7, 0, s0
	v_lshlrev_b64 v[1:2], 3, v[1:2]
	s_add_i32 s1, s17, s15
	v_add_co_u32 v1, s0, s4, v1
	v_add_co_ci_u32_e64 v2, null, s5, v2, s0
	v_cndmask_b32_e32 v1, v1, v6, vcc_lo
	v_cndmask_b32_e32 v2, v2, v7, vcc_lo
	global_load_dwordx2 v[1:2], v[1:2], off
	s_cbranch_execz .LBB130_12
	s_branch .LBB130_15
.LBB130_7:
	v_sub_co_u32 v1, vcc_lo, v0, s15
	v_mov_b32_e32 v2, 0
	v_add_co_u32 v4, s0, s20, v3
	v_add_co_ci_u32_e64 v5, null, s21, 0, s0
	v_lshlrev_b64 v[1:2], 2, v[1:2]
	s_mov_b32 s1, -1
	v_add_co_u32 v1, s0, s18, v1
	v_add_co_ci_u32_e64 v2, null, s19, v2, s0
	v_cndmask_b32_e32 v1, v1, v4, vcc_lo
	v_cndmask_b32_e32 v2, v2, v5, vcc_lo
	s_sub_i32 s17, s17, s4
	s_cbranch_execnz .LBB130_3
.LBB130_8:
	s_add_i32 s0, s17, s15
	s_mov_b32 s22, exec_lo
                                        ; implicit-def: $vgpr1_vgpr2
	v_cmpx_gt_u32_e64 s0, v0
	s_cbranch_execz .LBB130_10
; %bb.9:
	v_sub_co_u32 v1, vcc_lo, v0, s15
	v_mov_b32_e32 v2, 0
	v_add_co_u32 v4, s0, s20, v3
	v_add_co_ci_u32_e64 v5, null, s21, 0, s0
	v_lshlrev_b64 v[1:2], 2, v[1:2]
	s_or_b32 s1, s1, exec_lo
	v_add_co_u32 v1, s0, s18, v1
	v_add_co_ci_u32_e64 v2, null, s19, v2, s0
	v_cndmask_b32_e32 v1, v1, v4, vcc_lo
	v_cndmask_b32_e32 v2, v2, v5, vcc_lo
.LBB130_10:
	s_or_b32 exec_lo, exec_lo, s22
                                        ; implicit-def: $vgpr5
	s_and_saveexec_b32 s0, s1
	s_cbranch_execnz .LBB130_4
	s_branch .LBB130_5
.LBB130_11:
                                        ; implicit-def: $vgpr1
                                        ; implicit-def: $sgpr1
.LBB130_12:
	s_waitcnt vmcnt(0)
	v_mov_b32_e32 v1, 0
	v_mov_b32_e32 v2, 0
	s_add_i32 s1, s17, s15
	s_mov_b32 s10, exec_lo
	v_cmpx_gt_u32_e64 s1, v0
	s_cbranch_execz .LBB130_14
; %bb.13:
	v_sub_co_u32 v1, vcc_lo, v0, s15
	v_mov_b32_e32 v2, 0
	v_add_co_u32 v6, s0, s6, v4
	v_add_co_ci_u32_e64 v7, null, s7, 0, s0
	v_lshlrev_b64 v[1:2], 3, v[1:2]
	v_add_co_u32 v1, s0, s4, v1
	v_add_co_ci_u32_e64 v2, null, s5, v2, s0
	v_cndmask_b32_e32 v1, v1, v6, vcc_lo
	v_cndmask_b32_e32 v2, v2, v7, vcc_lo
	global_load_dwordx2 v[1:2], v[1:2], off
.LBB130_14:
	s_or_b32 exec_lo, exec_lo, s10
.LBB130_15:
	v_min_u32_e32 v7, s1, v0
	s_mov_b32 s0, exec_lo
	s_waitcnt vmcnt(0) lgkmcnt(0)
	s_barrier
	buffer_gl0_inv
	v_sub_nc_u32_e64 v6, v7, s17 clamp
	v_min_u32_e32 v8, s15, v7
	v_cmpx_lt_u32_e64 v6, v8
	s_cbranch_execz .LBB130_19
; %bb.16:
	v_lshlrev_b32_e32 v9, 2, v7
	s_mov_b32 s4, 0
	v_lshl_add_u32 v9, s15, 2, v9
	.p2align	6
.LBB130_17:                             ; =>This Inner Loop Header: Depth=1
	v_add_nc_u32_e32 v10, v8, v6
	v_lshrrev_b32_e32 v10, 1, v10
	v_not_b32_e32 v11, v10
	v_lshlrev_b32_e32 v12, 2, v10
	v_add_nc_u32_e32 v13, 1, v10
	v_lshl_add_u32 v11, v11, 2, v9
	ds_read_b32 v12, v12
	ds_read_b32 v11, v11
	s_waitcnt lgkmcnt(1)
	v_and_b32_e32 v12, s3, v12
	s_waitcnt lgkmcnt(0)
	v_and_b32_e32 v11, s3, v11
	v_cmp_gt_u32_e32 vcc_lo, v12, v11
	v_cndmask_b32_e32 v8, v8, v10, vcc_lo
	v_cndmask_b32_e32 v6, v13, v6, vcc_lo
	v_cmp_ge_u32_e32 vcc_lo, v6, v8
	s_or_b32 s4, vcc_lo, s4
	s_andn2_b32 exec_lo, exec_lo, s4
	s_cbranch_execnz .LBB130_17
; %bb.18:
	s_or_b32 exec_lo, exec_lo, s4
.LBB130_19:
	s_or_b32 exec_lo, exec_lo, s0
	v_sub_nc_u32_e32 v7, v7, v6
	v_cmp_ge_u32_e32 vcc_lo, s15, v6
	v_mov_b32_e32 v8, 0
	v_add_nc_u32_e32 v7, s15, v7
	v_cmp_ge_u32_e64 s0, s1, v7
	s_or_b32 s0, vcc_lo, s0
	s_and_saveexec_b32 s4, s0
	s_cbranch_execz .LBB130_25
; %bb.20:
	v_cmp_gt_u32_e32 vcc_lo, s15, v6
                                        ; implicit-def: $vgpr5
	s_and_saveexec_b32 s0, vcc_lo
; %bb.21:
	v_lshlrev_b32_e32 v5, 2, v6
	ds_read_b32 v5, v5
; %bb.22:
	s_or_b32 exec_lo, exec_lo, s0
	v_cmp_le_u32_e64 s0, s1, v7
	s_mov_b32 s5, exec_lo
                                        ; implicit-def: $vgpr9
	v_cmpx_gt_u32_e64 s1, v7
; %bb.23:
	v_lshlrev_b32_e32 v8, 2, v7
	ds_read_b32 v9, v8
; %bb.24:
	s_or_b32 exec_lo, exec_lo, s5
	s_waitcnt lgkmcnt(0)
	v_and_b32_e32 v8, s3, v9
	v_and_b32_e32 v10, s3, v5
	v_cmp_le_u32_e64 s1, v10, v8
	s_and_b32 s1, vcc_lo, s1
	s_or_b32 vcc_lo, s0, s1
	v_cndmask_b32_e32 v8, v7, v6, vcc_lo
	v_cndmask_b32_e32 v5, v9, v5, vcc_lo
.LBB130_25:
	s_or_b32 exec_lo, exec_lo, s4
	v_add_nc_u32_e32 v6, v3, v3
	v_lshlrev_b32_e32 v7, 3, v8
	s_barrier
	buffer_gl0_inv
	ds_write_b64 v6, v[1:2]
	s_waitcnt lgkmcnt(0)
	s_barrier
	buffer_gl0_inv
	ds_read_b64 v[1:2], v7
	s_mov_b32 s3, 0
	s_mov_b32 s1, -1
	s_and_b32 vcc_lo, exec_lo, s16
	s_mov_b32 s0, s3
	s_waitcnt lgkmcnt(0)
	s_barrier
	buffer_gl0_inv
	s_barrier
	buffer_gl0_inv
	ds_write_b32 v3, v5
	s_waitcnt lgkmcnt(0)
	s_cbranch_vccnz .LBB130_30
; %bb.26:
	s_andn2_b32 vcc_lo, exec_lo, s1
	s_cbranch_vccz .LBB130_31
.LBB130_27:
	s_and_saveexec_b32 s1, s0
	s_cbranch_execz .LBB130_29
.LBB130_28:
	ds_read_b64 v[0:1], v6
	s_lshl_b64 s[0:1], s[2:3], 3
	s_add_u32 s0, s12, s0
	s_addc_u32 s1, s13, s1
	s_waitcnt lgkmcnt(0)
	global_store_dwordx2 v4, v[0:1], s[0:1]
.LBB130_29:
	s_endpgm
.LBB130_30:
	s_barrier
	buffer_gl0_inv
	ds_read_b32 v5, v3
	s_lshl_b64 s[4:5], s[2:3], 2
	s_add_u32 s4, s8, s4
	s_addc_u32 s5, s9, s5
	s_mov_b32 s0, -1
	s_waitcnt lgkmcnt(0)
	global_store_dword v3, v5, s[4:5]
	s_waitcnt_vscnt null, 0x0
	s_barrier
	buffer_gl0_inv
	ds_write_b64 v6, v[1:2]
	s_waitcnt lgkmcnt(0)
	s_barrier
	buffer_gl0_inv
	s_cbranch_execnz .LBB130_27
.LBB130_31:
	s_sub_i32 s0, s14, s2
	s_barrier
	v_cmp_gt_u32_e64 s0, s0, v0
	buffer_gl0_inv
	s_and_saveexec_b32 s1, s0
	s_cbranch_execz .LBB130_33
; %bb.32:
	ds_read_b32 v0, v3
	s_lshl_b64 s[4:5], s[2:3], 2
	s_add_u32 s4, s8, s4
	s_addc_u32 s5, s9, s5
	s_waitcnt lgkmcnt(0)
	global_store_dword v3, v0, s[4:5]
.LBB130_33:
	s_or_b32 exec_lo, exec_lo, s1
	s_waitcnt_vscnt null, 0x0
	s_barrier
	buffer_gl0_inv
	ds_write_b64 v6, v[1:2]
	s_waitcnt lgkmcnt(0)
	s_barrier
	buffer_gl0_inv
	s_and_saveexec_b32 s1, s0
	s_cbranch_execnz .LBB130_28
	s_branch .LBB130_29
	.section	.rodata,"a",@progbits
	.p2align	6, 0x0
	.amdhsa_kernel _ZN7rocprim17ROCPRIM_400000_NS6detail17trampoline_kernelINS0_14default_configENS1_38merge_sort_block_merge_config_selectorIjN6thrust23THRUST_200600_302600_NS5tupleIffNS6_9null_typeES8_S8_S8_S8_S8_S8_S8_EEEEZZNS1_27merge_sort_block_merge_implIS3_NS6_6detail15normal_iteratorINS6_10device_ptrIjEEEENSD_INSE_IS9_EEEEjNS1_19radix_merge_compareILb0ELb1EjNS0_19identity_decomposerEEEEE10hipError_tT0_T1_T2_jT3_P12ihipStream_tbPNSt15iterator_traitsISN_E10value_typeEPNST_ISO_E10value_typeEPSP_NS1_7vsmem_tEENKUlT_SN_SO_SP_E_clISG_PjSI_PS9_EESM_S12_SN_SO_SP_EUlS12_E0_NS1_11comp_targetILNS1_3genE8ELNS1_11target_archE1030ELNS1_3gpuE2ELNS1_3repE0EEENS1_38merge_mergepath_config_static_selectorELNS0_4arch9wavefront6targetE0EEEvSO_
		.amdhsa_group_segment_fixed_size 8208
		.amdhsa_private_segment_fixed_size 0
		.amdhsa_kernarg_size 320
		.amdhsa_user_sgpr_count 6
		.amdhsa_user_sgpr_private_segment_buffer 1
		.amdhsa_user_sgpr_dispatch_ptr 0
		.amdhsa_user_sgpr_queue_ptr 0
		.amdhsa_user_sgpr_kernarg_segment_ptr 1
		.amdhsa_user_sgpr_dispatch_id 0
		.amdhsa_user_sgpr_flat_scratch_init 0
		.amdhsa_user_sgpr_private_segment_size 0
		.amdhsa_wavefront_size32 1
		.amdhsa_uses_dynamic_stack 0
		.amdhsa_system_sgpr_private_segment_wavefront_offset 0
		.amdhsa_system_sgpr_workgroup_id_x 1
		.amdhsa_system_sgpr_workgroup_id_y 1
		.amdhsa_system_sgpr_workgroup_id_z 1
		.amdhsa_system_sgpr_workgroup_info 0
		.amdhsa_system_vgpr_workitem_id 0
		.amdhsa_next_free_vgpr 14
		.amdhsa_next_free_sgpr 25
		.amdhsa_reserve_vcc 1
		.amdhsa_reserve_flat_scratch 0
		.amdhsa_float_round_mode_32 0
		.amdhsa_float_round_mode_16_64 0
		.amdhsa_float_denorm_mode_32 3
		.amdhsa_float_denorm_mode_16_64 3
		.amdhsa_dx10_clamp 1
		.amdhsa_ieee_mode 1
		.amdhsa_fp16_overflow 0
		.amdhsa_workgroup_processor_mode 1
		.amdhsa_memory_ordered 1
		.amdhsa_forward_progress 1
		.amdhsa_shared_vgpr_count 0
		.amdhsa_exception_fp_ieee_invalid_op 0
		.amdhsa_exception_fp_denorm_src 0
		.amdhsa_exception_fp_ieee_div_zero 0
		.amdhsa_exception_fp_ieee_overflow 0
		.amdhsa_exception_fp_ieee_underflow 0
		.amdhsa_exception_fp_ieee_inexact 0
		.amdhsa_exception_int_div_zero 0
	.end_amdhsa_kernel
	.section	.text._ZN7rocprim17ROCPRIM_400000_NS6detail17trampoline_kernelINS0_14default_configENS1_38merge_sort_block_merge_config_selectorIjN6thrust23THRUST_200600_302600_NS5tupleIffNS6_9null_typeES8_S8_S8_S8_S8_S8_S8_EEEEZZNS1_27merge_sort_block_merge_implIS3_NS6_6detail15normal_iteratorINS6_10device_ptrIjEEEENSD_INSE_IS9_EEEEjNS1_19radix_merge_compareILb0ELb1EjNS0_19identity_decomposerEEEEE10hipError_tT0_T1_T2_jT3_P12ihipStream_tbPNSt15iterator_traitsISN_E10value_typeEPNST_ISO_E10value_typeEPSP_NS1_7vsmem_tEENKUlT_SN_SO_SP_E_clISG_PjSI_PS9_EESM_S12_SN_SO_SP_EUlS12_E0_NS1_11comp_targetILNS1_3genE8ELNS1_11target_archE1030ELNS1_3gpuE2ELNS1_3repE0EEENS1_38merge_mergepath_config_static_selectorELNS0_4arch9wavefront6targetE0EEEvSO_,"axG",@progbits,_ZN7rocprim17ROCPRIM_400000_NS6detail17trampoline_kernelINS0_14default_configENS1_38merge_sort_block_merge_config_selectorIjN6thrust23THRUST_200600_302600_NS5tupleIffNS6_9null_typeES8_S8_S8_S8_S8_S8_S8_EEEEZZNS1_27merge_sort_block_merge_implIS3_NS6_6detail15normal_iteratorINS6_10device_ptrIjEEEENSD_INSE_IS9_EEEEjNS1_19radix_merge_compareILb0ELb1EjNS0_19identity_decomposerEEEEE10hipError_tT0_T1_T2_jT3_P12ihipStream_tbPNSt15iterator_traitsISN_E10value_typeEPNST_ISO_E10value_typeEPSP_NS1_7vsmem_tEENKUlT_SN_SO_SP_E_clISG_PjSI_PS9_EESM_S12_SN_SO_SP_EUlS12_E0_NS1_11comp_targetILNS1_3genE8ELNS1_11target_archE1030ELNS1_3gpuE2ELNS1_3repE0EEENS1_38merge_mergepath_config_static_selectorELNS0_4arch9wavefront6targetE0EEEvSO_,comdat
.Lfunc_end130:
	.size	_ZN7rocprim17ROCPRIM_400000_NS6detail17trampoline_kernelINS0_14default_configENS1_38merge_sort_block_merge_config_selectorIjN6thrust23THRUST_200600_302600_NS5tupleIffNS6_9null_typeES8_S8_S8_S8_S8_S8_S8_EEEEZZNS1_27merge_sort_block_merge_implIS3_NS6_6detail15normal_iteratorINS6_10device_ptrIjEEEENSD_INSE_IS9_EEEEjNS1_19radix_merge_compareILb0ELb1EjNS0_19identity_decomposerEEEEE10hipError_tT0_T1_T2_jT3_P12ihipStream_tbPNSt15iterator_traitsISN_E10value_typeEPNST_ISO_E10value_typeEPSP_NS1_7vsmem_tEENKUlT_SN_SO_SP_E_clISG_PjSI_PS9_EESM_S12_SN_SO_SP_EUlS12_E0_NS1_11comp_targetILNS1_3genE8ELNS1_11target_archE1030ELNS1_3gpuE2ELNS1_3repE0EEENS1_38merge_mergepath_config_static_selectorELNS0_4arch9wavefront6targetE0EEEvSO_, .Lfunc_end130-_ZN7rocprim17ROCPRIM_400000_NS6detail17trampoline_kernelINS0_14default_configENS1_38merge_sort_block_merge_config_selectorIjN6thrust23THRUST_200600_302600_NS5tupleIffNS6_9null_typeES8_S8_S8_S8_S8_S8_S8_EEEEZZNS1_27merge_sort_block_merge_implIS3_NS6_6detail15normal_iteratorINS6_10device_ptrIjEEEENSD_INSE_IS9_EEEEjNS1_19radix_merge_compareILb0ELb1EjNS0_19identity_decomposerEEEEE10hipError_tT0_T1_T2_jT3_P12ihipStream_tbPNSt15iterator_traitsISN_E10value_typeEPNST_ISO_E10value_typeEPSP_NS1_7vsmem_tEENKUlT_SN_SO_SP_E_clISG_PjSI_PS9_EESM_S12_SN_SO_SP_EUlS12_E0_NS1_11comp_targetILNS1_3genE8ELNS1_11target_archE1030ELNS1_3gpuE2ELNS1_3repE0EEENS1_38merge_mergepath_config_static_selectorELNS0_4arch9wavefront6targetE0EEEvSO_
                                        ; -- End function
	.set _ZN7rocprim17ROCPRIM_400000_NS6detail17trampoline_kernelINS0_14default_configENS1_38merge_sort_block_merge_config_selectorIjN6thrust23THRUST_200600_302600_NS5tupleIffNS6_9null_typeES8_S8_S8_S8_S8_S8_S8_EEEEZZNS1_27merge_sort_block_merge_implIS3_NS6_6detail15normal_iteratorINS6_10device_ptrIjEEEENSD_INSE_IS9_EEEEjNS1_19radix_merge_compareILb0ELb1EjNS0_19identity_decomposerEEEEE10hipError_tT0_T1_T2_jT3_P12ihipStream_tbPNSt15iterator_traitsISN_E10value_typeEPNST_ISO_E10value_typeEPSP_NS1_7vsmem_tEENKUlT_SN_SO_SP_E_clISG_PjSI_PS9_EESM_S12_SN_SO_SP_EUlS12_E0_NS1_11comp_targetILNS1_3genE8ELNS1_11target_archE1030ELNS1_3gpuE2ELNS1_3repE0EEENS1_38merge_mergepath_config_static_selectorELNS0_4arch9wavefront6targetE0EEEvSO_.num_vgpr, 14
	.set _ZN7rocprim17ROCPRIM_400000_NS6detail17trampoline_kernelINS0_14default_configENS1_38merge_sort_block_merge_config_selectorIjN6thrust23THRUST_200600_302600_NS5tupleIffNS6_9null_typeES8_S8_S8_S8_S8_S8_S8_EEEEZZNS1_27merge_sort_block_merge_implIS3_NS6_6detail15normal_iteratorINS6_10device_ptrIjEEEENSD_INSE_IS9_EEEEjNS1_19radix_merge_compareILb0ELb1EjNS0_19identity_decomposerEEEEE10hipError_tT0_T1_T2_jT3_P12ihipStream_tbPNSt15iterator_traitsISN_E10value_typeEPNST_ISO_E10value_typeEPSP_NS1_7vsmem_tEENKUlT_SN_SO_SP_E_clISG_PjSI_PS9_EESM_S12_SN_SO_SP_EUlS12_E0_NS1_11comp_targetILNS1_3genE8ELNS1_11target_archE1030ELNS1_3gpuE2ELNS1_3repE0EEENS1_38merge_mergepath_config_static_selectorELNS0_4arch9wavefront6targetE0EEEvSO_.num_agpr, 0
	.set _ZN7rocprim17ROCPRIM_400000_NS6detail17trampoline_kernelINS0_14default_configENS1_38merge_sort_block_merge_config_selectorIjN6thrust23THRUST_200600_302600_NS5tupleIffNS6_9null_typeES8_S8_S8_S8_S8_S8_S8_EEEEZZNS1_27merge_sort_block_merge_implIS3_NS6_6detail15normal_iteratorINS6_10device_ptrIjEEEENSD_INSE_IS9_EEEEjNS1_19radix_merge_compareILb0ELb1EjNS0_19identity_decomposerEEEEE10hipError_tT0_T1_T2_jT3_P12ihipStream_tbPNSt15iterator_traitsISN_E10value_typeEPNST_ISO_E10value_typeEPSP_NS1_7vsmem_tEENKUlT_SN_SO_SP_E_clISG_PjSI_PS9_EESM_S12_SN_SO_SP_EUlS12_E0_NS1_11comp_targetILNS1_3genE8ELNS1_11target_archE1030ELNS1_3gpuE2ELNS1_3repE0EEENS1_38merge_mergepath_config_static_selectorELNS0_4arch9wavefront6targetE0EEEvSO_.numbered_sgpr, 25
	.set _ZN7rocprim17ROCPRIM_400000_NS6detail17trampoline_kernelINS0_14default_configENS1_38merge_sort_block_merge_config_selectorIjN6thrust23THRUST_200600_302600_NS5tupleIffNS6_9null_typeES8_S8_S8_S8_S8_S8_S8_EEEEZZNS1_27merge_sort_block_merge_implIS3_NS6_6detail15normal_iteratorINS6_10device_ptrIjEEEENSD_INSE_IS9_EEEEjNS1_19radix_merge_compareILb0ELb1EjNS0_19identity_decomposerEEEEE10hipError_tT0_T1_T2_jT3_P12ihipStream_tbPNSt15iterator_traitsISN_E10value_typeEPNST_ISO_E10value_typeEPSP_NS1_7vsmem_tEENKUlT_SN_SO_SP_E_clISG_PjSI_PS9_EESM_S12_SN_SO_SP_EUlS12_E0_NS1_11comp_targetILNS1_3genE8ELNS1_11target_archE1030ELNS1_3gpuE2ELNS1_3repE0EEENS1_38merge_mergepath_config_static_selectorELNS0_4arch9wavefront6targetE0EEEvSO_.num_named_barrier, 0
	.set _ZN7rocprim17ROCPRIM_400000_NS6detail17trampoline_kernelINS0_14default_configENS1_38merge_sort_block_merge_config_selectorIjN6thrust23THRUST_200600_302600_NS5tupleIffNS6_9null_typeES8_S8_S8_S8_S8_S8_S8_EEEEZZNS1_27merge_sort_block_merge_implIS3_NS6_6detail15normal_iteratorINS6_10device_ptrIjEEEENSD_INSE_IS9_EEEEjNS1_19radix_merge_compareILb0ELb1EjNS0_19identity_decomposerEEEEE10hipError_tT0_T1_T2_jT3_P12ihipStream_tbPNSt15iterator_traitsISN_E10value_typeEPNST_ISO_E10value_typeEPSP_NS1_7vsmem_tEENKUlT_SN_SO_SP_E_clISG_PjSI_PS9_EESM_S12_SN_SO_SP_EUlS12_E0_NS1_11comp_targetILNS1_3genE8ELNS1_11target_archE1030ELNS1_3gpuE2ELNS1_3repE0EEENS1_38merge_mergepath_config_static_selectorELNS0_4arch9wavefront6targetE0EEEvSO_.private_seg_size, 0
	.set _ZN7rocprim17ROCPRIM_400000_NS6detail17trampoline_kernelINS0_14default_configENS1_38merge_sort_block_merge_config_selectorIjN6thrust23THRUST_200600_302600_NS5tupleIffNS6_9null_typeES8_S8_S8_S8_S8_S8_S8_EEEEZZNS1_27merge_sort_block_merge_implIS3_NS6_6detail15normal_iteratorINS6_10device_ptrIjEEEENSD_INSE_IS9_EEEEjNS1_19radix_merge_compareILb0ELb1EjNS0_19identity_decomposerEEEEE10hipError_tT0_T1_T2_jT3_P12ihipStream_tbPNSt15iterator_traitsISN_E10value_typeEPNST_ISO_E10value_typeEPSP_NS1_7vsmem_tEENKUlT_SN_SO_SP_E_clISG_PjSI_PS9_EESM_S12_SN_SO_SP_EUlS12_E0_NS1_11comp_targetILNS1_3genE8ELNS1_11target_archE1030ELNS1_3gpuE2ELNS1_3repE0EEENS1_38merge_mergepath_config_static_selectorELNS0_4arch9wavefront6targetE0EEEvSO_.uses_vcc, 1
	.set _ZN7rocprim17ROCPRIM_400000_NS6detail17trampoline_kernelINS0_14default_configENS1_38merge_sort_block_merge_config_selectorIjN6thrust23THRUST_200600_302600_NS5tupleIffNS6_9null_typeES8_S8_S8_S8_S8_S8_S8_EEEEZZNS1_27merge_sort_block_merge_implIS3_NS6_6detail15normal_iteratorINS6_10device_ptrIjEEEENSD_INSE_IS9_EEEEjNS1_19radix_merge_compareILb0ELb1EjNS0_19identity_decomposerEEEEE10hipError_tT0_T1_T2_jT3_P12ihipStream_tbPNSt15iterator_traitsISN_E10value_typeEPNST_ISO_E10value_typeEPSP_NS1_7vsmem_tEENKUlT_SN_SO_SP_E_clISG_PjSI_PS9_EESM_S12_SN_SO_SP_EUlS12_E0_NS1_11comp_targetILNS1_3genE8ELNS1_11target_archE1030ELNS1_3gpuE2ELNS1_3repE0EEENS1_38merge_mergepath_config_static_selectorELNS0_4arch9wavefront6targetE0EEEvSO_.uses_flat_scratch, 0
	.set _ZN7rocprim17ROCPRIM_400000_NS6detail17trampoline_kernelINS0_14default_configENS1_38merge_sort_block_merge_config_selectorIjN6thrust23THRUST_200600_302600_NS5tupleIffNS6_9null_typeES8_S8_S8_S8_S8_S8_S8_EEEEZZNS1_27merge_sort_block_merge_implIS3_NS6_6detail15normal_iteratorINS6_10device_ptrIjEEEENSD_INSE_IS9_EEEEjNS1_19radix_merge_compareILb0ELb1EjNS0_19identity_decomposerEEEEE10hipError_tT0_T1_T2_jT3_P12ihipStream_tbPNSt15iterator_traitsISN_E10value_typeEPNST_ISO_E10value_typeEPSP_NS1_7vsmem_tEENKUlT_SN_SO_SP_E_clISG_PjSI_PS9_EESM_S12_SN_SO_SP_EUlS12_E0_NS1_11comp_targetILNS1_3genE8ELNS1_11target_archE1030ELNS1_3gpuE2ELNS1_3repE0EEENS1_38merge_mergepath_config_static_selectorELNS0_4arch9wavefront6targetE0EEEvSO_.has_dyn_sized_stack, 0
	.set _ZN7rocprim17ROCPRIM_400000_NS6detail17trampoline_kernelINS0_14default_configENS1_38merge_sort_block_merge_config_selectorIjN6thrust23THRUST_200600_302600_NS5tupleIffNS6_9null_typeES8_S8_S8_S8_S8_S8_S8_EEEEZZNS1_27merge_sort_block_merge_implIS3_NS6_6detail15normal_iteratorINS6_10device_ptrIjEEEENSD_INSE_IS9_EEEEjNS1_19radix_merge_compareILb0ELb1EjNS0_19identity_decomposerEEEEE10hipError_tT0_T1_T2_jT3_P12ihipStream_tbPNSt15iterator_traitsISN_E10value_typeEPNST_ISO_E10value_typeEPSP_NS1_7vsmem_tEENKUlT_SN_SO_SP_E_clISG_PjSI_PS9_EESM_S12_SN_SO_SP_EUlS12_E0_NS1_11comp_targetILNS1_3genE8ELNS1_11target_archE1030ELNS1_3gpuE2ELNS1_3repE0EEENS1_38merge_mergepath_config_static_selectorELNS0_4arch9wavefront6targetE0EEEvSO_.has_recursion, 0
	.set _ZN7rocprim17ROCPRIM_400000_NS6detail17trampoline_kernelINS0_14default_configENS1_38merge_sort_block_merge_config_selectorIjN6thrust23THRUST_200600_302600_NS5tupleIffNS6_9null_typeES8_S8_S8_S8_S8_S8_S8_EEEEZZNS1_27merge_sort_block_merge_implIS3_NS6_6detail15normal_iteratorINS6_10device_ptrIjEEEENSD_INSE_IS9_EEEEjNS1_19radix_merge_compareILb0ELb1EjNS0_19identity_decomposerEEEEE10hipError_tT0_T1_T2_jT3_P12ihipStream_tbPNSt15iterator_traitsISN_E10value_typeEPNST_ISO_E10value_typeEPSP_NS1_7vsmem_tEENKUlT_SN_SO_SP_E_clISG_PjSI_PS9_EESM_S12_SN_SO_SP_EUlS12_E0_NS1_11comp_targetILNS1_3genE8ELNS1_11target_archE1030ELNS1_3gpuE2ELNS1_3repE0EEENS1_38merge_mergepath_config_static_selectorELNS0_4arch9wavefront6targetE0EEEvSO_.has_indirect_call, 0
	.section	.AMDGPU.csdata,"",@progbits
; Kernel info:
; codeLenInByte = 1376
; TotalNumSgprs: 27
; NumVgprs: 14
; ScratchSize: 0
; MemoryBound: 0
; FloatMode: 240
; IeeeMode: 1
; LDSByteSize: 8208 bytes/workgroup (compile time only)
; SGPRBlocks: 0
; VGPRBlocks: 1
; NumSGPRsForWavesPerEU: 27
; NumVGPRsForWavesPerEU: 14
; Occupancy: 16
; WaveLimiterHint : 1
; COMPUTE_PGM_RSRC2:SCRATCH_EN: 0
; COMPUTE_PGM_RSRC2:USER_SGPR: 6
; COMPUTE_PGM_RSRC2:TRAP_HANDLER: 0
; COMPUTE_PGM_RSRC2:TGID_X_EN: 1
; COMPUTE_PGM_RSRC2:TGID_Y_EN: 1
; COMPUTE_PGM_RSRC2:TGID_Z_EN: 1
; COMPUTE_PGM_RSRC2:TIDIG_COMP_CNT: 0
	.section	.text._ZN7rocprim17ROCPRIM_400000_NS6detail17trampoline_kernelINS0_14default_configENS1_38merge_sort_block_merge_config_selectorIjN6thrust23THRUST_200600_302600_NS5tupleIffNS6_9null_typeES8_S8_S8_S8_S8_S8_S8_EEEEZZNS1_27merge_sort_block_merge_implIS3_NS6_6detail15normal_iteratorINS6_10device_ptrIjEEEENSD_INSE_IS9_EEEEjNS1_19radix_merge_compareILb0ELb1EjNS0_19identity_decomposerEEEEE10hipError_tT0_T1_T2_jT3_P12ihipStream_tbPNSt15iterator_traitsISN_E10value_typeEPNST_ISO_E10value_typeEPSP_NS1_7vsmem_tEENKUlT_SN_SO_SP_E_clISG_PjSI_PS9_EESM_S12_SN_SO_SP_EUlS12_E1_NS1_11comp_targetILNS1_3genE0ELNS1_11target_archE4294967295ELNS1_3gpuE0ELNS1_3repE0EEENS1_36merge_oddeven_config_static_selectorELNS0_4arch9wavefront6targetE0EEEvSO_,"axG",@progbits,_ZN7rocprim17ROCPRIM_400000_NS6detail17trampoline_kernelINS0_14default_configENS1_38merge_sort_block_merge_config_selectorIjN6thrust23THRUST_200600_302600_NS5tupleIffNS6_9null_typeES8_S8_S8_S8_S8_S8_S8_EEEEZZNS1_27merge_sort_block_merge_implIS3_NS6_6detail15normal_iteratorINS6_10device_ptrIjEEEENSD_INSE_IS9_EEEEjNS1_19radix_merge_compareILb0ELb1EjNS0_19identity_decomposerEEEEE10hipError_tT0_T1_T2_jT3_P12ihipStream_tbPNSt15iterator_traitsISN_E10value_typeEPNST_ISO_E10value_typeEPSP_NS1_7vsmem_tEENKUlT_SN_SO_SP_E_clISG_PjSI_PS9_EESM_S12_SN_SO_SP_EUlS12_E1_NS1_11comp_targetILNS1_3genE0ELNS1_11target_archE4294967295ELNS1_3gpuE0ELNS1_3repE0EEENS1_36merge_oddeven_config_static_selectorELNS0_4arch9wavefront6targetE0EEEvSO_,comdat
	.protected	_ZN7rocprim17ROCPRIM_400000_NS6detail17trampoline_kernelINS0_14default_configENS1_38merge_sort_block_merge_config_selectorIjN6thrust23THRUST_200600_302600_NS5tupleIffNS6_9null_typeES8_S8_S8_S8_S8_S8_S8_EEEEZZNS1_27merge_sort_block_merge_implIS3_NS6_6detail15normal_iteratorINS6_10device_ptrIjEEEENSD_INSE_IS9_EEEEjNS1_19radix_merge_compareILb0ELb1EjNS0_19identity_decomposerEEEEE10hipError_tT0_T1_T2_jT3_P12ihipStream_tbPNSt15iterator_traitsISN_E10value_typeEPNST_ISO_E10value_typeEPSP_NS1_7vsmem_tEENKUlT_SN_SO_SP_E_clISG_PjSI_PS9_EESM_S12_SN_SO_SP_EUlS12_E1_NS1_11comp_targetILNS1_3genE0ELNS1_11target_archE4294967295ELNS1_3gpuE0ELNS1_3repE0EEENS1_36merge_oddeven_config_static_selectorELNS0_4arch9wavefront6targetE0EEEvSO_ ; -- Begin function _ZN7rocprim17ROCPRIM_400000_NS6detail17trampoline_kernelINS0_14default_configENS1_38merge_sort_block_merge_config_selectorIjN6thrust23THRUST_200600_302600_NS5tupleIffNS6_9null_typeES8_S8_S8_S8_S8_S8_S8_EEEEZZNS1_27merge_sort_block_merge_implIS3_NS6_6detail15normal_iteratorINS6_10device_ptrIjEEEENSD_INSE_IS9_EEEEjNS1_19radix_merge_compareILb0ELb1EjNS0_19identity_decomposerEEEEE10hipError_tT0_T1_T2_jT3_P12ihipStream_tbPNSt15iterator_traitsISN_E10value_typeEPNST_ISO_E10value_typeEPSP_NS1_7vsmem_tEENKUlT_SN_SO_SP_E_clISG_PjSI_PS9_EESM_S12_SN_SO_SP_EUlS12_E1_NS1_11comp_targetILNS1_3genE0ELNS1_11target_archE4294967295ELNS1_3gpuE0ELNS1_3repE0EEENS1_36merge_oddeven_config_static_selectorELNS0_4arch9wavefront6targetE0EEEvSO_
	.globl	_ZN7rocprim17ROCPRIM_400000_NS6detail17trampoline_kernelINS0_14default_configENS1_38merge_sort_block_merge_config_selectorIjN6thrust23THRUST_200600_302600_NS5tupleIffNS6_9null_typeES8_S8_S8_S8_S8_S8_S8_EEEEZZNS1_27merge_sort_block_merge_implIS3_NS6_6detail15normal_iteratorINS6_10device_ptrIjEEEENSD_INSE_IS9_EEEEjNS1_19radix_merge_compareILb0ELb1EjNS0_19identity_decomposerEEEEE10hipError_tT0_T1_T2_jT3_P12ihipStream_tbPNSt15iterator_traitsISN_E10value_typeEPNST_ISO_E10value_typeEPSP_NS1_7vsmem_tEENKUlT_SN_SO_SP_E_clISG_PjSI_PS9_EESM_S12_SN_SO_SP_EUlS12_E1_NS1_11comp_targetILNS1_3genE0ELNS1_11target_archE4294967295ELNS1_3gpuE0ELNS1_3repE0EEENS1_36merge_oddeven_config_static_selectorELNS0_4arch9wavefront6targetE0EEEvSO_
	.p2align	8
	.type	_ZN7rocprim17ROCPRIM_400000_NS6detail17trampoline_kernelINS0_14default_configENS1_38merge_sort_block_merge_config_selectorIjN6thrust23THRUST_200600_302600_NS5tupleIffNS6_9null_typeES8_S8_S8_S8_S8_S8_S8_EEEEZZNS1_27merge_sort_block_merge_implIS3_NS6_6detail15normal_iteratorINS6_10device_ptrIjEEEENSD_INSE_IS9_EEEEjNS1_19radix_merge_compareILb0ELb1EjNS0_19identity_decomposerEEEEE10hipError_tT0_T1_T2_jT3_P12ihipStream_tbPNSt15iterator_traitsISN_E10value_typeEPNST_ISO_E10value_typeEPSP_NS1_7vsmem_tEENKUlT_SN_SO_SP_E_clISG_PjSI_PS9_EESM_S12_SN_SO_SP_EUlS12_E1_NS1_11comp_targetILNS1_3genE0ELNS1_11target_archE4294967295ELNS1_3gpuE0ELNS1_3repE0EEENS1_36merge_oddeven_config_static_selectorELNS0_4arch9wavefront6targetE0EEEvSO_,@function
_ZN7rocprim17ROCPRIM_400000_NS6detail17trampoline_kernelINS0_14default_configENS1_38merge_sort_block_merge_config_selectorIjN6thrust23THRUST_200600_302600_NS5tupleIffNS6_9null_typeES8_S8_S8_S8_S8_S8_S8_EEEEZZNS1_27merge_sort_block_merge_implIS3_NS6_6detail15normal_iteratorINS6_10device_ptrIjEEEENSD_INSE_IS9_EEEEjNS1_19radix_merge_compareILb0ELb1EjNS0_19identity_decomposerEEEEE10hipError_tT0_T1_T2_jT3_P12ihipStream_tbPNSt15iterator_traitsISN_E10value_typeEPNST_ISO_E10value_typeEPSP_NS1_7vsmem_tEENKUlT_SN_SO_SP_E_clISG_PjSI_PS9_EESM_S12_SN_SO_SP_EUlS12_E1_NS1_11comp_targetILNS1_3genE0ELNS1_11target_archE4294967295ELNS1_3gpuE0ELNS1_3repE0EEENS1_36merge_oddeven_config_static_selectorELNS0_4arch9wavefront6targetE0EEEvSO_: ; @_ZN7rocprim17ROCPRIM_400000_NS6detail17trampoline_kernelINS0_14default_configENS1_38merge_sort_block_merge_config_selectorIjN6thrust23THRUST_200600_302600_NS5tupleIffNS6_9null_typeES8_S8_S8_S8_S8_S8_S8_EEEEZZNS1_27merge_sort_block_merge_implIS3_NS6_6detail15normal_iteratorINS6_10device_ptrIjEEEENSD_INSE_IS9_EEEEjNS1_19radix_merge_compareILb0ELb1EjNS0_19identity_decomposerEEEEE10hipError_tT0_T1_T2_jT3_P12ihipStream_tbPNSt15iterator_traitsISN_E10value_typeEPNST_ISO_E10value_typeEPSP_NS1_7vsmem_tEENKUlT_SN_SO_SP_E_clISG_PjSI_PS9_EESM_S12_SN_SO_SP_EUlS12_E1_NS1_11comp_targetILNS1_3genE0ELNS1_11target_archE4294967295ELNS1_3gpuE0ELNS1_3repE0EEENS1_36merge_oddeven_config_static_selectorELNS0_4arch9wavefront6targetE0EEEvSO_
; %bb.0:
	.section	.rodata,"a",@progbits
	.p2align	6, 0x0
	.amdhsa_kernel _ZN7rocprim17ROCPRIM_400000_NS6detail17trampoline_kernelINS0_14default_configENS1_38merge_sort_block_merge_config_selectorIjN6thrust23THRUST_200600_302600_NS5tupleIffNS6_9null_typeES8_S8_S8_S8_S8_S8_S8_EEEEZZNS1_27merge_sort_block_merge_implIS3_NS6_6detail15normal_iteratorINS6_10device_ptrIjEEEENSD_INSE_IS9_EEEEjNS1_19radix_merge_compareILb0ELb1EjNS0_19identity_decomposerEEEEE10hipError_tT0_T1_T2_jT3_P12ihipStream_tbPNSt15iterator_traitsISN_E10value_typeEPNST_ISO_E10value_typeEPSP_NS1_7vsmem_tEENKUlT_SN_SO_SP_E_clISG_PjSI_PS9_EESM_S12_SN_SO_SP_EUlS12_E1_NS1_11comp_targetILNS1_3genE0ELNS1_11target_archE4294967295ELNS1_3gpuE0ELNS1_3repE0EEENS1_36merge_oddeven_config_static_selectorELNS0_4arch9wavefront6targetE0EEEvSO_
		.amdhsa_group_segment_fixed_size 0
		.amdhsa_private_segment_fixed_size 0
		.amdhsa_kernarg_size 48
		.amdhsa_user_sgpr_count 6
		.amdhsa_user_sgpr_private_segment_buffer 1
		.amdhsa_user_sgpr_dispatch_ptr 0
		.amdhsa_user_sgpr_queue_ptr 0
		.amdhsa_user_sgpr_kernarg_segment_ptr 1
		.amdhsa_user_sgpr_dispatch_id 0
		.amdhsa_user_sgpr_flat_scratch_init 0
		.amdhsa_user_sgpr_private_segment_size 0
		.amdhsa_wavefront_size32 1
		.amdhsa_uses_dynamic_stack 0
		.amdhsa_system_sgpr_private_segment_wavefront_offset 0
		.amdhsa_system_sgpr_workgroup_id_x 1
		.amdhsa_system_sgpr_workgroup_id_y 0
		.amdhsa_system_sgpr_workgroup_id_z 0
		.amdhsa_system_sgpr_workgroup_info 0
		.amdhsa_system_vgpr_workitem_id 0
		.amdhsa_next_free_vgpr 1
		.amdhsa_next_free_sgpr 1
		.amdhsa_reserve_vcc 0
		.amdhsa_reserve_flat_scratch 0
		.amdhsa_float_round_mode_32 0
		.amdhsa_float_round_mode_16_64 0
		.amdhsa_float_denorm_mode_32 3
		.amdhsa_float_denorm_mode_16_64 3
		.amdhsa_dx10_clamp 1
		.amdhsa_ieee_mode 1
		.amdhsa_fp16_overflow 0
		.amdhsa_workgroup_processor_mode 1
		.amdhsa_memory_ordered 1
		.amdhsa_forward_progress 1
		.amdhsa_shared_vgpr_count 0
		.amdhsa_exception_fp_ieee_invalid_op 0
		.amdhsa_exception_fp_denorm_src 0
		.amdhsa_exception_fp_ieee_div_zero 0
		.amdhsa_exception_fp_ieee_overflow 0
		.amdhsa_exception_fp_ieee_underflow 0
		.amdhsa_exception_fp_ieee_inexact 0
		.amdhsa_exception_int_div_zero 0
	.end_amdhsa_kernel
	.section	.text._ZN7rocprim17ROCPRIM_400000_NS6detail17trampoline_kernelINS0_14default_configENS1_38merge_sort_block_merge_config_selectorIjN6thrust23THRUST_200600_302600_NS5tupleIffNS6_9null_typeES8_S8_S8_S8_S8_S8_S8_EEEEZZNS1_27merge_sort_block_merge_implIS3_NS6_6detail15normal_iteratorINS6_10device_ptrIjEEEENSD_INSE_IS9_EEEEjNS1_19radix_merge_compareILb0ELb1EjNS0_19identity_decomposerEEEEE10hipError_tT0_T1_T2_jT3_P12ihipStream_tbPNSt15iterator_traitsISN_E10value_typeEPNST_ISO_E10value_typeEPSP_NS1_7vsmem_tEENKUlT_SN_SO_SP_E_clISG_PjSI_PS9_EESM_S12_SN_SO_SP_EUlS12_E1_NS1_11comp_targetILNS1_3genE0ELNS1_11target_archE4294967295ELNS1_3gpuE0ELNS1_3repE0EEENS1_36merge_oddeven_config_static_selectorELNS0_4arch9wavefront6targetE0EEEvSO_,"axG",@progbits,_ZN7rocprim17ROCPRIM_400000_NS6detail17trampoline_kernelINS0_14default_configENS1_38merge_sort_block_merge_config_selectorIjN6thrust23THRUST_200600_302600_NS5tupleIffNS6_9null_typeES8_S8_S8_S8_S8_S8_S8_EEEEZZNS1_27merge_sort_block_merge_implIS3_NS6_6detail15normal_iteratorINS6_10device_ptrIjEEEENSD_INSE_IS9_EEEEjNS1_19radix_merge_compareILb0ELb1EjNS0_19identity_decomposerEEEEE10hipError_tT0_T1_T2_jT3_P12ihipStream_tbPNSt15iterator_traitsISN_E10value_typeEPNST_ISO_E10value_typeEPSP_NS1_7vsmem_tEENKUlT_SN_SO_SP_E_clISG_PjSI_PS9_EESM_S12_SN_SO_SP_EUlS12_E1_NS1_11comp_targetILNS1_3genE0ELNS1_11target_archE4294967295ELNS1_3gpuE0ELNS1_3repE0EEENS1_36merge_oddeven_config_static_selectorELNS0_4arch9wavefront6targetE0EEEvSO_,comdat
.Lfunc_end131:
	.size	_ZN7rocprim17ROCPRIM_400000_NS6detail17trampoline_kernelINS0_14default_configENS1_38merge_sort_block_merge_config_selectorIjN6thrust23THRUST_200600_302600_NS5tupleIffNS6_9null_typeES8_S8_S8_S8_S8_S8_S8_EEEEZZNS1_27merge_sort_block_merge_implIS3_NS6_6detail15normal_iteratorINS6_10device_ptrIjEEEENSD_INSE_IS9_EEEEjNS1_19radix_merge_compareILb0ELb1EjNS0_19identity_decomposerEEEEE10hipError_tT0_T1_T2_jT3_P12ihipStream_tbPNSt15iterator_traitsISN_E10value_typeEPNST_ISO_E10value_typeEPSP_NS1_7vsmem_tEENKUlT_SN_SO_SP_E_clISG_PjSI_PS9_EESM_S12_SN_SO_SP_EUlS12_E1_NS1_11comp_targetILNS1_3genE0ELNS1_11target_archE4294967295ELNS1_3gpuE0ELNS1_3repE0EEENS1_36merge_oddeven_config_static_selectorELNS0_4arch9wavefront6targetE0EEEvSO_, .Lfunc_end131-_ZN7rocprim17ROCPRIM_400000_NS6detail17trampoline_kernelINS0_14default_configENS1_38merge_sort_block_merge_config_selectorIjN6thrust23THRUST_200600_302600_NS5tupleIffNS6_9null_typeES8_S8_S8_S8_S8_S8_S8_EEEEZZNS1_27merge_sort_block_merge_implIS3_NS6_6detail15normal_iteratorINS6_10device_ptrIjEEEENSD_INSE_IS9_EEEEjNS1_19radix_merge_compareILb0ELb1EjNS0_19identity_decomposerEEEEE10hipError_tT0_T1_T2_jT3_P12ihipStream_tbPNSt15iterator_traitsISN_E10value_typeEPNST_ISO_E10value_typeEPSP_NS1_7vsmem_tEENKUlT_SN_SO_SP_E_clISG_PjSI_PS9_EESM_S12_SN_SO_SP_EUlS12_E1_NS1_11comp_targetILNS1_3genE0ELNS1_11target_archE4294967295ELNS1_3gpuE0ELNS1_3repE0EEENS1_36merge_oddeven_config_static_selectorELNS0_4arch9wavefront6targetE0EEEvSO_
                                        ; -- End function
	.set _ZN7rocprim17ROCPRIM_400000_NS6detail17trampoline_kernelINS0_14default_configENS1_38merge_sort_block_merge_config_selectorIjN6thrust23THRUST_200600_302600_NS5tupleIffNS6_9null_typeES8_S8_S8_S8_S8_S8_S8_EEEEZZNS1_27merge_sort_block_merge_implIS3_NS6_6detail15normal_iteratorINS6_10device_ptrIjEEEENSD_INSE_IS9_EEEEjNS1_19radix_merge_compareILb0ELb1EjNS0_19identity_decomposerEEEEE10hipError_tT0_T1_T2_jT3_P12ihipStream_tbPNSt15iterator_traitsISN_E10value_typeEPNST_ISO_E10value_typeEPSP_NS1_7vsmem_tEENKUlT_SN_SO_SP_E_clISG_PjSI_PS9_EESM_S12_SN_SO_SP_EUlS12_E1_NS1_11comp_targetILNS1_3genE0ELNS1_11target_archE4294967295ELNS1_3gpuE0ELNS1_3repE0EEENS1_36merge_oddeven_config_static_selectorELNS0_4arch9wavefront6targetE0EEEvSO_.num_vgpr, 0
	.set _ZN7rocprim17ROCPRIM_400000_NS6detail17trampoline_kernelINS0_14default_configENS1_38merge_sort_block_merge_config_selectorIjN6thrust23THRUST_200600_302600_NS5tupleIffNS6_9null_typeES8_S8_S8_S8_S8_S8_S8_EEEEZZNS1_27merge_sort_block_merge_implIS3_NS6_6detail15normal_iteratorINS6_10device_ptrIjEEEENSD_INSE_IS9_EEEEjNS1_19radix_merge_compareILb0ELb1EjNS0_19identity_decomposerEEEEE10hipError_tT0_T1_T2_jT3_P12ihipStream_tbPNSt15iterator_traitsISN_E10value_typeEPNST_ISO_E10value_typeEPSP_NS1_7vsmem_tEENKUlT_SN_SO_SP_E_clISG_PjSI_PS9_EESM_S12_SN_SO_SP_EUlS12_E1_NS1_11comp_targetILNS1_3genE0ELNS1_11target_archE4294967295ELNS1_3gpuE0ELNS1_3repE0EEENS1_36merge_oddeven_config_static_selectorELNS0_4arch9wavefront6targetE0EEEvSO_.num_agpr, 0
	.set _ZN7rocprim17ROCPRIM_400000_NS6detail17trampoline_kernelINS0_14default_configENS1_38merge_sort_block_merge_config_selectorIjN6thrust23THRUST_200600_302600_NS5tupleIffNS6_9null_typeES8_S8_S8_S8_S8_S8_S8_EEEEZZNS1_27merge_sort_block_merge_implIS3_NS6_6detail15normal_iteratorINS6_10device_ptrIjEEEENSD_INSE_IS9_EEEEjNS1_19radix_merge_compareILb0ELb1EjNS0_19identity_decomposerEEEEE10hipError_tT0_T1_T2_jT3_P12ihipStream_tbPNSt15iterator_traitsISN_E10value_typeEPNST_ISO_E10value_typeEPSP_NS1_7vsmem_tEENKUlT_SN_SO_SP_E_clISG_PjSI_PS9_EESM_S12_SN_SO_SP_EUlS12_E1_NS1_11comp_targetILNS1_3genE0ELNS1_11target_archE4294967295ELNS1_3gpuE0ELNS1_3repE0EEENS1_36merge_oddeven_config_static_selectorELNS0_4arch9wavefront6targetE0EEEvSO_.numbered_sgpr, 0
	.set _ZN7rocprim17ROCPRIM_400000_NS6detail17trampoline_kernelINS0_14default_configENS1_38merge_sort_block_merge_config_selectorIjN6thrust23THRUST_200600_302600_NS5tupleIffNS6_9null_typeES8_S8_S8_S8_S8_S8_S8_EEEEZZNS1_27merge_sort_block_merge_implIS3_NS6_6detail15normal_iteratorINS6_10device_ptrIjEEEENSD_INSE_IS9_EEEEjNS1_19radix_merge_compareILb0ELb1EjNS0_19identity_decomposerEEEEE10hipError_tT0_T1_T2_jT3_P12ihipStream_tbPNSt15iterator_traitsISN_E10value_typeEPNST_ISO_E10value_typeEPSP_NS1_7vsmem_tEENKUlT_SN_SO_SP_E_clISG_PjSI_PS9_EESM_S12_SN_SO_SP_EUlS12_E1_NS1_11comp_targetILNS1_3genE0ELNS1_11target_archE4294967295ELNS1_3gpuE0ELNS1_3repE0EEENS1_36merge_oddeven_config_static_selectorELNS0_4arch9wavefront6targetE0EEEvSO_.num_named_barrier, 0
	.set _ZN7rocprim17ROCPRIM_400000_NS6detail17trampoline_kernelINS0_14default_configENS1_38merge_sort_block_merge_config_selectorIjN6thrust23THRUST_200600_302600_NS5tupleIffNS6_9null_typeES8_S8_S8_S8_S8_S8_S8_EEEEZZNS1_27merge_sort_block_merge_implIS3_NS6_6detail15normal_iteratorINS6_10device_ptrIjEEEENSD_INSE_IS9_EEEEjNS1_19radix_merge_compareILb0ELb1EjNS0_19identity_decomposerEEEEE10hipError_tT0_T1_T2_jT3_P12ihipStream_tbPNSt15iterator_traitsISN_E10value_typeEPNST_ISO_E10value_typeEPSP_NS1_7vsmem_tEENKUlT_SN_SO_SP_E_clISG_PjSI_PS9_EESM_S12_SN_SO_SP_EUlS12_E1_NS1_11comp_targetILNS1_3genE0ELNS1_11target_archE4294967295ELNS1_3gpuE0ELNS1_3repE0EEENS1_36merge_oddeven_config_static_selectorELNS0_4arch9wavefront6targetE0EEEvSO_.private_seg_size, 0
	.set _ZN7rocprim17ROCPRIM_400000_NS6detail17trampoline_kernelINS0_14default_configENS1_38merge_sort_block_merge_config_selectorIjN6thrust23THRUST_200600_302600_NS5tupleIffNS6_9null_typeES8_S8_S8_S8_S8_S8_S8_EEEEZZNS1_27merge_sort_block_merge_implIS3_NS6_6detail15normal_iteratorINS6_10device_ptrIjEEEENSD_INSE_IS9_EEEEjNS1_19radix_merge_compareILb0ELb1EjNS0_19identity_decomposerEEEEE10hipError_tT0_T1_T2_jT3_P12ihipStream_tbPNSt15iterator_traitsISN_E10value_typeEPNST_ISO_E10value_typeEPSP_NS1_7vsmem_tEENKUlT_SN_SO_SP_E_clISG_PjSI_PS9_EESM_S12_SN_SO_SP_EUlS12_E1_NS1_11comp_targetILNS1_3genE0ELNS1_11target_archE4294967295ELNS1_3gpuE0ELNS1_3repE0EEENS1_36merge_oddeven_config_static_selectorELNS0_4arch9wavefront6targetE0EEEvSO_.uses_vcc, 0
	.set _ZN7rocprim17ROCPRIM_400000_NS6detail17trampoline_kernelINS0_14default_configENS1_38merge_sort_block_merge_config_selectorIjN6thrust23THRUST_200600_302600_NS5tupleIffNS6_9null_typeES8_S8_S8_S8_S8_S8_S8_EEEEZZNS1_27merge_sort_block_merge_implIS3_NS6_6detail15normal_iteratorINS6_10device_ptrIjEEEENSD_INSE_IS9_EEEEjNS1_19radix_merge_compareILb0ELb1EjNS0_19identity_decomposerEEEEE10hipError_tT0_T1_T2_jT3_P12ihipStream_tbPNSt15iterator_traitsISN_E10value_typeEPNST_ISO_E10value_typeEPSP_NS1_7vsmem_tEENKUlT_SN_SO_SP_E_clISG_PjSI_PS9_EESM_S12_SN_SO_SP_EUlS12_E1_NS1_11comp_targetILNS1_3genE0ELNS1_11target_archE4294967295ELNS1_3gpuE0ELNS1_3repE0EEENS1_36merge_oddeven_config_static_selectorELNS0_4arch9wavefront6targetE0EEEvSO_.uses_flat_scratch, 0
	.set _ZN7rocprim17ROCPRIM_400000_NS6detail17trampoline_kernelINS0_14default_configENS1_38merge_sort_block_merge_config_selectorIjN6thrust23THRUST_200600_302600_NS5tupleIffNS6_9null_typeES8_S8_S8_S8_S8_S8_S8_EEEEZZNS1_27merge_sort_block_merge_implIS3_NS6_6detail15normal_iteratorINS6_10device_ptrIjEEEENSD_INSE_IS9_EEEEjNS1_19radix_merge_compareILb0ELb1EjNS0_19identity_decomposerEEEEE10hipError_tT0_T1_T2_jT3_P12ihipStream_tbPNSt15iterator_traitsISN_E10value_typeEPNST_ISO_E10value_typeEPSP_NS1_7vsmem_tEENKUlT_SN_SO_SP_E_clISG_PjSI_PS9_EESM_S12_SN_SO_SP_EUlS12_E1_NS1_11comp_targetILNS1_3genE0ELNS1_11target_archE4294967295ELNS1_3gpuE0ELNS1_3repE0EEENS1_36merge_oddeven_config_static_selectorELNS0_4arch9wavefront6targetE0EEEvSO_.has_dyn_sized_stack, 0
	.set _ZN7rocprim17ROCPRIM_400000_NS6detail17trampoline_kernelINS0_14default_configENS1_38merge_sort_block_merge_config_selectorIjN6thrust23THRUST_200600_302600_NS5tupleIffNS6_9null_typeES8_S8_S8_S8_S8_S8_S8_EEEEZZNS1_27merge_sort_block_merge_implIS3_NS6_6detail15normal_iteratorINS6_10device_ptrIjEEEENSD_INSE_IS9_EEEEjNS1_19radix_merge_compareILb0ELb1EjNS0_19identity_decomposerEEEEE10hipError_tT0_T1_T2_jT3_P12ihipStream_tbPNSt15iterator_traitsISN_E10value_typeEPNST_ISO_E10value_typeEPSP_NS1_7vsmem_tEENKUlT_SN_SO_SP_E_clISG_PjSI_PS9_EESM_S12_SN_SO_SP_EUlS12_E1_NS1_11comp_targetILNS1_3genE0ELNS1_11target_archE4294967295ELNS1_3gpuE0ELNS1_3repE0EEENS1_36merge_oddeven_config_static_selectorELNS0_4arch9wavefront6targetE0EEEvSO_.has_recursion, 0
	.set _ZN7rocprim17ROCPRIM_400000_NS6detail17trampoline_kernelINS0_14default_configENS1_38merge_sort_block_merge_config_selectorIjN6thrust23THRUST_200600_302600_NS5tupleIffNS6_9null_typeES8_S8_S8_S8_S8_S8_S8_EEEEZZNS1_27merge_sort_block_merge_implIS3_NS6_6detail15normal_iteratorINS6_10device_ptrIjEEEENSD_INSE_IS9_EEEEjNS1_19radix_merge_compareILb0ELb1EjNS0_19identity_decomposerEEEEE10hipError_tT0_T1_T2_jT3_P12ihipStream_tbPNSt15iterator_traitsISN_E10value_typeEPNST_ISO_E10value_typeEPSP_NS1_7vsmem_tEENKUlT_SN_SO_SP_E_clISG_PjSI_PS9_EESM_S12_SN_SO_SP_EUlS12_E1_NS1_11comp_targetILNS1_3genE0ELNS1_11target_archE4294967295ELNS1_3gpuE0ELNS1_3repE0EEENS1_36merge_oddeven_config_static_selectorELNS0_4arch9wavefront6targetE0EEEvSO_.has_indirect_call, 0
	.section	.AMDGPU.csdata,"",@progbits
; Kernel info:
; codeLenInByte = 0
; TotalNumSgprs: 0
; NumVgprs: 0
; ScratchSize: 0
; MemoryBound: 0
; FloatMode: 240
; IeeeMode: 1
; LDSByteSize: 0 bytes/workgroup (compile time only)
; SGPRBlocks: 0
; VGPRBlocks: 0
; NumSGPRsForWavesPerEU: 1
; NumVGPRsForWavesPerEU: 1
; Occupancy: 16
; WaveLimiterHint : 0
; COMPUTE_PGM_RSRC2:SCRATCH_EN: 0
; COMPUTE_PGM_RSRC2:USER_SGPR: 6
; COMPUTE_PGM_RSRC2:TRAP_HANDLER: 0
; COMPUTE_PGM_RSRC2:TGID_X_EN: 1
; COMPUTE_PGM_RSRC2:TGID_Y_EN: 0
; COMPUTE_PGM_RSRC2:TGID_Z_EN: 0
; COMPUTE_PGM_RSRC2:TIDIG_COMP_CNT: 0
	.section	.text._ZN7rocprim17ROCPRIM_400000_NS6detail17trampoline_kernelINS0_14default_configENS1_38merge_sort_block_merge_config_selectorIjN6thrust23THRUST_200600_302600_NS5tupleIffNS6_9null_typeES8_S8_S8_S8_S8_S8_S8_EEEEZZNS1_27merge_sort_block_merge_implIS3_NS6_6detail15normal_iteratorINS6_10device_ptrIjEEEENSD_INSE_IS9_EEEEjNS1_19radix_merge_compareILb0ELb1EjNS0_19identity_decomposerEEEEE10hipError_tT0_T1_T2_jT3_P12ihipStream_tbPNSt15iterator_traitsISN_E10value_typeEPNST_ISO_E10value_typeEPSP_NS1_7vsmem_tEENKUlT_SN_SO_SP_E_clISG_PjSI_PS9_EESM_S12_SN_SO_SP_EUlS12_E1_NS1_11comp_targetILNS1_3genE10ELNS1_11target_archE1201ELNS1_3gpuE5ELNS1_3repE0EEENS1_36merge_oddeven_config_static_selectorELNS0_4arch9wavefront6targetE0EEEvSO_,"axG",@progbits,_ZN7rocprim17ROCPRIM_400000_NS6detail17trampoline_kernelINS0_14default_configENS1_38merge_sort_block_merge_config_selectorIjN6thrust23THRUST_200600_302600_NS5tupleIffNS6_9null_typeES8_S8_S8_S8_S8_S8_S8_EEEEZZNS1_27merge_sort_block_merge_implIS3_NS6_6detail15normal_iteratorINS6_10device_ptrIjEEEENSD_INSE_IS9_EEEEjNS1_19radix_merge_compareILb0ELb1EjNS0_19identity_decomposerEEEEE10hipError_tT0_T1_T2_jT3_P12ihipStream_tbPNSt15iterator_traitsISN_E10value_typeEPNST_ISO_E10value_typeEPSP_NS1_7vsmem_tEENKUlT_SN_SO_SP_E_clISG_PjSI_PS9_EESM_S12_SN_SO_SP_EUlS12_E1_NS1_11comp_targetILNS1_3genE10ELNS1_11target_archE1201ELNS1_3gpuE5ELNS1_3repE0EEENS1_36merge_oddeven_config_static_selectorELNS0_4arch9wavefront6targetE0EEEvSO_,comdat
	.protected	_ZN7rocprim17ROCPRIM_400000_NS6detail17trampoline_kernelINS0_14default_configENS1_38merge_sort_block_merge_config_selectorIjN6thrust23THRUST_200600_302600_NS5tupleIffNS6_9null_typeES8_S8_S8_S8_S8_S8_S8_EEEEZZNS1_27merge_sort_block_merge_implIS3_NS6_6detail15normal_iteratorINS6_10device_ptrIjEEEENSD_INSE_IS9_EEEEjNS1_19radix_merge_compareILb0ELb1EjNS0_19identity_decomposerEEEEE10hipError_tT0_T1_T2_jT3_P12ihipStream_tbPNSt15iterator_traitsISN_E10value_typeEPNST_ISO_E10value_typeEPSP_NS1_7vsmem_tEENKUlT_SN_SO_SP_E_clISG_PjSI_PS9_EESM_S12_SN_SO_SP_EUlS12_E1_NS1_11comp_targetILNS1_3genE10ELNS1_11target_archE1201ELNS1_3gpuE5ELNS1_3repE0EEENS1_36merge_oddeven_config_static_selectorELNS0_4arch9wavefront6targetE0EEEvSO_ ; -- Begin function _ZN7rocprim17ROCPRIM_400000_NS6detail17trampoline_kernelINS0_14default_configENS1_38merge_sort_block_merge_config_selectorIjN6thrust23THRUST_200600_302600_NS5tupleIffNS6_9null_typeES8_S8_S8_S8_S8_S8_S8_EEEEZZNS1_27merge_sort_block_merge_implIS3_NS6_6detail15normal_iteratorINS6_10device_ptrIjEEEENSD_INSE_IS9_EEEEjNS1_19radix_merge_compareILb0ELb1EjNS0_19identity_decomposerEEEEE10hipError_tT0_T1_T2_jT3_P12ihipStream_tbPNSt15iterator_traitsISN_E10value_typeEPNST_ISO_E10value_typeEPSP_NS1_7vsmem_tEENKUlT_SN_SO_SP_E_clISG_PjSI_PS9_EESM_S12_SN_SO_SP_EUlS12_E1_NS1_11comp_targetILNS1_3genE10ELNS1_11target_archE1201ELNS1_3gpuE5ELNS1_3repE0EEENS1_36merge_oddeven_config_static_selectorELNS0_4arch9wavefront6targetE0EEEvSO_
	.globl	_ZN7rocprim17ROCPRIM_400000_NS6detail17trampoline_kernelINS0_14default_configENS1_38merge_sort_block_merge_config_selectorIjN6thrust23THRUST_200600_302600_NS5tupleIffNS6_9null_typeES8_S8_S8_S8_S8_S8_S8_EEEEZZNS1_27merge_sort_block_merge_implIS3_NS6_6detail15normal_iteratorINS6_10device_ptrIjEEEENSD_INSE_IS9_EEEEjNS1_19radix_merge_compareILb0ELb1EjNS0_19identity_decomposerEEEEE10hipError_tT0_T1_T2_jT3_P12ihipStream_tbPNSt15iterator_traitsISN_E10value_typeEPNST_ISO_E10value_typeEPSP_NS1_7vsmem_tEENKUlT_SN_SO_SP_E_clISG_PjSI_PS9_EESM_S12_SN_SO_SP_EUlS12_E1_NS1_11comp_targetILNS1_3genE10ELNS1_11target_archE1201ELNS1_3gpuE5ELNS1_3repE0EEENS1_36merge_oddeven_config_static_selectorELNS0_4arch9wavefront6targetE0EEEvSO_
	.p2align	8
	.type	_ZN7rocprim17ROCPRIM_400000_NS6detail17trampoline_kernelINS0_14default_configENS1_38merge_sort_block_merge_config_selectorIjN6thrust23THRUST_200600_302600_NS5tupleIffNS6_9null_typeES8_S8_S8_S8_S8_S8_S8_EEEEZZNS1_27merge_sort_block_merge_implIS3_NS6_6detail15normal_iteratorINS6_10device_ptrIjEEEENSD_INSE_IS9_EEEEjNS1_19radix_merge_compareILb0ELb1EjNS0_19identity_decomposerEEEEE10hipError_tT0_T1_T2_jT3_P12ihipStream_tbPNSt15iterator_traitsISN_E10value_typeEPNST_ISO_E10value_typeEPSP_NS1_7vsmem_tEENKUlT_SN_SO_SP_E_clISG_PjSI_PS9_EESM_S12_SN_SO_SP_EUlS12_E1_NS1_11comp_targetILNS1_3genE10ELNS1_11target_archE1201ELNS1_3gpuE5ELNS1_3repE0EEENS1_36merge_oddeven_config_static_selectorELNS0_4arch9wavefront6targetE0EEEvSO_,@function
_ZN7rocprim17ROCPRIM_400000_NS6detail17trampoline_kernelINS0_14default_configENS1_38merge_sort_block_merge_config_selectorIjN6thrust23THRUST_200600_302600_NS5tupleIffNS6_9null_typeES8_S8_S8_S8_S8_S8_S8_EEEEZZNS1_27merge_sort_block_merge_implIS3_NS6_6detail15normal_iteratorINS6_10device_ptrIjEEEENSD_INSE_IS9_EEEEjNS1_19radix_merge_compareILb0ELb1EjNS0_19identity_decomposerEEEEE10hipError_tT0_T1_T2_jT3_P12ihipStream_tbPNSt15iterator_traitsISN_E10value_typeEPNST_ISO_E10value_typeEPSP_NS1_7vsmem_tEENKUlT_SN_SO_SP_E_clISG_PjSI_PS9_EESM_S12_SN_SO_SP_EUlS12_E1_NS1_11comp_targetILNS1_3genE10ELNS1_11target_archE1201ELNS1_3gpuE5ELNS1_3repE0EEENS1_36merge_oddeven_config_static_selectorELNS0_4arch9wavefront6targetE0EEEvSO_: ; @_ZN7rocprim17ROCPRIM_400000_NS6detail17trampoline_kernelINS0_14default_configENS1_38merge_sort_block_merge_config_selectorIjN6thrust23THRUST_200600_302600_NS5tupleIffNS6_9null_typeES8_S8_S8_S8_S8_S8_S8_EEEEZZNS1_27merge_sort_block_merge_implIS3_NS6_6detail15normal_iteratorINS6_10device_ptrIjEEEENSD_INSE_IS9_EEEEjNS1_19radix_merge_compareILb0ELb1EjNS0_19identity_decomposerEEEEE10hipError_tT0_T1_T2_jT3_P12ihipStream_tbPNSt15iterator_traitsISN_E10value_typeEPNST_ISO_E10value_typeEPSP_NS1_7vsmem_tEENKUlT_SN_SO_SP_E_clISG_PjSI_PS9_EESM_S12_SN_SO_SP_EUlS12_E1_NS1_11comp_targetILNS1_3genE10ELNS1_11target_archE1201ELNS1_3gpuE5ELNS1_3repE0EEENS1_36merge_oddeven_config_static_selectorELNS0_4arch9wavefront6targetE0EEEvSO_
; %bb.0:
	.section	.rodata,"a",@progbits
	.p2align	6, 0x0
	.amdhsa_kernel _ZN7rocprim17ROCPRIM_400000_NS6detail17trampoline_kernelINS0_14default_configENS1_38merge_sort_block_merge_config_selectorIjN6thrust23THRUST_200600_302600_NS5tupleIffNS6_9null_typeES8_S8_S8_S8_S8_S8_S8_EEEEZZNS1_27merge_sort_block_merge_implIS3_NS6_6detail15normal_iteratorINS6_10device_ptrIjEEEENSD_INSE_IS9_EEEEjNS1_19radix_merge_compareILb0ELb1EjNS0_19identity_decomposerEEEEE10hipError_tT0_T1_T2_jT3_P12ihipStream_tbPNSt15iterator_traitsISN_E10value_typeEPNST_ISO_E10value_typeEPSP_NS1_7vsmem_tEENKUlT_SN_SO_SP_E_clISG_PjSI_PS9_EESM_S12_SN_SO_SP_EUlS12_E1_NS1_11comp_targetILNS1_3genE10ELNS1_11target_archE1201ELNS1_3gpuE5ELNS1_3repE0EEENS1_36merge_oddeven_config_static_selectorELNS0_4arch9wavefront6targetE0EEEvSO_
		.amdhsa_group_segment_fixed_size 0
		.amdhsa_private_segment_fixed_size 0
		.amdhsa_kernarg_size 48
		.amdhsa_user_sgpr_count 6
		.amdhsa_user_sgpr_private_segment_buffer 1
		.amdhsa_user_sgpr_dispatch_ptr 0
		.amdhsa_user_sgpr_queue_ptr 0
		.amdhsa_user_sgpr_kernarg_segment_ptr 1
		.amdhsa_user_sgpr_dispatch_id 0
		.amdhsa_user_sgpr_flat_scratch_init 0
		.amdhsa_user_sgpr_private_segment_size 0
		.amdhsa_wavefront_size32 1
		.amdhsa_uses_dynamic_stack 0
		.amdhsa_system_sgpr_private_segment_wavefront_offset 0
		.amdhsa_system_sgpr_workgroup_id_x 1
		.amdhsa_system_sgpr_workgroup_id_y 0
		.amdhsa_system_sgpr_workgroup_id_z 0
		.amdhsa_system_sgpr_workgroup_info 0
		.amdhsa_system_vgpr_workitem_id 0
		.amdhsa_next_free_vgpr 1
		.amdhsa_next_free_sgpr 1
		.amdhsa_reserve_vcc 0
		.amdhsa_reserve_flat_scratch 0
		.amdhsa_float_round_mode_32 0
		.amdhsa_float_round_mode_16_64 0
		.amdhsa_float_denorm_mode_32 3
		.amdhsa_float_denorm_mode_16_64 3
		.amdhsa_dx10_clamp 1
		.amdhsa_ieee_mode 1
		.amdhsa_fp16_overflow 0
		.amdhsa_workgroup_processor_mode 1
		.amdhsa_memory_ordered 1
		.amdhsa_forward_progress 1
		.amdhsa_shared_vgpr_count 0
		.amdhsa_exception_fp_ieee_invalid_op 0
		.amdhsa_exception_fp_denorm_src 0
		.amdhsa_exception_fp_ieee_div_zero 0
		.amdhsa_exception_fp_ieee_overflow 0
		.amdhsa_exception_fp_ieee_underflow 0
		.amdhsa_exception_fp_ieee_inexact 0
		.amdhsa_exception_int_div_zero 0
	.end_amdhsa_kernel
	.section	.text._ZN7rocprim17ROCPRIM_400000_NS6detail17trampoline_kernelINS0_14default_configENS1_38merge_sort_block_merge_config_selectorIjN6thrust23THRUST_200600_302600_NS5tupleIffNS6_9null_typeES8_S8_S8_S8_S8_S8_S8_EEEEZZNS1_27merge_sort_block_merge_implIS3_NS6_6detail15normal_iteratorINS6_10device_ptrIjEEEENSD_INSE_IS9_EEEEjNS1_19radix_merge_compareILb0ELb1EjNS0_19identity_decomposerEEEEE10hipError_tT0_T1_T2_jT3_P12ihipStream_tbPNSt15iterator_traitsISN_E10value_typeEPNST_ISO_E10value_typeEPSP_NS1_7vsmem_tEENKUlT_SN_SO_SP_E_clISG_PjSI_PS9_EESM_S12_SN_SO_SP_EUlS12_E1_NS1_11comp_targetILNS1_3genE10ELNS1_11target_archE1201ELNS1_3gpuE5ELNS1_3repE0EEENS1_36merge_oddeven_config_static_selectorELNS0_4arch9wavefront6targetE0EEEvSO_,"axG",@progbits,_ZN7rocprim17ROCPRIM_400000_NS6detail17trampoline_kernelINS0_14default_configENS1_38merge_sort_block_merge_config_selectorIjN6thrust23THRUST_200600_302600_NS5tupleIffNS6_9null_typeES8_S8_S8_S8_S8_S8_S8_EEEEZZNS1_27merge_sort_block_merge_implIS3_NS6_6detail15normal_iteratorINS6_10device_ptrIjEEEENSD_INSE_IS9_EEEEjNS1_19radix_merge_compareILb0ELb1EjNS0_19identity_decomposerEEEEE10hipError_tT0_T1_T2_jT3_P12ihipStream_tbPNSt15iterator_traitsISN_E10value_typeEPNST_ISO_E10value_typeEPSP_NS1_7vsmem_tEENKUlT_SN_SO_SP_E_clISG_PjSI_PS9_EESM_S12_SN_SO_SP_EUlS12_E1_NS1_11comp_targetILNS1_3genE10ELNS1_11target_archE1201ELNS1_3gpuE5ELNS1_3repE0EEENS1_36merge_oddeven_config_static_selectorELNS0_4arch9wavefront6targetE0EEEvSO_,comdat
.Lfunc_end132:
	.size	_ZN7rocprim17ROCPRIM_400000_NS6detail17trampoline_kernelINS0_14default_configENS1_38merge_sort_block_merge_config_selectorIjN6thrust23THRUST_200600_302600_NS5tupleIffNS6_9null_typeES8_S8_S8_S8_S8_S8_S8_EEEEZZNS1_27merge_sort_block_merge_implIS3_NS6_6detail15normal_iteratorINS6_10device_ptrIjEEEENSD_INSE_IS9_EEEEjNS1_19radix_merge_compareILb0ELb1EjNS0_19identity_decomposerEEEEE10hipError_tT0_T1_T2_jT3_P12ihipStream_tbPNSt15iterator_traitsISN_E10value_typeEPNST_ISO_E10value_typeEPSP_NS1_7vsmem_tEENKUlT_SN_SO_SP_E_clISG_PjSI_PS9_EESM_S12_SN_SO_SP_EUlS12_E1_NS1_11comp_targetILNS1_3genE10ELNS1_11target_archE1201ELNS1_3gpuE5ELNS1_3repE0EEENS1_36merge_oddeven_config_static_selectorELNS0_4arch9wavefront6targetE0EEEvSO_, .Lfunc_end132-_ZN7rocprim17ROCPRIM_400000_NS6detail17trampoline_kernelINS0_14default_configENS1_38merge_sort_block_merge_config_selectorIjN6thrust23THRUST_200600_302600_NS5tupleIffNS6_9null_typeES8_S8_S8_S8_S8_S8_S8_EEEEZZNS1_27merge_sort_block_merge_implIS3_NS6_6detail15normal_iteratorINS6_10device_ptrIjEEEENSD_INSE_IS9_EEEEjNS1_19radix_merge_compareILb0ELb1EjNS0_19identity_decomposerEEEEE10hipError_tT0_T1_T2_jT3_P12ihipStream_tbPNSt15iterator_traitsISN_E10value_typeEPNST_ISO_E10value_typeEPSP_NS1_7vsmem_tEENKUlT_SN_SO_SP_E_clISG_PjSI_PS9_EESM_S12_SN_SO_SP_EUlS12_E1_NS1_11comp_targetILNS1_3genE10ELNS1_11target_archE1201ELNS1_3gpuE5ELNS1_3repE0EEENS1_36merge_oddeven_config_static_selectorELNS0_4arch9wavefront6targetE0EEEvSO_
                                        ; -- End function
	.set _ZN7rocprim17ROCPRIM_400000_NS6detail17trampoline_kernelINS0_14default_configENS1_38merge_sort_block_merge_config_selectorIjN6thrust23THRUST_200600_302600_NS5tupleIffNS6_9null_typeES8_S8_S8_S8_S8_S8_S8_EEEEZZNS1_27merge_sort_block_merge_implIS3_NS6_6detail15normal_iteratorINS6_10device_ptrIjEEEENSD_INSE_IS9_EEEEjNS1_19radix_merge_compareILb0ELb1EjNS0_19identity_decomposerEEEEE10hipError_tT0_T1_T2_jT3_P12ihipStream_tbPNSt15iterator_traitsISN_E10value_typeEPNST_ISO_E10value_typeEPSP_NS1_7vsmem_tEENKUlT_SN_SO_SP_E_clISG_PjSI_PS9_EESM_S12_SN_SO_SP_EUlS12_E1_NS1_11comp_targetILNS1_3genE10ELNS1_11target_archE1201ELNS1_3gpuE5ELNS1_3repE0EEENS1_36merge_oddeven_config_static_selectorELNS0_4arch9wavefront6targetE0EEEvSO_.num_vgpr, 0
	.set _ZN7rocprim17ROCPRIM_400000_NS6detail17trampoline_kernelINS0_14default_configENS1_38merge_sort_block_merge_config_selectorIjN6thrust23THRUST_200600_302600_NS5tupleIffNS6_9null_typeES8_S8_S8_S8_S8_S8_S8_EEEEZZNS1_27merge_sort_block_merge_implIS3_NS6_6detail15normal_iteratorINS6_10device_ptrIjEEEENSD_INSE_IS9_EEEEjNS1_19radix_merge_compareILb0ELb1EjNS0_19identity_decomposerEEEEE10hipError_tT0_T1_T2_jT3_P12ihipStream_tbPNSt15iterator_traitsISN_E10value_typeEPNST_ISO_E10value_typeEPSP_NS1_7vsmem_tEENKUlT_SN_SO_SP_E_clISG_PjSI_PS9_EESM_S12_SN_SO_SP_EUlS12_E1_NS1_11comp_targetILNS1_3genE10ELNS1_11target_archE1201ELNS1_3gpuE5ELNS1_3repE0EEENS1_36merge_oddeven_config_static_selectorELNS0_4arch9wavefront6targetE0EEEvSO_.num_agpr, 0
	.set _ZN7rocprim17ROCPRIM_400000_NS6detail17trampoline_kernelINS0_14default_configENS1_38merge_sort_block_merge_config_selectorIjN6thrust23THRUST_200600_302600_NS5tupleIffNS6_9null_typeES8_S8_S8_S8_S8_S8_S8_EEEEZZNS1_27merge_sort_block_merge_implIS3_NS6_6detail15normal_iteratorINS6_10device_ptrIjEEEENSD_INSE_IS9_EEEEjNS1_19radix_merge_compareILb0ELb1EjNS0_19identity_decomposerEEEEE10hipError_tT0_T1_T2_jT3_P12ihipStream_tbPNSt15iterator_traitsISN_E10value_typeEPNST_ISO_E10value_typeEPSP_NS1_7vsmem_tEENKUlT_SN_SO_SP_E_clISG_PjSI_PS9_EESM_S12_SN_SO_SP_EUlS12_E1_NS1_11comp_targetILNS1_3genE10ELNS1_11target_archE1201ELNS1_3gpuE5ELNS1_3repE0EEENS1_36merge_oddeven_config_static_selectorELNS0_4arch9wavefront6targetE0EEEvSO_.numbered_sgpr, 0
	.set _ZN7rocprim17ROCPRIM_400000_NS6detail17trampoline_kernelINS0_14default_configENS1_38merge_sort_block_merge_config_selectorIjN6thrust23THRUST_200600_302600_NS5tupleIffNS6_9null_typeES8_S8_S8_S8_S8_S8_S8_EEEEZZNS1_27merge_sort_block_merge_implIS3_NS6_6detail15normal_iteratorINS6_10device_ptrIjEEEENSD_INSE_IS9_EEEEjNS1_19radix_merge_compareILb0ELb1EjNS0_19identity_decomposerEEEEE10hipError_tT0_T1_T2_jT3_P12ihipStream_tbPNSt15iterator_traitsISN_E10value_typeEPNST_ISO_E10value_typeEPSP_NS1_7vsmem_tEENKUlT_SN_SO_SP_E_clISG_PjSI_PS9_EESM_S12_SN_SO_SP_EUlS12_E1_NS1_11comp_targetILNS1_3genE10ELNS1_11target_archE1201ELNS1_3gpuE5ELNS1_3repE0EEENS1_36merge_oddeven_config_static_selectorELNS0_4arch9wavefront6targetE0EEEvSO_.num_named_barrier, 0
	.set _ZN7rocprim17ROCPRIM_400000_NS6detail17trampoline_kernelINS0_14default_configENS1_38merge_sort_block_merge_config_selectorIjN6thrust23THRUST_200600_302600_NS5tupleIffNS6_9null_typeES8_S8_S8_S8_S8_S8_S8_EEEEZZNS1_27merge_sort_block_merge_implIS3_NS6_6detail15normal_iteratorINS6_10device_ptrIjEEEENSD_INSE_IS9_EEEEjNS1_19radix_merge_compareILb0ELb1EjNS0_19identity_decomposerEEEEE10hipError_tT0_T1_T2_jT3_P12ihipStream_tbPNSt15iterator_traitsISN_E10value_typeEPNST_ISO_E10value_typeEPSP_NS1_7vsmem_tEENKUlT_SN_SO_SP_E_clISG_PjSI_PS9_EESM_S12_SN_SO_SP_EUlS12_E1_NS1_11comp_targetILNS1_3genE10ELNS1_11target_archE1201ELNS1_3gpuE5ELNS1_3repE0EEENS1_36merge_oddeven_config_static_selectorELNS0_4arch9wavefront6targetE0EEEvSO_.private_seg_size, 0
	.set _ZN7rocprim17ROCPRIM_400000_NS6detail17trampoline_kernelINS0_14default_configENS1_38merge_sort_block_merge_config_selectorIjN6thrust23THRUST_200600_302600_NS5tupleIffNS6_9null_typeES8_S8_S8_S8_S8_S8_S8_EEEEZZNS1_27merge_sort_block_merge_implIS3_NS6_6detail15normal_iteratorINS6_10device_ptrIjEEEENSD_INSE_IS9_EEEEjNS1_19radix_merge_compareILb0ELb1EjNS0_19identity_decomposerEEEEE10hipError_tT0_T1_T2_jT3_P12ihipStream_tbPNSt15iterator_traitsISN_E10value_typeEPNST_ISO_E10value_typeEPSP_NS1_7vsmem_tEENKUlT_SN_SO_SP_E_clISG_PjSI_PS9_EESM_S12_SN_SO_SP_EUlS12_E1_NS1_11comp_targetILNS1_3genE10ELNS1_11target_archE1201ELNS1_3gpuE5ELNS1_3repE0EEENS1_36merge_oddeven_config_static_selectorELNS0_4arch9wavefront6targetE0EEEvSO_.uses_vcc, 0
	.set _ZN7rocprim17ROCPRIM_400000_NS6detail17trampoline_kernelINS0_14default_configENS1_38merge_sort_block_merge_config_selectorIjN6thrust23THRUST_200600_302600_NS5tupleIffNS6_9null_typeES8_S8_S8_S8_S8_S8_S8_EEEEZZNS1_27merge_sort_block_merge_implIS3_NS6_6detail15normal_iteratorINS6_10device_ptrIjEEEENSD_INSE_IS9_EEEEjNS1_19radix_merge_compareILb0ELb1EjNS0_19identity_decomposerEEEEE10hipError_tT0_T1_T2_jT3_P12ihipStream_tbPNSt15iterator_traitsISN_E10value_typeEPNST_ISO_E10value_typeEPSP_NS1_7vsmem_tEENKUlT_SN_SO_SP_E_clISG_PjSI_PS9_EESM_S12_SN_SO_SP_EUlS12_E1_NS1_11comp_targetILNS1_3genE10ELNS1_11target_archE1201ELNS1_3gpuE5ELNS1_3repE0EEENS1_36merge_oddeven_config_static_selectorELNS0_4arch9wavefront6targetE0EEEvSO_.uses_flat_scratch, 0
	.set _ZN7rocprim17ROCPRIM_400000_NS6detail17trampoline_kernelINS0_14default_configENS1_38merge_sort_block_merge_config_selectorIjN6thrust23THRUST_200600_302600_NS5tupleIffNS6_9null_typeES8_S8_S8_S8_S8_S8_S8_EEEEZZNS1_27merge_sort_block_merge_implIS3_NS6_6detail15normal_iteratorINS6_10device_ptrIjEEEENSD_INSE_IS9_EEEEjNS1_19radix_merge_compareILb0ELb1EjNS0_19identity_decomposerEEEEE10hipError_tT0_T1_T2_jT3_P12ihipStream_tbPNSt15iterator_traitsISN_E10value_typeEPNST_ISO_E10value_typeEPSP_NS1_7vsmem_tEENKUlT_SN_SO_SP_E_clISG_PjSI_PS9_EESM_S12_SN_SO_SP_EUlS12_E1_NS1_11comp_targetILNS1_3genE10ELNS1_11target_archE1201ELNS1_3gpuE5ELNS1_3repE0EEENS1_36merge_oddeven_config_static_selectorELNS0_4arch9wavefront6targetE0EEEvSO_.has_dyn_sized_stack, 0
	.set _ZN7rocprim17ROCPRIM_400000_NS6detail17trampoline_kernelINS0_14default_configENS1_38merge_sort_block_merge_config_selectorIjN6thrust23THRUST_200600_302600_NS5tupleIffNS6_9null_typeES8_S8_S8_S8_S8_S8_S8_EEEEZZNS1_27merge_sort_block_merge_implIS3_NS6_6detail15normal_iteratorINS6_10device_ptrIjEEEENSD_INSE_IS9_EEEEjNS1_19radix_merge_compareILb0ELb1EjNS0_19identity_decomposerEEEEE10hipError_tT0_T1_T2_jT3_P12ihipStream_tbPNSt15iterator_traitsISN_E10value_typeEPNST_ISO_E10value_typeEPSP_NS1_7vsmem_tEENKUlT_SN_SO_SP_E_clISG_PjSI_PS9_EESM_S12_SN_SO_SP_EUlS12_E1_NS1_11comp_targetILNS1_3genE10ELNS1_11target_archE1201ELNS1_3gpuE5ELNS1_3repE0EEENS1_36merge_oddeven_config_static_selectorELNS0_4arch9wavefront6targetE0EEEvSO_.has_recursion, 0
	.set _ZN7rocprim17ROCPRIM_400000_NS6detail17trampoline_kernelINS0_14default_configENS1_38merge_sort_block_merge_config_selectorIjN6thrust23THRUST_200600_302600_NS5tupleIffNS6_9null_typeES8_S8_S8_S8_S8_S8_S8_EEEEZZNS1_27merge_sort_block_merge_implIS3_NS6_6detail15normal_iteratorINS6_10device_ptrIjEEEENSD_INSE_IS9_EEEEjNS1_19radix_merge_compareILb0ELb1EjNS0_19identity_decomposerEEEEE10hipError_tT0_T1_T2_jT3_P12ihipStream_tbPNSt15iterator_traitsISN_E10value_typeEPNST_ISO_E10value_typeEPSP_NS1_7vsmem_tEENKUlT_SN_SO_SP_E_clISG_PjSI_PS9_EESM_S12_SN_SO_SP_EUlS12_E1_NS1_11comp_targetILNS1_3genE10ELNS1_11target_archE1201ELNS1_3gpuE5ELNS1_3repE0EEENS1_36merge_oddeven_config_static_selectorELNS0_4arch9wavefront6targetE0EEEvSO_.has_indirect_call, 0
	.section	.AMDGPU.csdata,"",@progbits
; Kernel info:
; codeLenInByte = 0
; TotalNumSgprs: 0
; NumVgprs: 0
; ScratchSize: 0
; MemoryBound: 0
; FloatMode: 240
; IeeeMode: 1
; LDSByteSize: 0 bytes/workgroup (compile time only)
; SGPRBlocks: 0
; VGPRBlocks: 0
; NumSGPRsForWavesPerEU: 1
; NumVGPRsForWavesPerEU: 1
; Occupancy: 16
; WaveLimiterHint : 0
; COMPUTE_PGM_RSRC2:SCRATCH_EN: 0
; COMPUTE_PGM_RSRC2:USER_SGPR: 6
; COMPUTE_PGM_RSRC2:TRAP_HANDLER: 0
; COMPUTE_PGM_RSRC2:TGID_X_EN: 1
; COMPUTE_PGM_RSRC2:TGID_Y_EN: 0
; COMPUTE_PGM_RSRC2:TGID_Z_EN: 0
; COMPUTE_PGM_RSRC2:TIDIG_COMP_CNT: 0
	.section	.text._ZN7rocprim17ROCPRIM_400000_NS6detail17trampoline_kernelINS0_14default_configENS1_38merge_sort_block_merge_config_selectorIjN6thrust23THRUST_200600_302600_NS5tupleIffNS6_9null_typeES8_S8_S8_S8_S8_S8_S8_EEEEZZNS1_27merge_sort_block_merge_implIS3_NS6_6detail15normal_iteratorINS6_10device_ptrIjEEEENSD_INSE_IS9_EEEEjNS1_19radix_merge_compareILb0ELb1EjNS0_19identity_decomposerEEEEE10hipError_tT0_T1_T2_jT3_P12ihipStream_tbPNSt15iterator_traitsISN_E10value_typeEPNST_ISO_E10value_typeEPSP_NS1_7vsmem_tEENKUlT_SN_SO_SP_E_clISG_PjSI_PS9_EESM_S12_SN_SO_SP_EUlS12_E1_NS1_11comp_targetILNS1_3genE5ELNS1_11target_archE942ELNS1_3gpuE9ELNS1_3repE0EEENS1_36merge_oddeven_config_static_selectorELNS0_4arch9wavefront6targetE0EEEvSO_,"axG",@progbits,_ZN7rocprim17ROCPRIM_400000_NS6detail17trampoline_kernelINS0_14default_configENS1_38merge_sort_block_merge_config_selectorIjN6thrust23THRUST_200600_302600_NS5tupleIffNS6_9null_typeES8_S8_S8_S8_S8_S8_S8_EEEEZZNS1_27merge_sort_block_merge_implIS3_NS6_6detail15normal_iteratorINS6_10device_ptrIjEEEENSD_INSE_IS9_EEEEjNS1_19radix_merge_compareILb0ELb1EjNS0_19identity_decomposerEEEEE10hipError_tT0_T1_T2_jT3_P12ihipStream_tbPNSt15iterator_traitsISN_E10value_typeEPNST_ISO_E10value_typeEPSP_NS1_7vsmem_tEENKUlT_SN_SO_SP_E_clISG_PjSI_PS9_EESM_S12_SN_SO_SP_EUlS12_E1_NS1_11comp_targetILNS1_3genE5ELNS1_11target_archE942ELNS1_3gpuE9ELNS1_3repE0EEENS1_36merge_oddeven_config_static_selectorELNS0_4arch9wavefront6targetE0EEEvSO_,comdat
	.protected	_ZN7rocprim17ROCPRIM_400000_NS6detail17trampoline_kernelINS0_14default_configENS1_38merge_sort_block_merge_config_selectorIjN6thrust23THRUST_200600_302600_NS5tupleIffNS6_9null_typeES8_S8_S8_S8_S8_S8_S8_EEEEZZNS1_27merge_sort_block_merge_implIS3_NS6_6detail15normal_iteratorINS6_10device_ptrIjEEEENSD_INSE_IS9_EEEEjNS1_19radix_merge_compareILb0ELb1EjNS0_19identity_decomposerEEEEE10hipError_tT0_T1_T2_jT3_P12ihipStream_tbPNSt15iterator_traitsISN_E10value_typeEPNST_ISO_E10value_typeEPSP_NS1_7vsmem_tEENKUlT_SN_SO_SP_E_clISG_PjSI_PS9_EESM_S12_SN_SO_SP_EUlS12_E1_NS1_11comp_targetILNS1_3genE5ELNS1_11target_archE942ELNS1_3gpuE9ELNS1_3repE0EEENS1_36merge_oddeven_config_static_selectorELNS0_4arch9wavefront6targetE0EEEvSO_ ; -- Begin function _ZN7rocprim17ROCPRIM_400000_NS6detail17trampoline_kernelINS0_14default_configENS1_38merge_sort_block_merge_config_selectorIjN6thrust23THRUST_200600_302600_NS5tupleIffNS6_9null_typeES8_S8_S8_S8_S8_S8_S8_EEEEZZNS1_27merge_sort_block_merge_implIS3_NS6_6detail15normal_iteratorINS6_10device_ptrIjEEEENSD_INSE_IS9_EEEEjNS1_19radix_merge_compareILb0ELb1EjNS0_19identity_decomposerEEEEE10hipError_tT0_T1_T2_jT3_P12ihipStream_tbPNSt15iterator_traitsISN_E10value_typeEPNST_ISO_E10value_typeEPSP_NS1_7vsmem_tEENKUlT_SN_SO_SP_E_clISG_PjSI_PS9_EESM_S12_SN_SO_SP_EUlS12_E1_NS1_11comp_targetILNS1_3genE5ELNS1_11target_archE942ELNS1_3gpuE9ELNS1_3repE0EEENS1_36merge_oddeven_config_static_selectorELNS0_4arch9wavefront6targetE0EEEvSO_
	.globl	_ZN7rocprim17ROCPRIM_400000_NS6detail17trampoline_kernelINS0_14default_configENS1_38merge_sort_block_merge_config_selectorIjN6thrust23THRUST_200600_302600_NS5tupleIffNS6_9null_typeES8_S8_S8_S8_S8_S8_S8_EEEEZZNS1_27merge_sort_block_merge_implIS3_NS6_6detail15normal_iteratorINS6_10device_ptrIjEEEENSD_INSE_IS9_EEEEjNS1_19radix_merge_compareILb0ELb1EjNS0_19identity_decomposerEEEEE10hipError_tT0_T1_T2_jT3_P12ihipStream_tbPNSt15iterator_traitsISN_E10value_typeEPNST_ISO_E10value_typeEPSP_NS1_7vsmem_tEENKUlT_SN_SO_SP_E_clISG_PjSI_PS9_EESM_S12_SN_SO_SP_EUlS12_E1_NS1_11comp_targetILNS1_3genE5ELNS1_11target_archE942ELNS1_3gpuE9ELNS1_3repE0EEENS1_36merge_oddeven_config_static_selectorELNS0_4arch9wavefront6targetE0EEEvSO_
	.p2align	8
	.type	_ZN7rocprim17ROCPRIM_400000_NS6detail17trampoline_kernelINS0_14default_configENS1_38merge_sort_block_merge_config_selectorIjN6thrust23THRUST_200600_302600_NS5tupleIffNS6_9null_typeES8_S8_S8_S8_S8_S8_S8_EEEEZZNS1_27merge_sort_block_merge_implIS3_NS6_6detail15normal_iteratorINS6_10device_ptrIjEEEENSD_INSE_IS9_EEEEjNS1_19radix_merge_compareILb0ELb1EjNS0_19identity_decomposerEEEEE10hipError_tT0_T1_T2_jT3_P12ihipStream_tbPNSt15iterator_traitsISN_E10value_typeEPNST_ISO_E10value_typeEPSP_NS1_7vsmem_tEENKUlT_SN_SO_SP_E_clISG_PjSI_PS9_EESM_S12_SN_SO_SP_EUlS12_E1_NS1_11comp_targetILNS1_3genE5ELNS1_11target_archE942ELNS1_3gpuE9ELNS1_3repE0EEENS1_36merge_oddeven_config_static_selectorELNS0_4arch9wavefront6targetE0EEEvSO_,@function
_ZN7rocprim17ROCPRIM_400000_NS6detail17trampoline_kernelINS0_14default_configENS1_38merge_sort_block_merge_config_selectorIjN6thrust23THRUST_200600_302600_NS5tupleIffNS6_9null_typeES8_S8_S8_S8_S8_S8_S8_EEEEZZNS1_27merge_sort_block_merge_implIS3_NS6_6detail15normal_iteratorINS6_10device_ptrIjEEEENSD_INSE_IS9_EEEEjNS1_19radix_merge_compareILb0ELb1EjNS0_19identity_decomposerEEEEE10hipError_tT0_T1_T2_jT3_P12ihipStream_tbPNSt15iterator_traitsISN_E10value_typeEPNST_ISO_E10value_typeEPSP_NS1_7vsmem_tEENKUlT_SN_SO_SP_E_clISG_PjSI_PS9_EESM_S12_SN_SO_SP_EUlS12_E1_NS1_11comp_targetILNS1_3genE5ELNS1_11target_archE942ELNS1_3gpuE9ELNS1_3repE0EEENS1_36merge_oddeven_config_static_selectorELNS0_4arch9wavefront6targetE0EEEvSO_: ; @_ZN7rocprim17ROCPRIM_400000_NS6detail17trampoline_kernelINS0_14default_configENS1_38merge_sort_block_merge_config_selectorIjN6thrust23THRUST_200600_302600_NS5tupleIffNS6_9null_typeES8_S8_S8_S8_S8_S8_S8_EEEEZZNS1_27merge_sort_block_merge_implIS3_NS6_6detail15normal_iteratorINS6_10device_ptrIjEEEENSD_INSE_IS9_EEEEjNS1_19radix_merge_compareILb0ELb1EjNS0_19identity_decomposerEEEEE10hipError_tT0_T1_T2_jT3_P12ihipStream_tbPNSt15iterator_traitsISN_E10value_typeEPNST_ISO_E10value_typeEPSP_NS1_7vsmem_tEENKUlT_SN_SO_SP_E_clISG_PjSI_PS9_EESM_S12_SN_SO_SP_EUlS12_E1_NS1_11comp_targetILNS1_3genE5ELNS1_11target_archE942ELNS1_3gpuE9ELNS1_3repE0EEENS1_36merge_oddeven_config_static_selectorELNS0_4arch9wavefront6targetE0EEEvSO_
; %bb.0:
	.section	.rodata,"a",@progbits
	.p2align	6, 0x0
	.amdhsa_kernel _ZN7rocprim17ROCPRIM_400000_NS6detail17trampoline_kernelINS0_14default_configENS1_38merge_sort_block_merge_config_selectorIjN6thrust23THRUST_200600_302600_NS5tupleIffNS6_9null_typeES8_S8_S8_S8_S8_S8_S8_EEEEZZNS1_27merge_sort_block_merge_implIS3_NS6_6detail15normal_iteratorINS6_10device_ptrIjEEEENSD_INSE_IS9_EEEEjNS1_19radix_merge_compareILb0ELb1EjNS0_19identity_decomposerEEEEE10hipError_tT0_T1_T2_jT3_P12ihipStream_tbPNSt15iterator_traitsISN_E10value_typeEPNST_ISO_E10value_typeEPSP_NS1_7vsmem_tEENKUlT_SN_SO_SP_E_clISG_PjSI_PS9_EESM_S12_SN_SO_SP_EUlS12_E1_NS1_11comp_targetILNS1_3genE5ELNS1_11target_archE942ELNS1_3gpuE9ELNS1_3repE0EEENS1_36merge_oddeven_config_static_selectorELNS0_4arch9wavefront6targetE0EEEvSO_
		.amdhsa_group_segment_fixed_size 0
		.amdhsa_private_segment_fixed_size 0
		.amdhsa_kernarg_size 48
		.amdhsa_user_sgpr_count 6
		.amdhsa_user_sgpr_private_segment_buffer 1
		.amdhsa_user_sgpr_dispatch_ptr 0
		.amdhsa_user_sgpr_queue_ptr 0
		.amdhsa_user_sgpr_kernarg_segment_ptr 1
		.amdhsa_user_sgpr_dispatch_id 0
		.amdhsa_user_sgpr_flat_scratch_init 0
		.amdhsa_user_sgpr_private_segment_size 0
		.amdhsa_wavefront_size32 1
		.amdhsa_uses_dynamic_stack 0
		.amdhsa_system_sgpr_private_segment_wavefront_offset 0
		.amdhsa_system_sgpr_workgroup_id_x 1
		.amdhsa_system_sgpr_workgroup_id_y 0
		.amdhsa_system_sgpr_workgroup_id_z 0
		.amdhsa_system_sgpr_workgroup_info 0
		.amdhsa_system_vgpr_workitem_id 0
		.amdhsa_next_free_vgpr 1
		.amdhsa_next_free_sgpr 1
		.amdhsa_reserve_vcc 0
		.amdhsa_reserve_flat_scratch 0
		.amdhsa_float_round_mode_32 0
		.amdhsa_float_round_mode_16_64 0
		.amdhsa_float_denorm_mode_32 3
		.amdhsa_float_denorm_mode_16_64 3
		.amdhsa_dx10_clamp 1
		.amdhsa_ieee_mode 1
		.amdhsa_fp16_overflow 0
		.amdhsa_workgroup_processor_mode 1
		.amdhsa_memory_ordered 1
		.amdhsa_forward_progress 1
		.amdhsa_shared_vgpr_count 0
		.amdhsa_exception_fp_ieee_invalid_op 0
		.amdhsa_exception_fp_denorm_src 0
		.amdhsa_exception_fp_ieee_div_zero 0
		.amdhsa_exception_fp_ieee_overflow 0
		.amdhsa_exception_fp_ieee_underflow 0
		.amdhsa_exception_fp_ieee_inexact 0
		.amdhsa_exception_int_div_zero 0
	.end_amdhsa_kernel
	.section	.text._ZN7rocprim17ROCPRIM_400000_NS6detail17trampoline_kernelINS0_14default_configENS1_38merge_sort_block_merge_config_selectorIjN6thrust23THRUST_200600_302600_NS5tupleIffNS6_9null_typeES8_S8_S8_S8_S8_S8_S8_EEEEZZNS1_27merge_sort_block_merge_implIS3_NS6_6detail15normal_iteratorINS6_10device_ptrIjEEEENSD_INSE_IS9_EEEEjNS1_19radix_merge_compareILb0ELb1EjNS0_19identity_decomposerEEEEE10hipError_tT0_T1_T2_jT3_P12ihipStream_tbPNSt15iterator_traitsISN_E10value_typeEPNST_ISO_E10value_typeEPSP_NS1_7vsmem_tEENKUlT_SN_SO_SP_E_clISG_PjSI_PS9_EESM_S12_SN_SO_SP_EUlS12_E1_NS1_11comp_targetILNS1_3genE5ELNS1_11target_archE942ELNS1_3gpuE9ELNS1_3repE0EEENS1_36merge_oddeven_config_static_selectorELNS0_4arch9wavefront6targetE0EEEvSO_,"axG",@progbits,_ZN7rocprim17ROCPRIM_400000_NS6detail17trampoline_kernelINS0_14default_configENS1_38merge_sort_block_merge_config_selectorIjN6thrust23THRUST_200600_302600_NS5tupleIffNS6_9null_typeES8_S8_S8_S8_S8_S8_S8_EEEEZZNS1_27merge_sort_block_merge_implIS3_NS6_6detail15normal_iteratorINS6_10device_ptrIjEEEENSD_INSE_IS9_EEEEjNS1_19radix_merge_compareILb0ELb1EjNS0_19identity_decomposerEEEEE10hipError_tT0_T1_T2_jT3_P12ihipStream_tbPNSt15iterator_traitsISN_E10value_typeEPNST_ISO_E10value_typeEPSP_NS1_7vsmem_tEENKUlT_SN_SO_SP_E_clISG_PjSI_PS9_EESM_S12_SN_SO_SP_EUlS12_E1_NS1_11comp_targetILNS1_3genE5ELNS1_11target_archE942ELNS1_3gpuE9ELNS1_3repE0EEENS1_36merge_oddeven_config_static_selectorELNS0_4arch9wavefront6targetE0EEEvSO_,comdat
.Lfunc_end133:
	.size	_ZN7rocprim17ROCPRIM_400000_NS6detail17trampoline_kernelINS0_14default_configENS1_38merge_sort_block_merge_config_selectorIjN6thrust23THRUST_200600_302600_NS5tupleIffNS6_9null_typeES8_S8_S8_S8_S8_S8_S8_EEEEZZNS1_27merge_sort_block_merge_implIS3_NS6_6detail15normal_iteratorINS6_10device_ptrIjEEEENSD_INSE_IS9_EEEEjNS1_19radix_merge_compareILb0ELb1EjNS0_19identity_decomposerEEEEE10hipError_tT0_T1_T2_jT3_P12ihipStream_tbPNSt15iterator_traitsISN_E10value_typeEPNST_ISO_E10value_typeEPSP_NS1_7vsmem_tEENKUlT_SN_SO_SP_E_clISG_PjSI_PS9_EESM_S12_SN_SO_SP_EUlS12_E1_NS1_11comp_targetILNS1_3genE5ELNS1_11target_archE942ELNS1_3gpuE9ELNS1_3repE0EEENS1_36merge_oddeven_config_static_selectorELNS0_4arch9wavefront6targetE0EEEvSO_, .Lfunc_end133-_ZN7rocprim17ROCPRIM_400000_NS6detail17trampoline_kernelINS0_14default_configENS1_38merge_sort_block_merge_config_selectorIjN6thrust23THRUST_200600_302600_NS5tupleIffNS6_9null_typeES8_S8_S8_S8_S8_S8_S8_EEEEZZNS1_27merge_sort_block_merge_implIS3_NS6_6detail15normal_iteratorINS6_10device_ptrIjEEEENSD_INSE_IS9_EEEEjNS1_19radix_merge_compareILb0ELb1EjNS0_19identity_decomposerEEEEE10hipError_tT0_T1_T2_jT3_P12ihipStream_tbPNSt15iterator_traitsISN_E10value_typeEPNST_ISO_E10value_typeEPSP_NS1_7vsmem_tEENKUlT_SN_SO_SP_E_clISG_PjSI_PS9_EESM_S12_SN_SO_SP_EUlS12_E1_NS1_11comp_targetILNS1_3genE5ELNS1_11target_archE942ELNS1_3gpuE9ELNS1_3repE0EEENS1_36merge_oddeven_config_static_selectorELNS0_4arch9wavefront6targetE0EEEvSO_
                                        ; -- End function
	.set _ZN7rocprim17ROCPRIM_400000_NS6detail17trampoline_kernelINS0_14default_configENS1_38merge_sort_block_merge_config_selectorIjN6thrust23THRUST_200600_302600_NS5tupleIffNS6_9null_typeES8_S8_S8_S8_S8_S8_S8_EEEEZZNS1_27merge_sort_block_merge_implIS3_NS6_6detail15normal_iteratorINS6_10device_ptrIjEEEENSD_INSE_IS9_EEEEjNS1_19radix_merge_compareILb0ELb1EjNS0_19identity_decomposerEEEEE10hipError_tT0_T1_T2_jT3_P12ihipStream_tbPNSt15iterator_traitsISN_E10value_typeEPNST_ISO_E10value_typeEPSP_NS1_7vsmem_tEENKUlT_SN_SO_SP_E_clISG_PjSI_PS9_EESM_S12_SN_SO_SP_EUlS12_E1_NS1_11comp_targetILNS1_3genE5ELNS1_11target_archE942ELNS1_3gpuE9ELNS1_3repE0EEENS1_36merge_oddeven_config_static_selectorELNS0_4arch9wavefront6targetE0EEEvSO_.num_vgpr, 0
	.set _ZN7rocprim17ROCPRIM_400000_NS6detail17trampoline_kernelINS0_14default_configENS1_38merge_sort_block_merge_config_selectorIjN6thrust23THRUST_200600_302600_NS5tupleIffNS6_9null_typeES8_S8_S8_S8_S8_S8_S8_EEEEZZNS1_27merge_sort_block_merge_implIS3_NS6_6detail15normal_iteratorINS6_10device_ptrIjEEEENSD_INSE_IS9_EEEEjNS1_19radix_merge_compareILb0ELb1EjNS0_19identity_decomposerEEEEE10hipError_tT0_T1_T2_jT3_P12ihipStream_tbPNSt15iterator_traitsISN_E10value_typeEPNST_ISO_E10value_typeEPSP_NS1_7vsmem_tEENKUlT_SN_SO_SP_E_clISG_PjSI_PS9_EESM_S12_SN_SO_SP_EUlS12_E1_NS1_11comp_targetILNS1_3genE5ELNS1_11target_archE942ELNS1_3gpuE9ELNS1_3repE0EEENS1_36merge_oddeven_config_static_selectorELNS0_4arch9wavefront6targetE0EEEvSO_.num_agpr, 0
	.set _ZN7rocprim17ROCPRIM_400000_NS6detail17trampoline_kernelINS0_14default_configENS1_38merge_sort_block_merge_config_selectorIjN6thrust23THRUST_200600_302600_NS5tupleIffNS6_9null_typeES8_S8_S8_S8_S8_S8_S8_EEEEZZNS1_27merge_sort_block_merge_implIS3_NS6_6detail15normal_iteratorINS6_10device_ptrIjEEEENSD_INSE_IS9_EEEEjNS1_19radix_merge_compareILb0ELb1EjNS0_19identity_decomposerEEEEE10hipError_tT0_T1_T2_jT3_P12ihipStream_tbPNSt15iterator_traitsISN_E10value_typeEPNST_ISO_E10value_typeEPSP_NS1_7vsmem_tEENKUlT_SN_SO_SP_E_clISG_PjSI_PS9_EESM_S12_SN_SO_SP_EUlS12_E1_NS1_11comp_targetILNS1_3genE5ELNS1_11target_archE942ELNS1_3gpuE9ELNS1_3repE0EEENS1_36merge_oddeven_config_static_selectorELNS0_4arch9wavefront6targetE0EEEvSO_.numbered_sgpr, 0
	.set _ZN7rocprim17ROCPRIM_400000_NS6detail17trampoline_kernelINS0_14default_configENS1_38merge_sort_block_merge_config_selectorIjN6thrust23THRUST_200600_302600_NS5tupleIffNS6_9null_typeES8_S8_S8_S8_S8_S8_S8_EEEEZZNS1_27merge_sort_block_merge_implIS3_NS6_6detail15normal_iteratorINS6_10device_ptrIjEEEENSD_INSE_IS9_EEEEjNS1_19radix_merge_compareILb0ELb1EjNS0_19identity_decomposerEEEEE10hipError_tT0_T1_T2_jT3_P12ihipStream_tbPNSt15iterator_traitsISN_E10value_typeEPNST_ISO_E10value_typeEPSP_NS1_7vsmem_tEENKUlT_SN_SO_SP_E_clISG_PjSI_PS9_EESM_S12_SN_SO_SP_EUlS12_E1_NS1_11comp_targetILNS1_3genE5ELNS1_11target_archE942ELNS1_3gpuE9ELNS1_3repE0EEENS1_36merge_oddeven_config_static_selectorELNS0_4arch9wavefront6targetE0EEEvSO_.num_named_barrier, 0
	.set _ZN7rocprim17ROCPRIM_400000_NS6detail17trampoline_kernelINS0_14default_configENS1_38merge_sort_block_merge_config_selectorIjN6thrust23THRUST_200600_302600_NS5tupleIffNS6_9null_typeES8_S8_S8_S8_S8_S8_S8_EEEEZZNS1_27merge_sort_block_merge_implIS3_NS6_6detail15normal_iteratorINS6_10device_ptrIjEEEENSD_INSE_IS9_EEEEjNS1_19radix_merge_compareILb0ELb1EjNS0_19identity_decomposerEEEEE10hipError_tT0_T1_T2_jT3_P12ihipStream_tbPNSt15iterator_traitsISN_E10value_typeEPNST_ISO_E10value_typeEPSP_NS1_7vsmem_tEENKUlT_SN_SO_SP_E_clISG_PjSI_PS9_EESM_S12_SN_SO_SP_EUlS12_E1_NS1_11comp_targetILNS1_3genE5ELNS1_11target_archE942ELNS1_3gpuE9ELNS1_3repE0EEENS1_36merge_oddeven_config_static_selectorELNS0_4arch9wavefront6targetE0EEEvSO_.private_seg_size, 0
	.set _ZN7rocprim17ROCPRIM_400000_NS6detail17trampoline_kernelINS0_14default_configENS1_38merge_sort_block_merge_config_selectorIjN6thrust23THRUST_200600_302600_NS5tupleIffNS6_9null_typeES8_S8_S8_S8_S8_S8_S8_EEEEZZNS1_27merge_sort_block_merge_implIS3_NS6_6detail15normal_iteratorINS6_10device_ptrIjEEEENSD_INSE_IS9_EEEEjNS1_19radix_merge_compareILb0ELb1EjNS0_19identity_decomposerEEEEE10hipError_tT0_T1_T2_jT3_P12ihipStream_tbPNSt15iterator_traitsISN_E10value_typeEPNST_ISO_E10value_typeEPSP_NS1_7vsmem_tEENKUlT_SN_SO_SP_E_clISG_PjSI_PS9_EESM_S12_SN_SO_SP_EUlS12_E1_NS1_11comp_targetILNS1_3genE5ELNS1_11target_archE942ELNS1_3gpuE9ELNS1_3repE0EEENS1_36merge_oddeven_config_static_selectorELNS0_4arch9wavefront6targetE0EEEvSO_.uses_vcc, 0
	.set _ZN7rocprim17ROCPRIM_400000_NS6detail17trampoline_kernelINS0_14default_configENS1_38merge_sort_block_merge_config_selectorIjN6thrust23THRUST_200600_302600_NS5tupleIffNS6_9null_typeES8_S8_S8_S8_S8_S8_S8_EEEEZZNS1_27merge_sort_block_merge_implIS3_NS6_6detail15normal_iteratorINS6_10device_ptrIjEEEENSD_INSE_IS9_EEEEjNS1_19radix_merge_compareILb0ELb1EjNS0_19identity_decomposerEEEEE10hipError_tT0_T1_T2_jT3_P12ihipStream_tbPNSt15iterator_traitsISN_E10value_typeEPNST_ISO_E10value_typeEPSP_NS1_7vsmem_tEENKUlT_SN_SO_SP_E_clISG_PjSI_PS9_EESM_S12_SN_SO_SP_EUlS12_E1_NS1_11comp_targetILNS1_3genE5ELNS1_11target_archE942ELNS1_3gpuE9ELNS1_3repE0EEENS1_36merge_oddeven_config_static_selectorELNS0_4arch9wavefront6targetE0EEEvSO_.uses_flat_scratch, 0
	.set _ZN7rocprim17ROCPRIM_400000_NS6detail17trampoline_kernelINS0_14default_configENS1_38merge_sort_block_merge_config_selectorIjN6thrust23THRUST_200600_302600_NS5tupleIffNS6_9null_typeES8_S8_S8_S8_S8_S8_S8_EEEEZZNS1_27merge_sort_block_merge_implIS3_NS6_6detail15normal_iteratorINS6_10device_ptrIjEEEENSD_INSE_IS9_EEEEjNS1_19radix_merge_compareILb0ELb1EjNS0_19identity_decomposerEEEEE10hipError_tT0_T1_T2_jT3_P12ihipStream_tbPNSt15iterator_traitsISN_E10value_typeEPNST_ISO_E10value_typeEPSP_NS1_7vsmem_tEENKUlT_SN_SO_SP_E_clISG_PjSI_PS9_EESM_S12_SN_SO_SP_EUlS12_E1_NS1_11comp_targetILNS1_3genE5ELNS1_11target_archE942ELNS1_3gpuE9ELNS1_3repE0EEENS1_36merge_oddeven_config_static_selectorELNS0_4arch9wavefront6targetE0EEEvSO_.has_dyn_sized_stack, 0
	.set _ZN7rocprim17ROCPRIM_400000_NS6detail17trampoline_kernelINS0_14default_configENS1_38merge_sort_block_merge_config_selectorIjN6thrust23THRUST_200600_302600_NS5tupleIffNS6_9null_typeES8_S8_S8_S8_S8_S8_S8_EEEEZZNS1_27merge_sort_block_merge_implIS3_NS6_6detail15normal_iteratorINS6_10device_ptrIjEEEENSD_INSE_IS9_EEEEjNS1_19radix_merge_compareILb0ELb1EjNS0_19identity_decomposerEEEEE10hipError_tT0_T1_T2_jT3_P12ihipStream_tbPNSt15iterator_traitsISN_E10value_typeEPNST_ISO_E10value_typeEPSP_NS1_7vsmem_tEENKUlT_SN_SO_SP_E_clISG_PjSI_PS9_EESM_S12_SN_SO_SP_EUlS12_E1_NS1_11comp_targetILNS1_3genE5ELNS1_11target_archE942ELNS1_3gpuE9ELNS1_3repE0EEENS1_36merge_oddeven_config_static_selectorELNS0_4arch9wavefront6targetE0EEEvSO_.has_recursion, 0
	.set _ZN7rocprim17ROCPRIM_400000_NS6detail17trampoline_kernelINS0_14default_configENS1_38merge_sort_block_merge_config_selectorIjN6thrust23THRUST_200600_302600_NS5tupleIffNS6_9null_typeES8_S8_S8_S8_S8_S8_S8_EEEEZZNS1_27merge_sort_block_merge_implIS3_NS6_6detail15normal_iteratorINS6_10device_ptrIjEEEENSD_INSE_IS9_EEEEjNS1_19radix_merge_compareILb0ELb1EjNS0_19identity_decomposerEEEEE10hipError_tT0_T1_T2_jT3_P12ihipStream_tbPNSt15iterator_traitsISN_E10value_typeEPNST_ISO_E10value_typeEPSP_NS1_7vsmem_tEENKUlT_SN_SO_SP_E_clISG_PjSI_PS9_EESM_S12_SN_SO_SP_EUlS12_E1_NS1_11comp_targetILNS1_3genE5ELNS1_11target_archE942ELNS1_3gpuE9ELNS1_3repE0EEENS1_36merge_oddeven_config_static_selectorELNS0_4arch9wavefront6targetE0EEEvSO_.has_indirect_call, 0
	.section	.AMDGPU.csdata,"",@progbits
; Kernel info:
; codeLenInByte = 0
; TotalNumSgprs: 0
; NumVgprs: 0
; ScratchSize: 0
; MemoryBound: 0
; FloatMode: 240
; IeeeMode: 1
; LDSByteSize: 0 bytes/workgroup (compile time only)
; SGPRBlocks: 0
; VGPRBlocks: 0
; NumSGPRsForWavesPerEU: 1
; NumVGPRsForWavesPerEU: 1
; Occupancy: 16
; WaveLimiterHint : 0
; COMPUTE_PGM_RSRC2:SCRATCH_EN: 0
; COMPUTE_PGM_RSRC2:USER_SGPR: 6
; COMPUTE_PGM_RSRC2:TRAP_HANDLER: 0
; COMPUTE_PGM_RSRC2:TGID_X_EN: 1
; COMPUTE_PGM_RSRC2:TGID_Y_EN: 0
; COMPUTE_PGM_RSRC2:TGID_Z_EN: 0
; COMPUTE_PGM_RSRC2:TIDIG_COMP_CNT: 0
	.section	.text._ZN7rocprim17ROCPRIM_400000_NS6detail17trampoline_kernelINS0_14default_configENS1_38merge_sort_block_merge_config_selectorIjN6thrust23THRUST_200600_302600_NS5tupleIffNS6_9null_typeES8_S8_S8_S8_S8_S8_S8_EEEEZZNS1_27merge_sort_block_merge_implIS3_NS6_6detail15normal_iteratorINS6_10device_ptrIjEEEENSD_INSE_IS9_EEEEjNS1_19radix_merge_compareILb0ELb1EjNS0_19identity_decomposerEEEEE10hipError_tT0_T1_T2_jT3_P12ihipStream_tbPNSt15iterator_traitsISN_E10value_typeEPNST_ISO_E10value_typeEPSP_NS1_7vsmem_tEENKUlT_SN_SO_SP_E_clISG_PjSI_PS9_EESM_S12_SN_SO_SP_EUlS12_E1_NS1_11comp_targetILNS1_3genE4ELNS1_11target_archE910ELNS1_3gpuE8ELNS1_3repE0EEENS1_36merge_oddeven_config_static_selectorELNS0_4arch9wavefront6targetE0EEEvSO_,"axG",@progbits,_ZN7rocprim17ROCPRIM_400000_NS6detail17trampoline_kernelINS0_14default_configENS1_38merge_sort_block_merge_config_selectorIjN6thrust23THRUST_200600_302600_NS5tupleIffNS6_9null_typeES8_S8_S8_S8_S8_S8_S8_EEEEZZNS1_27merge_sort_block_merge_implIS3_NS6_6detail15normal_iteratorINS6_10device_ptrIjEEEENSD_INSE_IS9_EEEEjNS1_19radix_merge_compareILb0ELb1EjNS0_19identity_decomposerEEEEE10hipError_tT0_T1_T2_jT3_P12ihipStream_tbPNSt15iterator_traitsISN_E10value_typeEPNST_ISO_E10value_typeEPSP_NS1_7vsmem_tEENKUlT_SN_SO_SP_E_clISG_PjSI_PS9_EESM_S12_SN_SO_SP_EUlS12_E1_NS1_11comp_targetILNS1_3genE4ELNS1_11target_archE910ELNS1_3gpuE8ELNS1_3repE0EEENS1_36merge_oddeven_config_static_selectorELNS0_4arch9wavefront6targetE0EEEvSO_,comdat
	.protected	_ZN7rocprim17ROCPRIM_400000_NS6detail17trampoline_kernelINS0_14default_configENS1_38merge_sort_block_merge_config_selectorIjN6thrust23THRUST_200600_302600_NS5tupleIffNS6_9null_typeES8_S8_S8_S8_S8_S8_S8_EEEEZZNS1_27merge_sort_block_merge_implIS3_NS6_6detail15normal_iteratorINS6_10device_ptrIjEEEENSD_INSE_IS9_EEEEjNS1_19radix_merge_compareILb0ELb1EjNS0_19identity_decomposerEEEEE10hipError_tT0_T1_T2_jT3_P12ihipStream_tbPNSt15iterator_traitsISN_E10value_typeEPNST_ISO_E10value_typeEPSP_NS1_7vsmem_tEENKUlT_SN_SO_SP_E_clISG_PjSI_PS9_EESM_S12_SN_SO_SP_EUlS12_E1_NS1_11comp_targetILNS1_3genE4ELNS1_11target_archE910ELNS1_3gpuE8ELNS1_3repE0EEENS1_36merge_oddeven_config_static_selectorELNS0_4arch9wavefront6targetE0EEEvSO_ ; -- Begin function _ZN7rocprim17ROCPRIM_400000_NS6detail17trampoline_kernelINS0_14default_configENS1_38merge_sort_block_merge_config_selectorIjN6thrust23THRUST_200600_302600_NS5tupleIffNS6_9null_typeES8_S8_S8_S8_S8_S8_S8_EEEEZZNS1_27merge_sort_block_merge_implIS3_NS6_6detail15normal_iteratorINS6_10device_ptrIjEEEENSD_INSE_IS9_EEEEjNS1_19radix_merge_compareILb0ELb1EjNS0_19identity_decomposerEEEEE10hipError_tT0_T1_T2_jT3_P12ihipStream_tbPNSt15iterator_traitsISN_E10value_typeEPNST_ISO_E10value_typeEPSP_NS1_7vsmem_tEENKUlT_SN_SO_SP_E_clISG_PjSI_PS9_EESM_S12_SN_SO_SP_EUlS12_E1_NS1_11comp_targetILNS1_3genE4ELNS1_11target_archE910ELNS1_3gpuE8ELNS1_3repE0EEENS1_36merge_oddeven_config_static_selectorELNS0_4arch9wavefront6targetE0EEEvSO_
	.globl	_ZN7rocprim17ROCPRIM_400000_NS6detail17trampoline_kernelINS0_14default_configENS1_38merge_sort_block_merge_config_selectorIjN6thrust23THRUST_200600_302600_NS5tupleIffNS6_9null_typeES8_S8_S8_S8_S8_S8_S8_EEEEZZNS1_27merge_sort_block_merge_implIS3_NS6_6detail15normal_iteratorINS6_10device_ptrIjEEEENSD_INSE_IS9_EEEEjNS1_19radix_merge_compareILb0ELb1EjNS0_19identity_decomposerEEEEE10hipError_tT0_T1_T2_jT3_P12ihipStream_tbPNSt15iterator_traitsISN_E10value_typeEPNST_ISO_E10value_typeEPSP_NS1_7vsmem_tEENKUlT_SN_SO_SP_E_clISG_PjSI_PS9_EESM_S12_SN_SO_SP_EUlS12_E1_NS1_11comp_targetILNS1_3genE4ELNS1_11target_archE910ELNS1_3gpuE8ELNS1_3repE0EEENS1_36merge_oddeven_config_static_selectorELNS0_4arch9wavefront6targetE0EEEvSO_
	.p2align	8
	.type	_ZN7rocprim17ROCPRIM_400000_NS6detail17trampoline_kernelINS0_14default_configENS1_38merge_sort_block_merge_config_selectorIjN6thrust23THRUST_200600_302600_NS5tupleIffNS6_9null_typeES8_S8_S8_S8_S8_S8_S8_EEEEZZNS1_27merge_sort_block_merge_implIS3_NS6_6detail15normal_iteratorINS6_10device_ptrIjEEEENSD_INSE_IS9_EEEEjNS1_19radix_merge_compareILb0ELb1EjNS0_19identity_decomposerEEEEE10hipError_tT0_T1_T2_jT3_P12ihipStream_tbPNSt15iterator_traitsISN_E10value_typeEPNST_ISO_E10value_typeEPSP_NS1_7vsmem_tEENKUlT_SN_SO_SP_E_clISG_PjSI_PS9_EESM_S12_SN_SO_SP_EUlS12_E1_NS1_11comp_targetILNS1_3genE4ELNS1_11target_archE910ELNS1_3gpuE8ELNS1_3repE0EEENS1_36merge_oddeven_config_static_selectorELNS0_4arch9wavefront6targetE0EEEvSO_,@function
_ZN7rocprim17ROCPRIM_400000_NS6detail17trampoline_kernelINS0_14default_configENS1_38merge_sort_block_merge_config_selectorIjN6thrust23THRUST_200600_302600_NS5tupleIffNS6_9null_typeES8_S8_S8_S8_S8_S8_S8_EEEEZZNS1_27merge_sort_block_merge_implIS3_NS6_6detail15normal_iteratorINS6_10device_ptrIjEEEENSD_INSE_IS9_EEEEjNS1_19radix_merge_compareILb0ELb1EjNS0_19identity_decomposerEEEEE10hipError_tT0_T1_T2_jT3_P12ihipStream_tbPNSt15iterator_traitsISN_E10value_typeEPNST_ISO_E10value_typeEPSP_NS1_7vsmem_tEENKUlT_SN_SO_SP_E_clISG_PjSI_PS9_EESM_S12_SN_SO_SP_EUlS12_E1_NS1_11comp_targetILNS1_3genE4ELNS1_11target_archE910ELNS1_3gpuE8ELNS1_3repE0EEENS1_36merge_oddeven_config_static_selectorELNS0_4arch9wavefront6targetE0EEEvSO_: ; @_ZN7rocprim17ROCPRIM_400000_NS6detail17trampoline_kernelINS0_14default_configENS1_38merge_sort_block_merge_config_selectorIjN6thrust23THRUST_200600_302600_NS5tupleIffNS6_9null_typeES8_S8_S8_S8_S8_S8_S8_EEEEZZNS1_27merge_sort_block_merge_implIS3_NS6_6detail15normal_iteratorINS6_10device_ptrIjEEEENSD_INSE_IS9_EEEEjNS1_19radix_merge_compareILb0ELb1EjNS0_19identity_decomposerEEEEE10hipError_tT0_T1_T2_jT3_P12ihipStream_tbPNSt15iterator_traitsISN_E10value_typeEPNST_ISO_E10value_typeEPSP_NS1_7vsmem_tEENKUlT_SN_SO_SP_E_clISG_PjSI_PS9_EESM_S12_SN_SO_SP_EUlS12_E1_NS1_11comp_targetILNS1_3genE4ELNS1_11target_archE910ELNS1_3gpuE8ELNS1_3repE0EEENS1_36merge_oddeven_config_static_selectorELNS0_4arch9wavefront6targetE0EEEvSO_
; %bb.0:
	.section	.rodata,"a",@progbits
	.p2align	6, 0x0
	.amdhsa_kernel _ZN7rocprim17ROCPRIM_400000_NS6detail17trampoline_kernelINS0_14default_configENS1_38merge_sort_block_merge_config_selectorIjN6thrust23THRUST_200600_302600_NS5tupleIffNS6_9null_typeES8_S8_S8_S8_S8_S8_S8_EEEEZZNS1_27merge_sort_block_merge_implIS3_NS6_6detail15normal_iteratorINS6_10device_ptrIjEEEENSD_INSE_IS9_EEEEjNS1_19radix_merge_compareILb0ELb1EjNS0_19identity_decomposerEEEEE10hipError_tT0_T1_T2_jT3_P12ihipStream_tbPNSt15iterator_traitsISN_E10value_typeEPNST_ISO_E10value_typeEPSP_NS1_7vsmem_tEENKUlT_SN_SO_SP_E_clISG_PjSI_PS9_EESM_S12_SN_SO_SP_EUlS12_E1_NS1_11comp_targetILNS1_3genE4ELNS1_11target_archE910ELNS1_3gpuE8ELNS1_3repE0EEENS1_36merge_oddeven_config_static_selectorELNS0_4arch9wavefront6targetE0EEEvSO_
		.amdhsa_group_segment_fixed_size 0
		.amdhsa_private_segment_fixed_size 0
		.amdhsa_kernarg_size 48
		.amdhsa_user_sgpr_count 6
		.amdhsa_user_sgpr_private_segment_buffer 1
		.amdhsa_user_sgpr_dispatch_ptr 0
		.amdhsa_user_sgpr_queue_ptr 0
		.amdhsa_user_sgpr_kernarg_segment_ptr 1
		.amdhsa_user_sgpr_dispatch_id 0
		.amdhsa_user_sgpr_flat_scratch_init 0
		.amdhsa_user_sgpr_private_segment_size 0
		.amdhsa_wavefront_size32 1
		.amdhsa_uses_dynamic_stack 0
		.amdhsa_system_sgpr_private_segment_wavefront_offset 0
		.amdhsa_system_sgpr_workgroup_id_x 1
		.amdhsa_system_sgpr_workgroup_id_y 0
		.amdhsa_system_sgpr_workgroup_id_z 0
		.amdhsa_system_sgpr_workgroup_info 0
		.amdhsa_system_vgpr_workitem_id 0
		.amdhsa_next_free_vgpr 1
		.amdhsa_next_free_sgpr 1
		.amdhsa_reserve_vcc 0
		.amdhsa_reserve_flat_scratch 0
		.amdhsa_float_round_mode_32 0
		.amdhsa_float_round_mode_16_64 0
		.amdhsa_float_denorm_mode_32 3
		.amdhsa_float_denorm_mode_16_64 3
		.amdhsa_dx10_clamp 1
		.amdhsa_ieee_mode 1
		.amdhsa_fp16_overflow 0
		.amdhsa_workgroup_processor_mode 1
		.amdhsa_memory_ordered 1
		.amdhsa_forward_progress 1
		.amdhsa_shared_vgpr_count 0
		.amdhsa_exception_fp_ieee_invalid_op 0
		.amdhsa_exception_fp_denorm_src 0
		.amdhsa_exception_fp_ieee_div_zero 0
		.amdhsa_exception_fp_ieee_overflow 0
		.amdhsa_exception_fp_ieee_underflow 0
		.amdhsa_exception_fp_ieee_inexact 0
		.amdhsa_exception_int_div_zero 0
	.end_amdhsa_kernel
	.section	.text._ZN7rocprim17ROCPRIM_400000_NS6detail17trampoline_kernelINS0_14default_configENS1_38merge_sort_block_merge_config_selectorIjN6thrust23THRUST_200600_302600_NS5tupleIffNS6_9null_typeES8_S8_S8_S8_S8_S8_S8_EEEEZZNS1_27merge_sort_block_merge_implIS3_NS6_6detail15normal_iteratorINS6_10device_ptrIjEEEENSD_INSE_IS9_EEEEjNS1_19radix_merge_compareILb0ELb1EjNS0_19identity_decomposerEEEEE10hipError_tT0_T1_T2_jT3_P12ihipStream_tbPNSt15iterator_traitsISN_E10value_typeEPNST_ISO_E10value_typeEPSP_NS1_7vsmem_tEENKUlT_SN_SO_SP_E_clISG_PjSI_PS9_EESM_S12_SN_SO_SP_EUlS12_E1_NS1_11comp_targetILNS1_3genE4ELNS1_11target_archE910ELNS1_3gpuE8ELNS1_3repE0EEENS1_36merge_oddeven_config_static_selectorELNS0_4arch9wavefront6targetE0EEEvSO_,"axG",@progbits,_ZN7rocprim17ROCPRIM_400000_NS6detail17trampoline_kernelINS0_14default_configENS1_38merge_sort_block_merge_config_selectorIjN6thrust23THRUST_200600_302600_NS5tupleIffNS6_9null_typeES8_S8_S8_S8_S8_S8_S8_EEEEZZNS1_27merge_sort_block_merge_implIS3_NS6_6detail15normal_iteratorINS6_10device_ptrIjEEEENSD_INSE_IS9_EEEEjNS1_19radix_merge_compareILb0ELb1EjNS0_19identity_decomposerEEEEE10hipError_tT0_T1_T2_jT3_P12ihipStream_tbPNSt15iterator_traitsISN_E10value_typeEPNST_ISO_E10value_typeEPSP_NS1_7vsmem_tEENKUlT_SN_SO_SP_E_clISG_PjSI_PS9_EESM_S12_SN_SO_SP_EUlS12_E1_NS1_11comp_targetILNS1_3genE4ELNS1_11target_archE910ELNS1_3gpuE8ELNS1_3repE0EEENS1_36merge_oddeven_config_static_selectorELNS0_4arch9wavefront6targetE0EEEvSO_,comdat
.Lfunc_end134:
	.size	_ZN7rocprim17ROCPRIM_400000_NS6detail17trampoline_kernelINS0_14default_configENS1_38merge_sort_block_merge_config_selectorIjN6thrust23THRUST_200600_302600_NS5tupleIffNS6_9null_typeES8_S8_S8_S8_S8_S8_S8_EEEEZZNS1_27merge_sort_block_merge_implIS3_NS6_6detail15normal_iteratorINS6_10device_ptrIjEEEENSD_INSE_IS9_EEEEjNS1_19radix_merge_compareILb0ELb1EjNS0_19identity_decomposerEEEEE10hipError_tT0_T1_T2_jT3_P12ihipStream_tbPNSt15iterator_traitsISN_E10value_typeEPNST_ISO_E10value_typeEPSP_NS1_7vsmem_tEENKUlT_SN_SO_SP_E_clISG_PjSI_PS9_EESM_S12_SN_SO_SP_EUlS12_E1_NS1_11comp_targetILNS1_3genE4ELNS1_11target_archE910ELNS1_3gpuE8ELNS1_3repE0EEENS1_36merge_oddeven_config_static_selectorELNS0_4arch9wavefront6targetE0EEEvSO_, .Lfunc_end134-_ZN7rocprim17ROCPRIM_400000_NS6detail17trampoline_kernelINS0_14default_configENS1_38merge_sort_block_merge_config_selectorIjN6thrust23THRUST_200600_302600_NS5tupleIffNS6_9null_typeES8_S8_S8_S8_S8_S8_S8_EEEEZZNS1_27merge_sort_block_merge_implIS3_NS6_6detail15normal_iteratorINS6_10device_ptrIjEEEENSD_INSE_IS9_EEEEjNS1_19radix_merge_compareILb0ELb1EjNS0_19identity_decomposerEEEEE10hipError_tT0_T1_T2_jT3_P12ihipStream_tbPNSt15iterator_traitsISN_E10value_typeEPNST_ISO_E10value_typeEPSP_NS1_7vsmem_tEENKUlT_SN_SO_SP_E_clISG_PjSI_PS9_EESM_S12_SN_SO_SP_EUlS12_E1_NS1_11comp_targetILNS1_3genE4ELNS1_11target_archE910ELNS1_3gpuE8ELNS1_3repE0EEENS1_36merge_oddeven_config_static_selectorELNS0_4arch9wavefront6targetE0EEEvSO_
                                        ; -- End function
	.set _ZN7rocprim17ROCPRIM_400000_NS6detail17trampoline_kernelINS0_14default_configENS1_38merge_sort_block_merge_config_selectorIjN6thrust23THRUST_200600_302600_NS5tupleIffNS6_9null_typeES8_S8_S8_S8_S8_S8_S8_EEEEZZNS1_27merge_sort_block_merge_implIS3_NS6_6detail15normal_iteratorINS6_10device_ptrIjEEEENSD_INSE_IS9_EEEEjNS1_19radix_merge_compareILb0ELb1EjNS0_19identity_decomposerEEEEE10hipError_tT0_T1_T2_jT3_P12ihipStream_tbPNSt15iterator_traitsISN_E10value_typeEPNST_ISO_E10value_typeEPSP_NS1_7vsmem_tEENKUlT_SN_SO_SP_E_clISG_PjSI_PS9_EESM_S12_SN_SO_SP_EUlS12_E1_NS1_11comp_targetILNS1_3genE4ELNS1_11target_archE910ELNS1_3gpuE8ELNS1_3repE0EEENS1_36merge_oddeven_config_static_selectorELNS0_4arch9wavefront6targetE0EEEvSO_.num_vgpr, 0
	.set _ZN7rocprim17ROCPRIM_400000_NS6detail17trampoline_kernelINS0_14default_configENS1_38merge_sort_block_merge_config_selectorIjN6thrust23THRUST_200600_302600_NS5tupleIffNS6_9null_typeES8_S8_S8_S8_S8_S8_S8_EEEEZZNS1_27merge_sort_block_merge_implIS3_NS6_6detail15normal_iteratorINS6_10device_ptrIjEEEENSD_INSE_IS9_EEEEjNS1_19radix_merge_compareILb0ELb1EjNS0_19identity_decomposerEEEEE10hipError_tT0_T1_T2_jT3_P12ihipStream_tbPNSt15iterator_traitsISN_E10value_typeEPNST_ISO_E10value_typeEPSP_NS1_7vsmem_tEENKUlT_SN_SO_SP_E_clISG_PjSI_PS9_EESM_S12_SN_SO_SP_EUlS12_E1_NS1_11comp_targetILNS1_3genE4ELNS1_11target_archE910ELNS1_3gpuE8ELNS1_3repE0EEENS1_36merge_oddeven_config_static_selectorELNS0_4arch9wavefront6targetE0EEEvSO_.num_agpr, 0
	.set _ZN7rocprim17ROCPRIM_400000_NS6detail17trampoline_kernelINS0_14default_configENS1_38merge_sort_block_merge_config_selectorIjN6thrust23THRUST_200600_302600_NS5tupleIffNS6_9null_typeES8_S8_S8_S8_S8_S8_S8_EEEEZZNS1_27merge_sort_block_merge_implIS3_NS6_6detail15normal_iteratorINS6_10device_ptrIjEEEENSD_INSE_IS9_EEEEjNS1_19radix_merge_compareILb0ELb1EjNS0_19identity_decomposerEEEEE10hipError_tT0_T1_T2_jT3_P12ihipStream_tbPNSt15iterator_traitsISN_E10value_typeEPNST_ISO_E10value_typeEPSP_NS1_7vsmem_tEENKUlT_SN_SO_SP_E_clISG_PjSI_PS9_EESM_S12_SN_SO_SP_EUlS12_E1_NS1_11comp_targetILNS1_3genE4ELNS1_11target_archE910ELNS1_3gpuE8ELNS1_3repE0EEENS1_36merge_oddeven_config_static_selectorELNS0_4arch9wavefront6targetE0EEEvSO_.numbered_sgpr, 0
	.set _ZN7rocprim17ROCPRIM_400000_NS6detail17trampoline_kernelINS0_14default_configENS1_38merge_sort_block_merge_config_selectorIjN6thrust23THRUST_200600_302600_NS5tupleIffNS6_9null_typeES8_S8_S8_S8_S8_S8_S8_EEEEZZNS1_27merge_sort_block_merge_implIS3_NS6_6detail15normal_iteratorINS6_10device_ptrIjEEEENSD_INSE_IS9_EEEEjNS1_19radix_merge_compareILb0ELb1EjNS0_19identity_decomposerEEEEE10hipError_tT0_T1_T2_jT3_P12ihipStream_tbPNSt15iterator_traitsISN_E10value_typeEPNST_ISO_E10value_typeEPSP_NS1_7vsmem_tEENKUlT_SN_SO_SP_E_clISG_PjSI_PS9_EESM_S12_SN_SO_SP_EUlS12_E1_NS1_11comp_targetILNS1_3genE4ELNS1_11target_archE910ELNS1_3gpuE8ELNS1_3repE0EEENS1_36merge_oddeven_config_static_selectorELNS0_4arch9wavefront6targetE0EEEvSO_.num_named_barrier, 0
	.set _ZN7rocprim17ROCPRIM_400000_NS6detail17trampoline_kernelINS0_14default_configENS1_38merge_sort_block_merge_config_selectorIjN6thrust23THRUST_200600_302600_NS5tupleIffNS6_9null_typeES8_S8_S8_S8_S8_S8_S8_EEEEZZNS1_27merge_sort_block_merge_implIS3_NS6_6detail15normal_iteratorINS6_10device_ptrIjEEEENSD_INSE_IS9_EEEEjNS1_19radix_merge_compareILb0ELb1EjNS0_19identity_decomposerEEEEE10hipError_tT0_T1_T2_jT3_P12ihipStream_tbPNSt15iterator_traitsISN_E10value_typeEPNST_ISO_E10value_typeEPSP_NS1_7vsmem_tEENKUlT_SN_SO_SP_E_clISG_PjSI_PS9_EESM_S12_SN_SO_SP_EUlS12_E1_NS1_11comp_targetILNS1_3genE4ELNS1_11target_archE910ELNS1_3gpuE8ELNS1_3repE0EEENS1_36merge_oddeven_config_static_selectorELNS0_4arch9wavefront6targetE0EEEvSO_.private_seg_size, 0
	.set _ZN7rocprim17ROCPRIM_400000_NS6detail17trampoline_kernelINS0_14default_configENS1_38merge_sort_block_merge_config_selectorIjN6thrust23THRUST_200600_302600_NS5tupleIffNS6_9null_typeES8_S8_S8_S8_S8_S8_S8_EEEEZZNS1_27merge_sort_block_merge_implIS3_NS6_6detail15normal_iteratorINS6_10device_ptrIjEEEENSD_INSE_IS9_EEEEjNS1_19radix_merge_compareILb0ELb1EjNS0_19identity_decomposerEEEEE10hipError_tT0_T1_T2_jT3_P12ihipStream_tbPNSt15iterator_traitsISN_E10value_typeEPNST_ISO_E10value_typeEPSP_NS1_7vsmem_tEENKUlT_SN_SO_SP_E_clISG_PjSI_PS9_EESM_S12_SN_SO_SP_EUlS12_E1_NS1_11comp_targetILNS1_3genE4ELNS1_11target_archE910ELNS1_3gpuE8ELNS1_3repE0EEENS1_36merge_oddeven_config_static_selectorELNS0_4arch9wavefront6targetE0EEEvSO_.uses_vcc, 0
	.set _ZN7rocprim17ROCPRIM_400000_NS6detail17trampoline_kernelINS0_14default_configENS1_38merge_sort_block_merge_config_selectorIjN6thrust23THRUST_200600_302600_NS5tupleIffNS6_9null_typeES8_S8_S8_S8_S8_S8_S8_EEEEZZNS1_27merge_sort_block_merge_implIS3_NS6_6detail15normal_iteratorINS6_10device_ptrIjEEEENSD_INSE_IS9_EEEEjNS1_19radix_merge_compareILb0ELb1EjNS0_19identity_decomposerEEEEE10hipError_tT0_T1_T2_jT3_P12ihipStream_tbPNSt15iterator_traitsISN_E10value_typeEPNST_ISO_E10value_typeEPSP_NS1_7vsmem_tEENKUlT_SN_SO_SP_E_clISG_PjSI_PS9_EESM_S12_SN_SO_SP_EUlS12_E1_NS1_11comp_targetILNS1_3genE4ELNS1_11target_archE910ELNS1_3gpuE8ELNS1_3repE0EEENS1_36merge_oddeven_config_static_selectorELNS0_4arch9wavefront6targetE0EEEvSO_.uses_flat_scratch, 0
	.set _ZN7rocprim17ROCPRIM_400000_NS6detail17trampoline_kernelINS0_14default_configENS1_38merge_sort_block_merge_config_selectorIjN6thrust23THRUST_200600_302600_NS5tupleIffNS6_9null_typeES8_S8_S8_S8_S8_S8_S8_EEEEZZNS1_27merge_sort_block_merge_implIS3_NS6_6detail15normal_iteratorINS6_10device_ptrIjEEEENSD_INSE_IS9_EEEEjNS1_19radix_merge_compareILb0ELb1EjNS0_19identity_decomposerEEEEE10hipError_tT0_T1_T2_jT3_P12ihipStream_tbPNSt15iterator_traitsISN_E10value_typeEPNST_ISO_E10value_typeEPSP_NS1_7vsmem_tEENKUlT_SN_SO_SP_E_clISG_PjSI_PS9_EESM_S12_SN_SO_SP_EUlS12_E1_NS1_11comp_targetILNS1_3genE4ELNS1_11target_archE910ELNS1_3gpuE8ELNS1_3repE0EEENS1_36merge_oddeven_config_static_selectorELNS0_4arch9wavefront6targetE0EEEvSO_.has_dyn_sized_stack, 0
	.set _ZN7rocprim17ROCPRIM_400000_NS6detail17trampoline_kernelINS0_14default_configENS1_38merge_sort_block_merge_config_selectorIjN6thrust23THRUST_200600_302600_NS5tupleIffNS6_9null_typeES8_S8_S8_S8_S8_S8_S8_EEEEZZNS1_27merge_sort_block_merge_implIS3_NS6_6detail15normal_iteratorINS6_10device_ptrIjEEEENSD_INSE_IS9_EEEEjNS1_19radix_merge_compareILb0ELb1EjNS0_19identity_decomposerEEEEE10hipError_tT0_T1_T2_jT3_P12ihipStream_tbPNSt15iterator_traitsISN_E10value_typeEPNST_ISO_E10value_typeEPSP_NS1_7vsmem_tEENKUlT_SN_SO_SP_E_clISG_PjSI_PS9_EESM_S12_SN_SO_SP_EUlS12_E1_NS1_11comp_targetILNS1_3genE4ELNS1_11target_archE910ELNS1_3gpuE8ELNS1_3repE0EEENS1_36merge_oddeven_config_static_selectorELNS0_4arch9wavefront6targetE0EEEvSO_.has_recursion, 0
	.set _ZN7rocprim17ROCPRIM_400000_NS6detail17trampoline_kernelINS0_14default_configENS1_38merge_sort_block_merge_config_selectorIjN6thrust23THRUST_200600_302600_NS5tupleIffNS6_9null_typeES8_S8_S8_S8_S8_S8_S8_EEEEZZNS1_27merge_sort_block_merge_implIS3_NS6_6detail15normal_iteratorINS6_10device_ptrIjEEEENSD_INSE_IS9_EEEEjNS1_19radix_merge_compareILb0ELb1EjNS0_19identity_decomposerEEEEE10hipError_tT0_T1_T2_jT3_P12ihipStream_tbPNSt15iterator_traitsISN_E10value_typeEPNST_ISO_E10value_typeEPSP_NS1_7vsmem_tEENKUlT_SN_SO_SP_E_clISG_PjSI_PS9_EESM_S12_SN_SO_SP_EUlS12_E1_NS1_11comp_targetILNS1_3genE4ELNS1_11target_archE910ELNS1_3gpuE8ELNS1_3repE0EEENS1_36merge_oddeven_config_static_selectorELNS0_4arch9wavefront6targetE0EEEvSO_.has_indirect_call, 0
	.section	.AMDGPU.csdata,"",@progbits
; Kernel info:
; codeLenInByte = 0
; TotalNumSgprs: 0
; NumVgprs: 0
; ScratchSize: 0
; MemoryBound: 0
; FloatMode: 240
; IeeeMode: 1
; LDSByteSize: 0 bytes/workgroup (compile time only)
; SGPRBlocks: 0
; VGPRBlocks: 0
; NumSGPRsForWavesPerEU: 1
; NumVGPRsForWavesPerEU: 1
; Occupancy: 16
; WaveLimiterHint : 0
; COMPUTE_PGM_RSRC2:SCRATCH_EN: 0
; COMPUTE_PGM_RSRC2:USER_SGPR: 6
; COMPUTE_PGM_RSRC2:TRAP_HANDLER: 0
; COMPUTE_PGM_RSRC2:TGID_X_EN: 1
; COMPUTE_PGM_RSRC2:TGID_Y_EN: 0
; COMPUTE_PGM_RSRC2:TGID_Z_EN: 0
; COMPUTE_PGM_RSRC2:TIDIG_COMP_CNT: 0
	.section	.text._ZN7rocprim17ROCPRIM_400000_NS6detail17trampoline_kernelINS0_14default_configENS1_38merge_sort_block_merge_config_selectorIjN6thrust23THRUST_200600_302600_NS5tupleIffNS6_9null_typeES8_S8_S8_S8_S8_S8_S8_EEEEZZNS1_27merge_sort_block_merge_implIS3_NS6_6detail15normal_iteratorINS6_10device_ptrIjEEEENSD_INSE_IS9_EEEEjNS1_19radix_merge_compareILb0ELb1EjNS0_19identity_decomposerEEEEE10hipError_tT0_T1_T2_jT3_P12ihipStream_tbPNSt15iterator_traitsISN_E10value_typeEPNST_ISO_E10value_typeEPSP_NS1_7vsmem_tEENKUlT_SN_SO_SP_E_clISG_PjSI_PS9_EESM_S12_SN_SO_SP_EUlS12_E1_NS1_11comp_targetILNS1_3genE3ELNS1_11target_archE908ELNS1_3gpuE7ELNS1_3repE0EEENS1_36merge_oddeven_config_static_selectorELNS0_4arch9wavefront6targetE0EEEvSO_,"axG",@progbits,_ZN7rocprim17ROCPRIM_400000_NS6detail17trampoline_kernelINS0_14default_configENS1_38merge_sort_block_merge_config_selectorIjN6thrust23THRUST_200600_302600_NS5tupleIffNS6_9null_typeES8_S8_S8_S8_S8_S8_S8_EEEEZZNS1_27merge_sort_block_merge_implIS3_NS6_6detail15normal_iteratorINS6_10device_ptrIjEEEENSD_INSE_IS9_EEEEjNS1_19radix_merge_compareILb0ELb1EjNS0_19identity_decomposerEEEEE10hipError_tT0_T1_T2_jT3_P12ihipStream_tbPNSt15iterator_traitsISN_E10value_typeEPNST_ISO_E10value_typeEPSP_NS1_7vsmem_tEENKUlT_SN_SO_SP_E_clISG_PjSI_PS9_EESM_S12_SN_SO_SP_EUlS12_E1_NS1_11comp_targetILNS1_3genE3ELNS1_11target_archE908ELNS1_3gpuE7ELNS1_3repE0EEENS1_36merge_oddeven_config_static_selectorELNS0_4arch9wavefront6targetE0EEEvSO_,comdat
	.protected	_ZN7rocprim17ROCPRIM_400000_NS6detail17trampoline_kernelINS0_14default_configENS1_38merge_sort_block_merge_config_selectorIjN6thrust23THRUST_200600_302600_NS5tupleIffNS6_9null_typeES8_S8_S8_S8_S8_S8_S8_EEEEZZNS1_27merge_sort_block_merge_implIS3_NS6_6detail15normal_iteratorINS6_10device_ptrIjEEEENSD_INSE_IS9_EEEEjNS1_19radix_merge_compareILb0ELb1EjNS0_19identity_decomposerEEEEE10hipError_tT0_T1_T2_jT3_P12ihipStream_tbPNSt15iterator_traitsISN_E10value_typeEPNST_ISO_E10value_typeEPSP_NS1_7vsmem_tEENKUlT_SN_SO_SP_E_clISG_PjSI_PS9_EESM_S12_SN_SO_SP_EUlS12_E1_NS1_11comp_targetILNS1_3genE3ELNS1_11target_archE908ELNS1_3gpuE7ELNS1_3repE0EEENS1_36merge_oddeven_config_static_selectorELNS0_4arch9wavefront6targetE0EEEvSO_ ; -- Begin function _ZN7rocprim17ROCPRIM_400000_NS6detail17trampoline_kernelINS0_14default_configENS1_38merge_sort_block_merge_config_selectorIjN6thrust23THRUST_200600_302600_NS5tupleIffNS6_9null_typeES8_S8_S8_S8_S8_S8_S8_EEEEZZNS1_27merge_sort_block_merge_implIS3_NS6_6detail15normal_iteratorINS6_10device_ptrIjEEEENSD_INSE_IS9_EEEEjNS1_19radix_merge_compareILb0ELb1EjNS0_19identity_decomposerEEEEE10hipError_tT0_T1_T2_jT3_P12ihipStream_tbPNSt15iterator_traitsISN_E10value_typeEPNST_ISO_E10value_typeEPSP_NS1_7vsmem_tEENKUlT_SN_SO_SP_E_clISG_PjSI_PS9_EESM_S12_SN_SO_SP_EUlS12_E1_NS1_11comp_targetILNS1_3genE3ELNS1_11target_archE908ELNS1_3gpuE7ELNS1_3repE0EEENS1_36merge_oddeven_config_static_selectorELNS0_4arch9wavefront6targetE0EEEvSO_
	.globl	_ZN7rocprim17ROCPRIM_400000_NS6detail17trampoline_kernelINS0_14default_configENS1_38merge_sort_block_merge_config_selectorIjN6thrust23THRUST_200600_302600_NS5tupleIffNS6_9null_typeES8_S8_S8_S8_S8_S8_S8_EEEEZZNS1_27merge_sort_block_merge_implIS3_NS6_6detail15normal_iteratorINS6_10device_ptrIjEEEENSD_INSE_IS9_EEEEjNS1_19radix_merge_compareILb0ELb1EjNS0_19identity_decomposerEEEEE10hipError_tT0_T1_T2_jT3_P12ihipStream_tbPNSt15iterator_traitsISN_E10value_typeEPNST_ISO_E10value_typeEPSP_NS1_7vsmem_tEENKUlT_SN_SO_SP_E_clISG_PjSI_PS9_EESM_S12_SN_SO_SP_EUlS12_E1_NS1_11comp_targetILNS1_3genE3ELNS1_11target_archE908ELNS1_3gpuE7ELNS1_3repE0EEENS1_36merge_oddeven_config_static_selectorELNS0_4arch9wavefront6targetE0EEEvSO_
	.p2align	8
	.type	_ZN7rocprim17ROCPRIM_400000_NS6detail17trampoline_kernelINS0_14default_configENS1_38merge_sort_block_merge_config_selectorIjN6thrust23THRUST_200600_302600_NS5tupleIffNS6_9null_typeES8_S8_S8_S8_S8_S8_S8_EEEEZZNS1_27merge_sort_block_merge_implIS3_NS6_6detail15normal_iteratorINS6_10device_ptrIjEEEENSD_INSE_IS9_EEEEjNS1_19radix_merge_compareILb0ELb1EjNS0_19identity_decomposerEEEEE10hipError_tT0_T1_T2_jT3_P12ihipStream_tbPNSt15iterator_traitsISN_E10value_typeEPNST_ISO_E10value_typeEPSP_NS1_7vsmem_tEENKUlT_SN_SO_SP_E_clISG_PjSI_PS9_EESM_S12_SN_SO_SP_EUlS12_E1_NS1_11comp_targetILNS1_3genE3ELNS1_11target_archE908ELNS1_3gpuE7ELNS1_3repE0EEENS1_36merge_oddeven_config_static_selectorELNS0_4arch9wavefront6targetE0EEEvSO_,@function
_ZN7rocprim17ROCPRIM_400000_NS6detail17trampoline_kernelINS0_14default_configENS1_38merge_sort_block_merge_config_selectorIjN6thrust23THRUST_200600_302600_NS5tupleIffNS6_9null_typeES8_S8_S8_S8_S8_S8_S8_EEEEZZNS1_27merge_sort_block_merge_implIS3_NS6_6detail15normal_iteratorINS6_10device_ptrIjEEEENSD_INSE_IS9_EEEEjNS1_19radix_merge_compareILb0ELb1EjNS0_19identity_decomposerEEEEE10hipError_tT0_T1_T2_jT3_P12ihipStream_tbPNSt15iterator_traitsISN_E10value_typeEPNST_ISO_E10value_typeEPSP_NS1_7vsmem_tEENKUlT_SN_SO_SP_E_clISG_PjSI_PS9_EESM_S12_SN_SO_SP_EUlS12_E1_NS1_11comp_targetILNS1_3genE3ELNS1_11target_archE908ELNS1_3gpuE7ELNS1_3repE0EEENS1_36merge_oddeven_config_static_selectorELNS0_4arch9wavefront6targetE0EEEvSO_: ; @_ZN7rocprim17ROCPRIM_400000_NS6detail17trampoline_kernelINS0_14default_configENS1_38merge_sort_block_merge_config_selectorIjN6thrust23THRUST_200600_302600_NS5tupleIffNS6_9null_typeES8_S8_S8_S8_S8_S8_S8_EEEEZZNS1_27merge_sort_block_merge_implIS3_NS6_6detail15normal_iteratorINS6_10device_ptrIjEEEENSD_INSE_IS9_EEEEjNS1_19radix_merge_compareILb0ELb1EjNS0_19identity_decomposerEEEEE10hipError_tT0_T1_T2_jT3_P12ihipStream_tbPNSt15iterator_traitsISN_E10value_typeEPNST_ISO_E10value_typeEPSP_NS1_7vsmem_tEENKUlT_SN_SO_SP_E_clISG_PjSI_PS9_EESM_S12_SN_SO_SP_EUlS12_E1_NS1_11comp_targetILNS1_3genE3ELNS1_11target_archE908ELNS1_3gpuE7ELNS1_3repE0EEENS1_36merge_oddeven_config_static_selectorELNS0_4arch9wavefront6targetE0EEEvSO_
; %bb.0:
	.section	.rodata,"a",@progbits
	.p2align	6, 0x0
	.amdhsa_kernel _ZN7rocprim17ROCPRIM_400000_NS6detail17trampoline_kernelINS0_14default_configENS1_38merge_sort_block_merge_config_selectorIjN6thrust23THRUST_200600_302600_NS5tupleIffNS6_9null_typeES8_S8_S8_S8_S8_S8_S8_EEEEZZNS1_27merge_sort_block_merge_implIS3_NS6_6detail15normal_iteratorINS6_10device_ptrIjEEEENSD_INSE_IS9_EEEEjNS1_19radix_merge_compareILb0ELb1EjNS0_19identity_decomposerEEEEE10hipError_tT0_T1_T2_jT3_P12ihipStream_tbPNSt15iterator_traitsISN_E10value_typeEPNST_ISO_E10value_typeEPSP_NS1_7vsmem_tEENKUlT_SN_SO_SP_E_clISG_PjSI_PS9_EESM_S12_SN_SO_SP_EUlS12_E1_NS1_11comp_targetILNS1_3genE3ELNS1_11target_archE908ELNS1_3gpuE7ELNS1_3repE0EEENS1_36merge_oddeven_config_static_selectorELNS0_4arch9wavefront6targetE0EEEvSO_
		.amdhsa_group_segment_fixed_size 0
		.amdhsa_private_segment_fixed_size 0
		.amdhsa_kernarg_size 48
		.amdhsa_user_sgpr_count 6
		.amdhsa_user_sgpr_private_segment_buffer 1
		.amdhsa_user_sgpr_dispatch_ptr 0
		.amdhsa_user_sgpr_queue_ptr 0
		.amdhsa_user_sgpr_kernarg_segment_ptr 1
		.amdhsa_user_sgpr_dispatch_id 0
		.amdhsa_user_sgpr_flat_scratch_init 0
		.amdhsa_user_sgpr_private_segment_size 0
		.amdhsa_wavefront_size32 1
		.amdhsa_uses_dynamic_stack 0
		.amdhsa_system_sgpr_private_segment_wavefront_offset 0
		.amdhsa_system_sgpr_workgroup_id_x 1
		.amdhsa_system_sgpr_workgroup_id_y 0
		.amdhsa_system_sgpr_workgroup_id_z 0
		.amdhsa_system_sgpr_workgroup_info 0
		.amdhsa_system_vgpr_workitem_id 0
		.amdhsa_next_free_vgpr 1
		.amdhsa_next_free_sgpr 1
		.amdhsa_reserve_vcc 0
		.amdhsa_reserve_flat_scratch 0
		.amdhsa_float_round_mode_32 0
		.amdhsa_float_round_mode_16_64 0
		.amdhsa_float_denorm_mode_32 3
		.amdhsa_float_denorm_mode_16_64 3
		.amdhsa_dx10_clamp 1
		.amdhsa_ieee_mode 1
		.amdhsa_fp16_overflow 0
		.amdhsa_workgroup_processor_mode 1
		.amdhsa_memory_ordered 1
		.amdhsa_forward_progress 1
		.amdhsa_shared_vgpr_count 0
		.amdhsa_exception_fp_ieee_invalid_op 0
		.amdhsa_exception_fp_denorm_src 0
		.amdhsa_exception_fp_ieee_div_zero 0
		.amdhsa_exception_fp_ieee_overflow 0
		.amdhsa_exception_fp_ieee_underflow 0
		.amdhsa_exception_fp_ieee_inexact 0
		.amdhsa_exception_int_div_zero 0
	.end_amdhsa_kernel
	.section	.text._ZN7rocprim17ROCPRIM_400000_NS6detail17trampoline_kernelINS0_14default_configENS1_38merge_sort_block_merge_config_selectorIjN6thrust23THRUST_200600_302600_NS5tupleIffNS6_9null_typeES8_S8_S8_S8_S8_S8_S8_EEEEZZNS1_27merge_sort_block_merge_implIS3_NS6_6detail15normal_iteratorINS6_10device_ptrIjEEEENSD_INSE_IS9_EEEEjNS1_19radix_merge_compareILb0ELb1EjNS0_19identity_decomposerEEEEE10hipError_tT0_T1_T2_jT3_P12ihipStream_tbPNSt15iterator_traitsISN_E10value_typeEPNST_ISO_E10value_typeEPSP_NS1_7vsmem_tEENKUlT_SN_SO_SP_E_clISG_PjSI_PS9_EESM_S12_SN_SO_SP_EUlS12_E1_NS1_11comp_targetILNS1_3genE3ELNS1_11target_archE908ELNS1_3gpuE7ELNS1_3repE0EEENS1_36merge_oddeven_config_static_selectorELNS0_4arch9wavefront6targetE0EEEvSO_,"axG",@progbits,_ZN7rocprim17ROCPRIM_400000_NS6detail17trampoline_kernelINS0_14default_configENS1_38merge_sort_block_merge_config_selectorIjN6thrust23THRUST_200600_302600_NS5tupleIffNS6_9null_typeES8_S8_S8_S8_S8_S8_S8_EEEEZZNS1_27merge_sort_block_merge_implIS3_NS6_6detail15normal_iteratorINS6_10device_ptrIjEEEENSD_INSE_IS9_EEEEjNS1_19radix_merge_compareILb0ELb1EjNS0_19identity_decomposerEEEEE10hipError_tT0_T1_T2_jT3_P12ihipStream_tbPNSt15iterator_traitsISN_E10value_typeEPNST_ISO_E10value_typeEPSP_NS1_7vsmem_tEENKUlT_SN_SO_SP_E_clISG_PjSI_PS9_EESM_S12_SN_SO_SP_EUlS12_E1_NS1_11comp_targetILNS1_3genE3ELNS1_11target_archE908ELNS1_3gpuE7ELNS1_3repE0EEENS1_36merge_oddeven_config_static_selectorELNS0_4arch9wavefront6targetE0EEEvSO_,comdat
.Lfunc_end135:
	.size	_ZN7rocprim17ROCPRIM_400000_NS6detail17trampoline_kernelINS0_14default_configENS1_38merge_sort_block_merge_config_selectorIjN6thrust23THRUST_200600_302600_NS5tupleIffNS6_9null_typeES8_S8_S8_S8_S8_S8_S8_EEEEZZNS1_27merge_sort_block_merge_implIS3_NS6_6detail15normal_iteratorINS6_10device_ptrIjEEEENSD_INSE_IS9_EEEEjNS1_19radix_merge_compareILb0ELb1EjNS0_19identity_decomposerEEEEE10hipError_tT0_T1_T2_jT3_P12ihipStream_tbPNSt15iterator_traitsISN_E10value_typeEPNST_ISO_E10value_typeEPSP_NS1_7vsmem_tEENKUlT_SN_SO_SP_E_clISG_PjSI_PS9_EESM_S12_SN_SO_SP_EUlS12_E1_NS1_11comp_targetILNS1_3genE3ELNS1_11target_archE908ELNS1_3gpuE7ELNS1_3repE0EEENS1_36merge_oddeven_config_static_selectorELNS0_4arch9wavefront6targetE0EEEvSO_, .Lfunc_end135-_ZN7rocprim17ROCPRIM_400000_NS6detail17trampoline_kernelINS0_14default_configENS1_38merge_sort_block_merge_config_selectorIjN6thrust23THRUST_200600_302600_NS5tupleIffNS6_9null_typeES8_S8_S8_S8_S8_S8_S8_EEEEZZNS1_27merge_sort_block_merge_implIS3_NS6_6detail15normal_iteratorINS6_10device_ptrIjEEEENSD_INSE_IS9_EEEEjNS1_19radix_merge_compareILb0ELb1EjNS0_19identity_decomposerEEEEE10hipError_tT0_T1_T2_jT3_P12ihipStream_tbPNSt15iterator_traitsISN_E10value_typeEPNST_ISO_E10value_typeEPSP_NS1_7vsmem_tEENKUlT_SN_SO_SP_E_clISG_PjSI_PS9_EESM_S12_SN_SO_SP_EUlS12_E1_NS1_11comp_targetILNS1_3genE3ELNS1_11target_archE908ELNS1_3gpuE7ELNS1_3repE0EEENS1_36merge_oddeven_config_static_selectorELNS0_4arch9wavefront6targetE0EEEvSO_
                                        ; -- End function
	.set _ZN7rocprim17ROCPRIM_400000_NS6detail17trampoline_kernelINS0_14default_configENS1_38merge_sort_block_merge_config_selectorIjN6thrust23THRUST_200600_302600_NS5tupleIffNS6_9null_typeES8_S8_S8_S8_S8_S8_S8_EEEEZZNS1_27merge_sort_block_merge_implIS3_NS6_6detail15normal_iteratorINS6_10device_ptrIjEEEENSD_INSE_IS9_EEEEjNS1_19radix_merge_compareILb0ELb1EjNS0_19identity_decomposerEEEEE10hipError_tT0_T1_T2_jT3_P12ihipStream_tbPNSt15iterator_traitsISN_E10value_typeEPNST_ISO_E10value_typeEPSP_NS1_7vsmem_tEENKUlT_SN_SO_SP_E_clISG_PjSI_PS9_EESM_S12_SN_SO_SP_EUlS12_E1_NS1_11comp_targetILNS1_3genE3ELNS1_11target_archE908ELNS1_3gpuE7ELNS1_3repE0EEENS1_36merge_oddeven_config_static_selectorELNS0_4arch9wavefront6targetE0EEEvSO_.num_vgpr, 0
	.set _ZN7rocprim17ROCPRIM_400000_NS6detail17trampoline_kernelINS0_14default_configENS1_38merge_sort_block_merge_config_selectorIjN6thrust23THRUST_200600_302600_NS5tupleIffNS6_9null_typeES8_S8_S8_S8_S8_S8_S8_EEEEZZNS1_27merge_sort_block_merge_implIS3_NS6_6detail15normal_iteratorINS6_10device_ptrIjEEEENSD_INSE_IS9_EEEEjNS1_19radix_merge_compareILb0ELb1EjNS0_19identity_decomposerEEEEE10hipError_tT0_T1_T2_jT3_P12ihipStream_tbPNSt15iterator_traitsISN_E10value_typeEPNST_ISO_E10value_typeEPSP_NS1_7vsmem_tEENKUlT_SN_SO_SP_E_clISG_PjSI_PS9_EESM_S12_SN_SO_SP_EUlS12_E1_NS1_11comp_targetILNS1_3genE3ELNS1_11target_archE908ELNS1_3gpuE7ELNS1_3repE0EEENS1_36merge_oddeven_config_static_selectorELNS0_4arch9wavefront6targetE0EEEvSO_.num_agpr, 0
	.set _ZN7rocprim17ROCPRIM_400000_NS6detail17trampoline_kernelINS0_14default_configENS1_38merge_sort_block_merge_config_selectorIjN6thrust23THRUST_200600_302600_NS5tupleIffNS6_9null_typeES8_S8_S8_S8_S8_S8_S8_EEEEZZNS1_27merge_sort_block_merge_implIS3_NS6_6detail15normal_iteratorINS6_10device_ptrIjEEEENSD_INSE_IS9_EEEEjNS1_19radix_merge_compareILb0ELb1EjNS0_19identity_decomposerEEEEE10hipError_tT0_T1_T2_jT3_P12ihipStream_tbPNSt15iterator_traitsISN_E10value_typeEPNST_ISO_E10value_typeEPSP_NS1_7vsmem_tEENKUlT_SN_SO_SP_E_clISG_PjSI_PS9_EESM_S12_SN_SO_SP_EUlS12_E1_NS1_11comp_targetILNS1_3genE3ELNS1_11target_archE908ELNS1_3gpuE7ELNS1_3repE0EEENS1_36merge_oddeven_config_static_selectorELNS0_4arch9wavefront6targetE0EEEvSO_.numbered_sgpr, 0
	.set _ZN7rocprim17ROCPRIM_400000_NS6detail17trampoline_kernelINS0_14default_configENS1_38merge_sort_block_merge_config_selectorIjN6thrust23THRUST_200600_302600_NS5tupleIffNS6_9null_typeES8_S8_S8_S8_S8_S8_S8_EEEEZZNS1_27merge_sort_block_merge_implIS3_NS6_6detail15normal_iteratorINS6_10device_ptrIjEEEENSD_INSE_IS9_EEEEjNS1_19radix_merge_compareILb0ELb1EjNS0_19identity_decomposerEEEEE10hipError_tT0_T1_T2_jT3_P12ihipStream_tbPNSt15iterator_traitsISN_E10value_typeEPNST_ISO_E10value_typeEPSP_NS1_7vsmem_tEENKUlT_SN_SO_SP_E_clISG_PjSI_PS9_EESM_S12_SN_SO_SP_EUlS12_E1_NS1_11comp_targetILNS1_3genE3ELNS1_11target_archE908ELNS1_3gpuE7ELNS1_3repE0EEENS1_36merge_oddeven_config_static_selectorELNS0_4arch9wavefront6targetE0EEEvSO_.num_named_barrier, 0
	.set _ZN7rocprim17ROCPRIM_400000_NS6detail17trampoline_kernelINS0_14default_configENS1_38merge_sort_block_merge_config_selectorIjN6thrust23THRUST_200600_302600_NS5tupleIffNS6_9null_typeES8_S8_S8_S8_S8_S8_S8_EEEEZZNS1_27merge_sort_block_merge_implIS3_NS6_6detail15normal_iteratorINS6_10device_ptrIjEEEENSD_INSE_IS9_EEEEjNS1_19radix_merge_compareILb0ELb1EjNS0_19identity_decomposerEEEEE10hipError_tT0_T1_T2_jT3_P12ihipStream_tbPNSt15iterator_traitsISN_E10value_typeEPNST_ISO_E10value_typeEPSP_NS1_7vsmem_tEENKUlT_SN_SO_SP_E_clISG_PjSI_PS9_EESM_S12_SN_SO_SP_EUlS12_E1_NS1_11comp_targetILNS1_3genE3ELNS1_11target_archE908ELNS1_3gpuE7ELNS1_3repE0EEENS1_36merge_oddeven_config_static_selectorELNS0_4arch9wavefront6targetE0EEEvSO_.private_seg_size, 0
	.set _ZN7rocprim17ROCPRIM_400000_NS6detail17trampoline_kernelINS0_14default_configENS1_38merge_sort_block_merge_config_selectorIjN6thrust23THRUST_200600_302600_NS5tupleIffNS6_9null_typeES8_S8_S8_S8_S8_S8_S8_EEEEZZNS1_27merge_sort_block_merge_implIS3_NS6_6detail15normal_iteratorINS6_10device_ptrIjEEEENSD_INSE_IS9_EEEEjNS1_19radix_merge_compareILb0ELb1EjNS0_19identity_decomposerEEEEE10hipError_tT0_T1_T2_jT3_P12ihipStream_tbPNSt15iterator_traitsISN_E10value_typeEPNST_ISO_E10value_typeEPSP_NS1_7vsmem_tEENKUlT_SN_SO_SP_E_clISG_PjSI_PS9_EESM_S12_SN_SO_SP_EUlS12_E1_NS1_11comp_targetILNS1_3genE3ELNS1_11target_archE908ELNS1_3gpuE7ELNS1_3repE0EEENS1_36merge_oddeven_config_static_selectorELNS0_4arch9wavefront6targetE0EEEvSO_.uses_vcc, 0
	.set _ZN7rocprim17ROCPRIM_400000_NS6detail17trampoline_kernelINS0_14default_configENS1_38merge_sort_block_merge_config_selectorIjN6thrust23THRUST_200600_302600_NS5tupleIffNS6_9null_typeES8_S8_S8_S8_S8_S8_S8_EEEEZZNS1_27merge_sort_block_merge_implIS3_NS6_6detail15normal_iteratorINS6_10device_ptrIjEEEENSD_INSE_IS9_EEEEjNS1_19radix_merge_compareILb0ELb1EjNS0_19identity_decomposerEEEEE10hipError_tT0_T1_T2_jT3_P12ihipStream_tbPNSt15iterator_traitsISN_E10value_typeEPNST_ISO_E10value_typeEPSP_NS1_7vsmem_tEENKUlT_SN_SO_SP_E_clISG_PjSI_PS9_EESM_S12_SN_SO_SP_EUlS12_E1_NS1_11comp_targetILNS1_3genE3ELNS1_11target_archE908ELNS1_3gpuE7ELNS1_3repE0EEENS1_36merge_oddeven_config_static_selectorELNS0_4arch9wavefront6targetE0EEEvSO_.uses_flat_scratch, 0
	.set _ZN7rocprim17ROCPRIM_400000_NS6detail17trampoline_kernelINS0_14default_configENS1_38merge_sort_block_merge_config_selectorIjN6thrust23THRUST_200600_302600_NS5tupleIffNS6_9null_typeES8_S8_S8_S8_S8_S8_S8_EEEEZZNS1_27merge_sort_block_merge_implIS3_NS6_6detail15normal_iteratorINS6_10device_ptrIjEEEENSD_INSE_IS9_EEEEjNS1_19radix_merge_compareILb0ELb1EjNS0_19identity_decomposerEEEEE10hipError_tT0_T1_T2_jT3_P12ihipStream_tbPNSt15iterator_traitsISN_E10value_typeEPNST_ISO_E10value_typeEPSP_NS1_7vsmem_tEENKUlT_SN_SO_SP_E_clISG_PjSI_PS9_EESM_S12_SN_SO_SP_EUlS12_E1_NS1_11comp_targetILNS1_3genE3ELNS1_11target_archE908ELNS1_3gpuE7ELNS1_3repE0EEENS1_36merge_oddeven_config_static_selectorELNS0_4arch9wavefront6targetE0EEEvSO_.has_dyn_sized_stack, 0
	.set _ZN7rocprim17ROCPRIM_400000_NS6detail17trampoline_kernelINS0_14default_configENS1_38merge_sort_block_merge_config_selectorIjN6thrust23THRUST_200600_302600_NS5tupleIffNS6_9null_typeES8_S8_S8_S8_S8_S8_S8_EEEEZZNS1_27merge_sort_block_merge_implIS3_NS6_6detail15normal_iteratorINS6_10device_ptrIjEEEENSD_INSE_IS9_EEEEjNS1_19radix_merge_compareILb0ELb1EjNS0_19identity_decomposerEEEEE10hipError_tT0_T1_T2_jT3_P12ihipStream_tbPNSt15iterator_traitsISN_E10value_typeEPNST_ISO_E10value_typeEPSP_NS1_7vsmem_tEENKUlT_SN_SO_SP_E_clISG_PjSI_PS9_EESM_S12_SN_SO_SP_EUlS12_E1_NS1_11comp_targetILNS1_3genE3ELNS1_11target_archE908ELNS1_3gpuE7ELNS1_3repE0EEENS1_36merge_oddeven_config_static_selectorELNS0_4arch9wavefront6targetE0EEEvSO_.has_recursion, 0
	.set _ZN7rocprim17ROCPRIM_400000_NS6detail17trampoline_kernelINS0_14default_configENS1_38merge_sort_block_merge_config_selectorIjN6thrust23THRUST_200600_302600_NS5tupleIffNS6_9null_typeES8_S8_S8_S8_S8_S8_S8_EEEEZZNS1_27merge_sort_block_merge_implIS3_NS6_6detail15normal_iteratorINS6_10device_ptrIjEEEENSD_INSE_IS9_EEEEjNS1_19radix_merge_compareILb0ELb1EjNS0_19identity_decomposerEEEEE10hipError_tT0_T1_T2_jT3_P12ihipStream_tbPNSt15iterator_traitsISN_E10value_typeEPNST_ISO_E10value_typeEPSP_NS1_7vsmem_tEENKUlT_SN_SO_SP_E_clISG_PjSI_PS9_EESM_S12_SN_SO_SP_EUlS12_E1_NS1_11comp_targetILNS1_3genE3ELNS1_11target_archE908ELNS1_3gpuE7ELNS1_3repE0EEENS1_36merge_oddeven_config_static_selectorELNS0_4arch9wavefront6targetE0EEEvSO_.has_indirect_call, 0
	.section	.AMDGPU.csdata,"",@progbits
; Kernel info:
; codeLenInByte = 0
; TotalNumSgprs: 0
; NumVgprs: 0
; ScratchSize: 0
; MemoryBound: 0
; FloatMode: 240
; IeeeMode: 1
; LDSByteSize: 0 bytes/workgroup (compile time only)
; SGPRBlocks: 0
; VGPRBlocks: 0
; NumSGPRsForWavesPerEU: 1
; NumVGPRsForWavesPerEU: 1
; Occupancy: 16
; WaveLimiterHint : 0
; COMPUTE_PGM_RSRC2:SCRATCH_EN: 0
; COMPUTE_PGM_RSRC2:USER_SGPR: 6
; COMPUTE_PGM_RSRC2:TRAP_HANDLER: 0
; COMPUTE_PGM_RSRC2:TGID_X_EN: 1
; COMPUTE_PGM_RSRC2:TGID_Y_EN: 0
; COMPUTE_PGM_RSRC2:TGID_Z_EN: 0
; COMPUTE_PGM_RSRC2:TIDIG_COMP_CNT: 0
	.section	.text._ZN7rocprim17ROCPRIM_400000_NS6detail17trampoline_kernelINS0_14default_configENS1_38merge_sort_block_merge_config_selectorIjN6thrust23THRUST_200600_302600_NS5tupleIffNS6_9null_typeES8_S8_S8_S8_S8_S8_S8_EEEEZZNS1_27merge_sort_block_merge_implIS3_NS6_6detail15normal_iteratorINS6_10device_ptrIjEEEENSD_INSE_IS9_EEEEjNS1_19radix_merge_compareILb0ELb1EjNS0_19identity_decomposerEEEEE10hipError_tT0_T1_T2_jT3_P12ihipStream_tbPNSt15iterator_traitsISN_E10value_typeEPNST_ISO_E10value_typeEPSP_NS1_7vsmem_tEENKUlT_SN_SO_SP_E_clISG_PjSI_PS9_EESM_S12_SN_SO_SP_EUlS12_E1_NS1_11comp_targetILNS1_3genE2ELNS1_11target_archE906ELNS1_3gpuE6ELNS1_3repE0EEENS1_36merge_oddeven_config_static_selectorELNS0_4arch9wavefront6targetE0EEEvSO_,"axG",@progbits,_ZN7rocprim17ROCPRIM_400000_NS6detail17trampoline_kernelINS0_14default_configENS1_38merge_sort_block_merge_config_selectorIjN6thrust23THRUST_200600_302600_NS5tupleIffNS6_9null_typeES8_S8_S8_S8_S8_S8_S8_EEEEZZNS1_27merge_sort_block_merge_implIS3_NS6_6detail15normal_iteratorINS6_10device_ptrIjEEEENSD_INSE_IS9_EEEEjNS1_19radix_merge_compareILb0ELb1EjNS0_19identity_decomposerEEEEE10hipError_tT0_T1_T2_jT3_P12ihipStream_tbPNSt15iterator_traitsISN_E10value_typeEPNST_ISO_E10value_typeEPSP_NS1_7vsmem_tEENKUlT_SN_SO_SP_E_clISG_PjSI_PS9_EESM_S12_SN_SO_SP_EUlS12_E1_NS1_11comp_targetILNS1_3genE2ELNS1_11target_archE906ELNS1_3gpuE6ELNS1_3repE0EEENS1_36merge_oddeven_config_static_selectorELNS0_4arch9wavefront6targetE0EEEvSO_,comdat
	.protected	_ZN7rocprim17ROCPRIM_400000_NS6detail17trampoline_kernelINS0_14default_configENS1_38merge_sort_block_merge_config_selectorIjN6thrust23THRUST_200600_302600_NS5tupleIffNS6_9null_typeES8_S8_S8_S8_S8_S8_S8_EEEEZZNS1_27merge_sort_block_merge_implIS3_NS6_6detail15normal_iteratorINS6_10device_ptrIjEEEENSD_INSE_IS9_EEEEjNS1_19radix_merge_compareILb0ELb1EjNS0_19identity_decomposerEEEEE10hipError_tT0_T1_T2_jT3_P12ihipStream_tbPNSt15iterator_traitsISN_E10value_typeEPNST_ISO_E10value_typeEPSP_NS1_7vsmem_tEENKUlT_SN_SO_SP_E_clISG_PjSI_PS9_EESM_S12_SN_SO_SP_EUlS12_E1_NS1_11comp_targetILNS1_3genE2ELNS1_11target_archE906ELNS1_3gpuE6ELNS1_3repE0EEENS1_36merge_oddeven_config_static_selectorELNS0_4arch9wavefront6targetE0EEEvSO_ ; -- Begin function _ZN7rocprim17ROCPRIM_400000_NS6detail17trampoline_kernelINS0_14default_configENS1_38merge_sort_block_merge_config_selectorIjN6thrust23THRUST_200600_302600_NS5tupleIffNS6_9null_typeES8_S8_S8_S8_S8_S8_S8_EEEEZZNS1_27merge_sort_block_merge_implIS3_NS6_6detail15normal_iteratorINS6_10device_ptrIjEEEENSD_INSE_IS9_EEEEjNS1_19radix_merge_compareILb0ELb1EjNS0_19identity_decomposerEEEEE10hipError_tT0_T1_T2_jT3_P12ihipStream_tbPNSt15iterator_traitsISN_E10value_typeEPNST_ISO_E10value_typeEPSP_NS1_7vsmem_tEENKUlT_SN_SO_SP_E_clISG_PjSI_PS9_EESM_S12_SN_SO_SP_EUlS12_E1_NS1_11comp_targetILNS1_3genE2ELNS1_11target_archE906ELNS1_3gpuE6ELNS1_3repE0EEENS1_36merge_oddeven_config_static_selectorELNS0_4arch9wavefront6targetE0EEEvSO_
	.globl	_ZN7rocprim17ROCPRIM_400000_NS6detail17trampoline_kernelINS0_14default_configENS1_38merge_sort_block_merge_config_selectorIjN6thrust23THRUST_200600_302600_NS5tupleIffNS6_9null_typeES8_S8_S8_S8_S8_S8_S8_EEEEZZNS1_27merge_sort_block_merge_implIS3_NS6_6detail15normal_iteratorINS6_10device_ptrIjEEEENSD_INSE_IS9_EEEEjNS1_19radix_merge_compareILb0ELb1EjNS0_19identity_decomposerEEEEE10hipError_tT0_T1_T2_jT3_P12ihipStream_tbPNSt15iterator_traitsISN_E10value_typeEPNST_ISO_E10value_typeEPSP_NS1_7vsmem_tEENKUlT_SN_SO_SP_E_clISG_PjSI_PS9_EESM_S12_SN_SO_SP_EUlS12_E1_NS1_11comp_targetILNS1_3genE2ELNS1_11target_archE906ELNS1_3gpuE6ELNS1_3repE0EEENS1_36merge_oddeven_config_static_selectorELNS0_4arch9wavefront6targetE0EEEvSO_
	.p2align	8
	.type	_ZN7rocprim17ROCPRIM_400000_NS6detail17trampoline_kernelINS0_14default_configENS1_38merge_sort_block_merge_config_selectorIjN6thrust23THRUST_200600_302600_NS5tupleIffNS6_9null_typeES8_S8_S8_S8_S8_S8_S8_EEEEZZNS1_27merge_sort_block_merge_implIS3_NS6_6detail15normal_iteratorINS6_10device_ptrIjEEEENSD_INSE_IS9_EEEEjNS1_19radix_merge_compareILb0ELb1EjNS0_19identity_decomposerEEEEE10hipError_tT0_T1_T2_jT3_P12ihipStream_tbPNSt15iterator_traitsISN_E10value_typeEPNST_ISO_E10value_typeEPSP_NS1_7vsmem_tEENKUlT_SN_SO_SP_E_clISG_PjSI_PS9_EESM_S12_SN_SO_SP_EUlS12_E1_NS1_11comp_targetILNS1_3genE2ELNS1_11target_archE906ELNS1_3gpuE6ELNS1_3repE0EEENS1_36merge_oddeven_config_static_selectorELNS0_4arch9wavefront6targetE0EEEvSO_,@function
_ZN7rocprim17ROCPRIM_400000_NS6detail17trampoline_kernelINS0_14default_configENS1_38merge_sort_block_merge_config_selectorIjN6thrust23THRUST_200600_302600_NS5tupleIffNS6_9null_typeES8_S8_S8_S8_S8_S8_S8_EEEEZZNS1_27merge_sort_block_merge_implIS3_NS6_6detail15normal_iteratorINS6_10device_ptrIjEEEENSD_INSE_IS9_EEEEjNS1_19radix_merge_compareILb0ELb1EjNS0_19identity_decomposerEEEEE10hipError_tT0_T1_T2_jT3_P12ihipStream_tbPNSt15iterator_traitsISN_E10value_typeEPNST_ISO_E10value_typeEPSP_NS1_7vsmem_tEENKUlT_SN_SO_SP_E_clISG_PjSI_PS9_EESM_S12_SN_SO_SP_EUlS12_E1_NS1_11comp_targetILNS1_3genE2ELNS1_11target_archE906ELNS1_3gpuE6ELNS1_3repE0EEENS1_36merge_oddeven_config_static_selectorELNS0_4arch9wavefront6targetE0EEEvSO_: ; @_ZN7rocprim17ROCPRIM_400000_NS6detail17trampoline_kernelINS0_14default_configENS1_38merge_sort_block_merge_config_selectorIjN6thrust23THRUST_200600_302600_NS5tupleIffNS6_9null_typeES8_S8_S8_S8_S8_S8_S8_EEEEZZNS1_27merge_sort_block_merge_implIS3_NS6_6detail15normal_iteratorINS6_10device_ptrIjEEEENSD_INSE_IS9_EEEEjNS1_19radix_merge_compareILb0ELb1EjNS0_19identity_decomposerEEEEE10hipError_tT0_T1_T2_jT3_P12ihipStream_tbPNSt15iterator_traitsISN_E10value_typeEPNST_ISO_E10value_typeEPSP_NS1_7vsmem_tEENKUlT_SN_SO_SP_E_clISG_PjSI_PS9_EESM_S12_SN_SO_SP_EUlS12_E1_NS1_11comp_targetILNS1_3genE2ELNS1_11target_archE906ELNS1_3gpuE6ELNS1_3repE0EEENS1_36merge_oddeven_config_static_selectorELNS0_4arch9wavefront6targetE0EEEvSO_
; %bb.0:
	.section	.rodata,"a",@progbits
	.p2align	6, 0x0
	.amdhsa_kernel _ZN7rocprim17ROCPRIM_400000_NS6detail17trampoline_kernelINS0_14default_configENS1_38merge_sort_block_merge_config_selectorIjN6thrust23THRUST_200600_302600_NS5tupleIffNS6_9null_typeES8_S8_S8_S8_S8_S8_S8_EEEEZZNS1_27merge_sort_block_merge_implIS3_NS6_6detail15normal_iteratorINS6_10device_ptrIjEEEENSD_INSE_IS9_EEEEjNS1_19radix_merge_compareILb0ELb1EjNS0_19identity_decomposerEEEEE10hipError_tT0_T1_T2_jT3_P12ihipStream_tbPNSt15iterator_traitsISN_E10value_typeEPNST_ISO_E10value_typeEPSP_NS1_7vsmem_tEENKUlT_SN_SO_SP_E_clISG_PjSI_PS9_EESM_S12_SN_SO_SP_EUlS12_E1_NS1_11comp_targetILNS1_3genE2ELNS1_11target_archE906ELNS1_3gpuE6ELNS1_3repE0EEENS1_36merge_oddeven_config_static_selectorELNS0_4arch9wavefront6targetE0EEEvSO_
		.amdhsa_group_segment_fixed_size 0
		.amdhsa_private_segment_fixed_size 0
		.amdhsa_kernarg_size 48
		.amdhsa_user_sgpr_count 6
		.amdhsa_user_sgpr_private_segment_buffer 1
		.amdhsa_user_sgpr_dispatch_ptr 0
		.amdhsa_user_sgpr_queue_ptr 0
		.amdhsa_user_sgpr_kernarg_segment_ptr 1
		.amdhsa_user_sgpr_dispatch_id 0
		.amdhsa_user_sgpr_flat_scratch_init 0
		.amdhsa_user_sgpr_private_segment_size 0
		.amdhsa_wavefront_size32 1
		.amdhsa_uses_dynamic_stack 0
		.amdhsa_system_sgpr_private_segment_wavefront_offset 0
		.amdhsa_system_sgpr_workgroup_id_x 1
		.amdhsa_system_sgpr_workgroup_id_y 0
		.amdhsa_system_sgpr_workgroup_id_z 0
		.amdhsa_system_sgpr_workgroup_info 0
		.amdhsa_system_vgpr_workitem_id 0
		.amdhsa_next_free_vgpr 1
		.amdhsa_next_free_sgpr 1
		.amdhsa_reserve_vcc 0
		.amdhsa_reserve_flat_scratch 0
		.amdhsa_float_round_mode_32 0
		.amdhsa_float_round_mode_16_64 0
		.amdhsa_float_denorm_mode_32 3
		.amdhsa_float_denorm_mode_16_64 3
		.amdhsa_dx10_clamp 1
		.amdhsa_ieee_mode 1
		.amdhsa_fp16_overflow 0
		.amdhsa_workgroup_processor_mode 1
		.amdhsa_memory_ordered 1
		.amdhsa_forward_progress 1
		.amdhsa_shared_vgpr_count 0
		.amdhsa_exception_fp_ieee_invalid_op 0
		.amdhsa_exception_fp_denorm_src 0
		.amdhsa_exception_fp_ieee_div_zero 0
		.amdhsa_exception_fp_ieee_overflow 0
		.amdhsa_exception_fp_ieee_underflow 0
		.amdhsa_exception_fp_ieee_inexact 0
		.amdhsa_exception_int_div_zero 0
	.end_amdhsa_kernel
	.section	.text._ZN7rocprim17ROCPRIM_400000_NS6detail17trampoline_kernelINS0_14default_configENS1_38merge_sort_block_merge_config_selectorIjN6thrust23THRUST_200600_302600_NS5tupleIffNS6_9null_typeES8_S8_S8_S8_S8_S8_S8_EEEEZZNS1_27merge_sort_block_merge_implIS3_NS6_6detail15normal_iteratorINS6_10device_ptrIjEEEENSD_INSE_IS9_EEEEjNS1_19radix_merge_compareILb0ELb1EjNS0_19identity_decomposerEEEEE10hipError_tT0_T1_T2_jT3_P12ihipStream_tbPNSt15iterator_traitsISN_E10value_typeEPNST_ISO_E10value_typeEPSP_NS1_7vsmem_tEENKUlT_SN_SO_SP_E_clISG_PjSI_PS9_EESM_S12_SN_SO_SP_EUlS12_E1_NS1_11comp_targetILNS1_3genE2ELNS1_11target_archE906ELNS1_3gpuE6ELNS1_3repE0EEENS1_36merge_oddeven_config_static_selectorELNS0_4arch9wavefront6targetE0EEEvSO_,"axG",@progbits,_ZN7rocprim17ROCPRIM_400000_NS6detail17trampoline_kernelINS0_14default_configENS1_38merge_sort_block_merge_config_selectorIjN6thrust23THRUST_200600_302600_NS5tupleIffNS6_9null_typeES8_S8_S8_S8_S8_S8_S8_EEEEZZNS1_27merge_sort_block_merge_implIS3_NS6_6detail15normal_iteratorINS6_10device_ptrIjEEEENSD_INSE_IS9_EEEEjNS1_19radix_merge_compareILb0ELb1EjNS0_19identity_decomposerEEEEE10hipError_tT0_T1_T2_jT3_P12ihipStream_tbPNSt15iterator_traitsISN_E10value_typeEPNST_ISO_E10value_typeEPSP_NS1_7vsmem_tEENKUlT_SN_SO_SP_E_clISG_PjSI_PS9_EESM_S12_SN_SO_SP_EUlS12_E1_NS1_11comp_targetILNS1_3genE2ELNS1_11target_archE906ELNS1_3gpuE6ELNS1_3repE0EEENS1_36merge_oddeven_config_static_selectorELNS0_4arch9wavefront6targetE0EEEvSO_,comdat
.Lfunc_end136:
	.size	_ZN7rocprim17ROCPRIM_400000_NS6detail17trampoline_kernelINS0_14default_configENS1_38merge_sort_block_merge_config_selectorIjN6thrust23THRUST_200600_302600_NS5tupleIffNS6_9null_typeES8_S8_S8_S8_S8_S8_S8_EEEEZZNS1_27merge_sort_block_merge_implIS3_NS6_6detail15normal_iteratorINS6_10device_ptrIjEEEENSD_INSE_IS9_EEEEjNS1_19radix_merge_compareILb0ELb1EjNS0_19identity_decomposerEEEEE10hipError_tT0_T1_T2_jT3_P12ihipStream_tbPNSt15iterator_traitsISN_E10value_typeEPNST_ISO_E10value_typeEPSP_NS1_7vsmem_tEENKUlT_SN_SO_SP_E_clISG_PjSI_PS9_EESM_S12_SN_SO_SP_EUlS12_E1_NS1_11comp_targetILNS1_3genE2ELNS1_11target_archE906ELNS1_3gpuE6ELNS1_3repE0EEENS1_36merge_oddeven_config_static_selectorELNS0_4arch9wavefront6targetE0EEEvSO_, .Lfunc_end136-_ZN7rocprim17ROCPRIM_400000_NS6detail17trampoline_kernelINS0_14default_configENS1_38merge_sort_block_merge_config_selectorIjN6thrust23THRUST_200600_302600_NS5tupleIffNS6_9null_typeES8_S8_S8_S8_S8_S8_S8_EEEEZZNS1_27merge_sort_block_merge_implIS3_NS6_6detail15normal_iteratorINS6_10device_ptrIjEEEENSD_INSE_IS9_EEEEjNS1_19radix_merge_compareILb0ELb1EjNS0_19identity_decomposerEEEEE10hipError_tT0_T1_T2_jT3_P12ihipStream_tbPNSt15iterator_traitsISN_E10value_typeEPNST_ISO_E10value_typeEPSP_NS1_7vsmem_tEENKUlT_SN_SO_SP_E_clISG_PjSI_PS9_EESM_S12_SN_SO_SP_EUlS12_E1_NS1_11comp_targetILNS1_3genE2ELNS1_11target_archE906ELNS1_3gpuE6ELNS1_3repE0EEENS1_36merge_oddeven_config_static_selectorELNS0_4arch9wavefront6targetE0EEEvSO_
                                        ; -- End function
	.set _ZN7rocprim17ROCPRIM_400000_NS6detail17trampoline_kernelINS0_14default_configENS1_38merge_sort_block_merge_config_selectorIjN6thrust23THRUST_200600_302600_NS5tupleIffNS6_9null_typeES8_S8_S8_S8_S8_S8_S8_EEEEZZNS1_27merge_sort_block_merge_implIS3_NS6_6detail15normal_iteratorINS6_10device_ptrIjEEEENSD_INSE_IS9_EEEEjNS1_19radix_merge_compareILb0ELb1EjNS0_19identity_decomposerEEEEE10hipError_tT0_T1_T2_jT3_P12ihipStream_tbPNSt15iterator_traitsISN_E10value_typeEPNST_ISO_E10value_typeEPSP_NS1_7vsmem_tEENKUlT_SN_SO_SP_E_clISG_PjSI_PS9_EESM_S12_SN_SO_SP_EUlS12_E1_NS1_11comp_targetILNS1_3genE2ELNS1_11target_archE906ELNS1_3gpuE6ELNS1_3repE0EEENS1_36merge_oddeven_config_static_selectorELNS0_4arch9wavefront6targetE0EEEvSO_.num_vgpr, 0
	.set _ZN7rocprim17ROCPRIM_400000_NS6detail17trampoline_kernelINS0_14default_configENS1_38merge_sort_block_merge_config_selectorIjN6thrust23THRUST_200600_302600_NS5tupleIffNS6_9null_typeES8_S8_S8_S8_S8_S8_S8_EEEEZZNS1_27merge_sort_block_merge_implIS3_NS6_6detail15normal_iteratorINS6_10device_ptrIjEEEENSD_INSE_IS9_EEEEjNS1_19radix_merge_compareILb0ELb1EjNS0_19identity_decomposerEEEEE10hipError_tT0_T1_T2_jT3_P12ihipStream_tbPNSt15iterator_traitsISN_E10value_typeEPNST_ISO_E10value_typeEPSP_NS1_7vsmem_tEENKUlT_SN_SO_SP_E_clISG_PjSI_PS9_EESM_S12_SN_SO_SP_EUlS12_E1_NS1_11comp_targetILNS1_3genE2ELNS1_11target_archE906ELNS1_3gpuE6ELNS1_3repE0EEENS1_36merge_oddeven_config_static_selectorELNS0_4arch9wavefront6targetE0EEEvSO_.num_agpr, 0
	.set _ZN7rocprim17ROCPRIM_400000_NS6detail17trampoline_kernelINS0_14default_configENS1_38merge_sort_block_merge_config_selectorIjN6thrust23THRUST_200600_302600_NS5tupleIffNS6_9null_typeES8_S8_S8_S8_S8_S8_S8_EEEEZZNS1_27merge_sort_block_merge_implIS3_NS6_6detail15normal_iteratorINS6_10device_ptrIjEEEENSD_INSE_IS9_EEEEjNS1_19radix_merge_compareILb0ELb1EjNS0_19identity_decomposerEEEEE10hipError_tT0_T1_T2_jT3_P12ihipStream_tbPNSt15iterator_traitsISN_E10value_typeEPNST_ISO_E10value_typeEPSP_NS1_7vsmem_tEENKUlT_SN_SO_SP_E_clISG_PjSI_PS9_EESM_S12_SN_SO_SP_EUlS12_E1_NS1_11comp_targetILNS1_3genE2ELNS1_11target_archE906ELNS1_3gpuE6ELNS1_3repE0EEENS1_36merge_oddeven_config_static_selectorELNS0_4arch9wavefront6targetE0EEEvSO_.numbered_sgpr, 0
	.set _ZN7rocprim17ROCPRIM_400000_NS6detail17trampoline_kernelINS0_14default_configENS1_38merge_sort_block_merge_config_selectorIjN6thrust23THRUST_200600_302600_NS5tupleIffNS6_9null_typeES8_S8_S8_S8_S8_S8_S8_EEEEZZNS1_27merge_sort_block_merge_implIS3_NS6_6detail15normal_iteratorINS6_10device_ptrIjEEEENSD_INSE_IS9_EEEEjNS1_19radix_merge_compareILb0ELb1EjNS0_19identity_decomposerEEEEE10hipError_tT0_T1_T2_jT3_P12ihipStream_tbPNSt15iterator_traitsISN_E10value_typeEPNST_ISO_E10value_typeEPSP_NS1_7vsmem_tEENKUlT_SN_SO_SP_E_clISG_PjSI_PS9_EESM_S12_SN_SO_SP_EUlS12_E1_NS1_11comp_targetILNS1_3genE2ELNS1_11target_archE906ELNS1_3gpuE6ELNS1_3repE0EEENS1_36merge_oddeven_config_static_selectorELNS0_4arch9wavefront6targetE0EEEvSO_.num_named_barrier, 0
	.set _ZN7rocprim17ROCPRIM_400000_NS6detail17trampoline_kernelINS0_14default_configENS1_38merge_sort_block_merge_config_selectorIjN6thrust23THRUST_200600_302600_NS5tupleIffNS6_9null_typeES8_S8_S8_S8_S8_S8_S8_EEEEZZNS1_27merge_sort_block_merge_implIS3_NS6_6detail15normal_iteratorINS6_10device_ptrIjEEEENSD_INSE_IS9_EEEEjNS1_19radix_merge_compareILb0ELb1EjNS0_19identity_decomposerEEEEE10hipError_tT0_T1_T2_jT3_P12ihipStream_tbPNSt15iterator_traitsISN_E10value_typeEPNST_ISO_E10value_typeEPSP_NS1_7vsmem_tEENKUlT_SN_SO_SP_E_clISG_PjSI_PS9_EESM_S12_SN_SO_SP_EUlS12_E1_NS1_11comp_targetILNS1_3genE2ELNS1_11target_archE906ELNS1_3gpuE6ELNS1_3repE0EEENS1_36merge_oddeven_config_static_selectorELNS0_4arch9wavefront6targetE0EEEvSO_.private_seg_size, 0
	.set _ZN7rocprim17ROCPRIM_400000_NS6detail17trampoline_kernelINS0_14default_configENS1_38merge_sort_block_merge_config_selectorIjN6thrust23THRUST_200600_302600_NS5tupleIffNS6_9null_typeES8_S8_S8_S8_S8_S8_S8_EEEEZZNS1_27merge_sort_block_merge_implIS3_NS6_6detail15normal_iteratorINS6_10device_ptrIjEEEENSD_INSE_IS9_EEEEjNS1_19radix_merge_compareILb0ELb1EjNS0_19identity_decomposerEEEEE10hipError_tT0_T1_T2_jT3_P12ihipStream_tbPNSt15iterator_traitsISN_E10value_typeEPNST_ISO_E10value_typeEPSP_NS1_7vsmem_tEENKUlT_SN_SO_SP_E_clISG_PjSI_PS9_EESM_S12_SN_SO_SP_EUlS12_E1_NS1_11comp_targetILNS1_3genE2ELNS1_11target_archE906ELNS1_3gpuE6ELNS1_3repE0EEENS1_36merge_oddeven_config_static_selectorELNS0_4arch9wavefront6targetE0EEEvSO_.uses_vcc, 0
	.set _ZN7rocprim17ROCPRIM_400000_NS6detail17trampoline_kernelINS0_14default_configENS1_38merge_sort_block_merge_config_selectorIjN6thrust23THRUST_200600_302600_NS5tupleIffNS6_9null_typeES8_S8_S8_S8_S8_S8_S8_EEEEZZNS1_27merge_sort_block_merge_implIS3_NS6_6detail15normal_iteratorINS6_10device_ptrIjEEEENSD_INSE_IS9_EEEEjNS1_19radix_merge_compareILb0ELb1EjNS0_19identity_decomposerEEEEE10hipError_tT0_T1_T2_jT3_P12ihipStream_tbPNSt15iterator_traitsISN_E10value_typeEPNST_ISO_E10value_typeEPSP_NS1_7vsmem_tEENKUlT_SN_SO_SP_E_clISG_PjSI_PS9_EESM_S12_SN_SO_SP_EUlS12_E1_NS1_11comp_targetILNS1_3genE2ELNS1_11target_archE906ELNS1_3gpuE6ELNS1_3repE0EEENS1_36merge_oddeven_config_static_selectorELNS0_4arch9wavefront6targetE0EEEvSO_.uses_flat_scratch, 0
	.set _ZN7rocprim17ROCPRIM_400000_NS6detail17trampoline_kernelINS0_14default_configENS1_38merge_sort_block_merge_config_selectorIjN6thrust23THRUST_200600_302600_NS5tupleIffNS6_9null_typeES8_S8_S8_S8_S8_S8_S8_EEEEZZNS1_27merge_sort_block_merge_implIS3_NS6_6detail15normal_iteratorINS6_10device_ptrIjEEEENSD_INSE_IS9_EEEEjNS1_19radix_merge_compareILb0ELb1EjNS0_19identity_decomposerEEEEE10hipError_tT0_T1_T2_jT3_P12ihipStream_tbPNSt15iterator_traitsISN_E10value_typeEPNST_ISO_E10value_typeEPSP_NS1_7vsmem_tEENKUlT_SN_SO_SP_E_clISG_PjSI_PS9_EESM_S12_SN_SO_SP_EUlS12_E1_NS1_11comp_targetILNS1_3genE2ELNS1_11target_archE906ELNS1_3gpuE6ELNS1_3repE0EEENS1_36merge_oddeven_config_static_selectorELNS0_4arch9wavefront6targetE0EEEvSO_.has_dyn_sized_stack, 0
	.set _ZN7rocprim17ROCPRIM_400000_NS6detail17trampoline_kernelINS0_14default_configENS1_38merge_sort_block_merge_config_selectorIjN6thrust23THRUST_200600_302600_NS5tupleIffNS6_9null_typeES8_S8_S8_S8_S8_S8_S8_EEEEZZNS1_27merge_sort_block_merge_implIS3_NS6_6detail15normal_iteratorINS6_10device_ptrIjEEEENSD_INSE_IS9_EEEEjNS1_19radix_merge_compareILb0ELb1EjNS0_19identity_decomposerEEEEE10hipError_tT0_T1_T2_jT3_P12ihipStream_tbPNSt15iterator_traitsISN_E10value_typeEPNST_ISO_E10value_typeEPSP_NS1_7vsmem_tEENKUlT_SN_SO_SP_E_clISG_PjSI_PS9_EESM_S12_SN_SO_SP_EUlS12_E1_NS1_11comp_targetILNS1_3genE2ELNS1_11target_archE906ELNS1_3gpuE6ELNS1_3repE0EEENS1_36merge_oddeven_config_static_selectorELNS0_4arch9wavefront6targetE0EEEvSO_.has_recursion, 0
	.set _ZN7rocprim17ROCPRIM_400000_NS6detail17trampoline_kernelINS0_14default_configENS1_38merge_sort_block_merge_config_selectorIjN6thrust23THRUST_200600_302600_NS5tupleIffNS6_9null_typeES8_S8_S8_S8_S8_S8_S8_EEEEZZNS1_27merge_sort_block_merge_implIS3_NS6_6detail15normal_iteratorINS6_10device_ptrIjEEEENSD_INSE_IS9_EEEEjNS1_19radix_merge_compareILb0ELb1EjNS0_19identity_decomposerEEEEE10hipError_tT0_T1_T2_jT3_P12ihipStream_tbPNSt15iterator_traitsISN_E10value_typeEPNST_ISO_E10value_typeEPSP_NS1_7vsmem_tEENKUlT_SN_SO_SP_E_clISG_PjSI_PS9_EESM_S12_SN_SO_SP_EUlS12_E1_NS1_11comp_targetILNS1_3genE2ELNS1_11target_archE906ELNS1_3gpuE6ELNS1_3repE0EEENS1_36merge_oddeven_config_static_selectorELNS0_4arch9wavefront6targetE0EEEvSO_.has_indirect_call, 0
	.section	.AMDGPU.csdata,"",@progbits
; Kernel info:
; codeLenInByte = 0
; TotalNumSgprs: 0
; NumVgprs: 0
; ScratchSize: 0
; MemoryBound: 0
; FloatMode: 240
; IeeeMode: 1
; LDSByteSize: 0 bytes/workgroup (compile time only)
; SGPRBlocks: 0
; VGPRBlocks: 0
; NumSGPRsForWavesPerEU: 1
; NumVGPRsForWavesPerEU: 1
; Occupancy: 16
; WaveLimiterHint : 0
; COMPUTE_PGM_RSRC2:SCRATCH_EN: 0
; COMPUTE_PGM_RSRC2:USER_SGPR: 6
; COMPUTE_PGM_RSRC2:TRAP_HANDLER: 0
; COMPUTE_PGM_RSRC2:TGID_X_EN: 1
; COMPUTE_PGM_RSRC2:TGID_Y_EN: 0
; COMPUTE_PGM_RSRC2:TGID_Z_EN: 0
; COMPUTE_PGM_RSRC2:TIDIG_COMP_CNT: 0
	.section	.text._ZN7rocprim17ROCPRIM_400000_NS6detail17trampoline_kernelINS0_14default_configENS1_38merge_sort_block_merge_config_selectorIjN6thrust23THRUST_200600_302600_NS5tupleIffNS6_9null_typeES8_S8_S8_S8_S8_S8_S8_EEEEZZNS1_27merge_sort_block_merge_implIS3_NS6_6detail15normal_iteratorINS6_10device_ptrIjEEEENSD_INSE_IS9_EEEEjNS1_19radix_merge_compareILb0ELb1EjNS0_19identity_decomposerEEEEE10hipError_tT0_T1_T2_jT3_P12ihipStream_tbPNSt15iterator_traitsISN_E10value_typeEPNST_ISO_E10value_typeEPSP_NS1_7vsmem_tEENKUlT_SN_SO_SP_E_clISG_PjSI_PS9_EESM_S12_SN_SO_SP_EUlS12_E1_NS1_11comp_targetILNS1_3genE9ELNS1_11target_archE1100ELNS1_3gpuE3ELNS1_3repE0EEENS1_36merge_oddeven_config_static_selectorELNS0_4arch9wavefront6targetE0EEEvSO_,"axG",@progbits,_ZN7rocprim17ROCPRIM_400000_NS6detail17trampoline_kernelINS0_14default_configENS1_38merge_sort_block_merge_config_selectorIjN6thrust23THRUST_200600_302600_NS5tupleIffNS6_9null_typeES8_S8_S8_S8_S8_S8_S8_EEEEZZNS1_27merge_sort_block_merge_implIS3_NS6_6detail15normal_iteratorINS6_10device_ptrIjEEEENSD_INSE_IS9_EEEEjNS1_19radix_merge_compareILb0ELb1EjNS0_19identity_decomposerEEEEE10hipError_tT0_T1_T2_jT3_P12ihipStream_tbPNSt15iterator_traitsISN_E10value_typeEPNST_ISO_E10value_typeEPSP_NS1_7vsmem_tEENKUlT_SN_SO_SP_E_clISG_PjSI_PS9_EESM_S12_SN_SO_SP_EUlS12_E1_NS1_11comp_targetILNS1_3genE9ELNS1_11target_archE1100ELNS1_3gpuE3ELNS1_3repE0EEENS1_36merge_oddeven_config_static_selectorELNS0_4arch9wavefront6targetE0EEEvSO_,comdat
	.protected	_ZN7rocprim17ROCPRIM_400000_NS6detail17trampoline_kernelINS0_14default_configENS1_38merge_sort_block_merge_config_selectorIjN6thrust23THRUST_200600_302600_NS5tupleIffNS6_9null_typeES8_S8_S8_S8_S8_S8_S8_EEEEZZNS1_27merge_sort_block_merge_implIS3_NS6_6detail15normal_iteratorINS6_10device_ptrIjEEEENSD_INSE_IS9_EEEEjNS1_19radix_merge_compareILb0ELb1EjNS0_19identity_decomposerEEEEE10hipError_tT0_T1_T2_jT3_P12ihipStream_tbPNSt15iterator_traitsISN_E10value_typeEPNST_ISO_E10value_typeEPSP_NS1_7vsmem_tEENKUlT_SN_SO_SP_E_clISG_PjSI_PS9_EESM_S12_SN_SO_SP_EUlS12_E1_NS1_11comp_targetILNS1_3genE9ELNS1_11target_archE1100ELNS1_3gpuE3ELNS1_3repE0EEENS1_36merge_oddeven_config_static_selectorELNS0_4arch9wavefront6targetE0EEEvSO_ ; -- Begin function _ZN7rocprim17ROCPRIM_400000_NS6detail17trampoline_kernelINS0_14default_configENS1_38merge_sort_block_merge_config_selectorIjN6thrust23THRUST_200600_302600_NS5tupleIffNS6_9null_typeES8_S8_S8_S8_S8_S8_S8_EEEEZZNS1_27merge_sort_block_merge_implIS3_NS6_6detail15normal_iteratorINS6_10device_ptrIjEEEENSD_INSE_IS9_EEEEjNS1_19radix_merge_compareILb0ELb1EjNS0_19identity_decomposerEEEEE10hipError_tT0_T1_T2_jT3_P12ihipStream_tbPNSt15iterator_traitsISN_E10value_typeEPNST_ISO_E10value_typeEPSP_NS1_7vsmem_tEENKUlT_SN_SO_SP_E_clISG_PjSI_PS9_EESM_S12_SN_SO_SP_EUlS12_E1_NS1_11comp_targetILNS1_3genE9ELNS1_11target_archE1100ELNS1_3gpuE3ELNS1_3repE0EEENS1_36merge_oddeven_config_static_selectorELNS0_4arch9wavefront6targetE0EEEvSO_
	.globl	_ZN7rocprim17ROCPRIM_400000_NS6detail17trampoline_kernelINS0_14default_configENS1_38merge_sort_block_merge_config_selectorIjN6thrust23THRUST_200600_302600_NS5tupleIffNS6_9null_typeES8_S8_S8_S8_S8_S8_S8_EEEEZZNS1_27merge_sort_block_merge_implIS3_NS6_6detail15normal_iteratorINS6_10device_ptrIjEEEENSD_INSE_IS9_EEEEjNS1_19radix_merge_compareILb0ELb1EjNS0_19identity_decomposerEEEEE10hipError_tT0_T1_T2_jT3_P12ihipStream_tbPNSt15iterator_traitsISN_E10value_typeEPNST_ISO_E10value_typeEPSP_NS1_7vsmem_tEENKUlT_SN_SO_SP_E_clISG_PjSI_PS9_EESM_S12_SN_SO_SP_EUlS12_E1_NS1_11comp_targetILNS1_3genE9ELNS1_11target_archE1100ELNS1_3gpuE3ELNS1_3repE0EEENS1_36merge_oddeven_config_static_selectorELNS0_4arch9wavefront6targetE0EEEvSO_
	.p2align	8
	.type	_ZN7rocprim17ROCPRIM_400000_NS6detail17trampoline_kernelINS0_14default_configENS1_38merge_sort_block_merge_config_selectorIjN6thrust23THRUST_200600_302600_NS5tupleIffNS6_9null_typeES8_S8_S8_S8_S8_S8_S8_EEEEZZNS1_27merge_sort_block_merge_implIS3_NS6_6detail15normal_iteratorINS6_10device_ptrIjEEEENSD_INSE_IS9_EEEEjNS1_19radix_merge_compareILb0ELb1EjNS0_19identity_decomposerEEEEE10hipError_tT0_T1_T2_jT3_P12ihipStream_tbPNSt15iterator_traitsISN_E10value_typeEPNST_ISO_E10value_typeEPSP_NS1_7vsmem_tEENKUlT_SN_SO_SP_E_clISG_PjSI_PS9_EESM_S12_SN_SO_SP_EUlS12_E1_NS1_11comp_targetILNS1_3genE9ELNS1_11target_archE1100ELNS1_3gpuE3ELNS1_3repE0EEENS1_36merge_oddeven_config_static_selectorELNS0_4arch9wavefront6targetE0EEEvSO_,@function
_ZN7rocprim17ROCPRIM_400000_NS6detail17trampoline_kernelINS0_14default_configENS1_38merge_sort_block_merge_config_selectorIjN6thrust23THRUST_200600_302600_NS5tupleIffNS6_9null_typeES8_S8_S8_S8_S8_S8_S8_EEEEZZNS1_27merge_sort_block_merge_implIS3_NS6_6detail15normal_iteratorINS6_10device_ptrIjEEEENSD_INSE_IS9_EEEEjNS1_19radix_merge_compareILb0ELb1EjNS0_19identity_decomposerEEEEE10hipError_tT0_T1_T2_jT3_P12ihipStream_tbPNSt15iterator_traitsISN_E10value_typeEPNST_ISO_E10value_typeEPSP_NS1_7vsmem_tEENKUlT_SN_SO_SP_E_clISG_PjSI_PS9_EESM_S12_SN_SO_SP_EUlS12_E1_NS1_11comp_targetILNS1_3genE9ELNS1_11target_archE1100ELNS1_3gpuE3ELNS1_3repE0EEENS1_36merge_oddeven_config_static_selectorELNS0_4arch9wavefront6targetE0EEEvSO_: ; @_ZN7rocprim17ROCPRIM_400000_NS6detail17trampoline_kernelINS0_14default_configENS1_38merge_sort_block_merge_config_selectorIjN6thrust23THRUST_200600_302600_NS5tupleIffNS6_9null_typeES8_S8_S8_S8_S8_S8_S8_EEEEZZNS1_27merge_sort_block_merge_implIS3_NS6_6detail15normal_iteratorINS6_10device_ptrIjEEEENSD_INSE_IS9_EEEEjNS1_19radix_merge_compareILb0ELb1EjNS0_19identity_decomposerEEEEE10hipError_tT0_T1_T2_jT3_P12ihipStream_tbPNSt15iterator_traitsISN_E10value_typeEPNST_ISO_E10value_typeEPSP_NS1_7vsmem_tEENKUlT_SN_SO_SP_E_clISG_PjSI_PS9_EESM_S12_SN_SO_SP_EUlS12_E1_NS1_11comp_targetILNS1_3genE9ELNS1_11target_archE1100ELNS1_3gpuE3ELNS1_3repE0EEENS1_36merge_oddeven_config_static_selectorELNS0_4arch9wavefront6targetE0EEEvSO_
; %bb.0:
	.section	.rodata,"a",@progbits
	.p2align	6, 0x0
	.amdhsa_kernel _ZN7rocprim17ROCPRIM_400000_NS6detail17trampoline_kernelINS0_14default_configENS1_38merge_sort_block_merge_config_selectorIjN6thrust23THRUST_200600_302600_NS5tupleIffNS6_9null_typeES8_S8_S8_S8_S8_S8_S8_EEEEZZNS1_27merge_sort_block_merge_implIS3_NS6_6detail15normal_iteratorINS6_10device_ptrIjEEEENSD_INSE_IS9_EEEEjNS1_19radix_merge_compareILb0ELb1EjNS0_19identity_decomposerEEEEE10hipError_tT0_T1_T2_jT3_P12ihipStream_tbPNSt15iterator_traitsISN_E10value_typeEPNST_ISO_E10value_typeEPSP_NS1_7vsmem_tEENKUlT_SN_SO_SP_E_clISG_PjSI_PS9_EESM_S12_SN_SO_SP_EUlS12_E1_NS1_11comp_targetILNS1_3genE9ELNS1_11target_archE1100ELNS1_3gpuE3ELNS1_3repE0EEENS1_36merge_oddeven_config_static_selectorELNS0_4arch9wavefront6targetE0EEEvSO_
		.amdhsa_group_segment_fixed_size 0
		.amdhsa_private_segment_fixed_size 0
		.amdhsa_kernarg_size 48
		.amdhsa_user_sgpr_count 6
		.amdhsa_user_sgpr_private_segment_buffer 1
		.amdhsa_user_sgpr_dispatch_ptr 0
		.amdhsa_user_sgpr_queue_ptr 0
		.amdhsa_user_sgpr_kernarg_segment_ptr 1
		.amdhsa_user_sgpr_dispatch_id 0
		.amdhsa_user_sgpr_flat_scratch_init 0
		.amdhsa_user_sgpr_private_segment_size 0
		.amdhsa_wavefront_size32 1
		.amdhsa_uses_dynamic_stack 0
		.amdhsa_system_sgpr_private_segment_wavefront_offset 0
		.amdhsa_system_sgpr_workgroup_id_x 1
		.amdhsa_system_sgpr_workgroup_id_y 0
		.amdhsa_system_sgpr_workgroup_id_z 0
		.amdhsa_system_sgpr_workgroup_info 0
		.amdhsa_system_vgpr_workitem_id 0
		.amdhsa_next_free_vgpr 1
		.amdhsa_next_free_sgpr 1
		.amdhsa_reserve_vcc 0
		.amdhsa_reserve_flat_scratch 0
		.amdhsa_float_round_mode_32 0
		.amdhsa_float_round_mode_16_64 0
		.amdhsa_float_denorm_mode_32 3
		.amdhsa_float_denorm_mode_16_64 3
		.amdhsa_dx10_clamp 1
		.amdhsa_ieee_mode 1
		.amdhsa_fp16_overflow 0
		.amdhsa_workgroup_processor_mode 1
		.amdhsa_memory_ordered 1
		.amdhsa_forward_progress 1
		.amdhsa_shared_vgpr_count 0
		.amdhsa_exception_fp_ieee_invalid_op 0
		.amdhsa_exception_fp_denorm_src 0
		.amdhsa_exception_fp_ieee_div_zero 0
		.amdhsa_exception_fp_ieee_overflow 0
		.amdhsa_exception_fp_ieee_underflow 0
		.amdhsa_exception_fp_ieee_inexact 0
		.amdhsa_exception_int_div_zero 0
	.end_amdhsa_kernel
	.section	.text._ZN7rocprim17ROCPRIM_400000_NS6detail17trampoline_kernelINS0_14default_configENS1_38merge_sort_block_merge_config_selectorIjN6thrust23THRUST_200600_302600_NS5tupleIffNS6_9null_typeES8_S8_S8_S8_S8_S8_S8_EEEEZZNS1_27merge_sort_block_merge_implIS3_NS6_6detail15normal_iteratorINS6_10device_ptrIjEEEENSD_INSE_IS9_EEEEjNS1_19radix_merge_compareILb0ELb1EjNS0_19identity_decomposerEEEEE10hipError_tT0_T1_T2_jT3_P12ihipStream_tbPNSt15iterator_traitsISN_E10value_typeEPNST_ISO_E10value_typeEPSP_NS1_7vsmem_tEENKUlT_SN_SO_SP_E_clISG_PjSI_PS9_EESM_S12_SN_SO_SP_EUlS12_E1_NS1_11comp_targetILNS1_3genE9ELNS1_11target_archE1100ELNS1_3gpuE3ELNS1_3repE0EEENS1_36merge_oddeven_config_static_selectorELNS0_4arch9wavefront6targetE0EEEvSO_,"axG",@progbits,_ZN7rocprim17ROCPRIM_400000_NS6detail17trampoline_kernelINS0_14default_configENS1_38merge_sort_block_merge_config_selectorIjN6thrust23THRUST_200600_302600_NS5tupleIffNS6_9null_typeES8_S8_S8_S8_S8_S8_S8_EEEEZZNS1_27merge_sort_block_merge_implIS3_NS6_6detail15normal_iteratorINS6_10device_ptrIjEEEENSD_INSE_IS9_EEEEjNS1_19radix_merge_compareILb0ELb1EjNS0_19identity_decomposerEEEEE10hipError_tT0_T1_T2_jT3_P12ihipStream_tbPNSt15iterator_traitsISN_E10value_typeEPNST_ISO_E10value_typeEPSP_NS1_7vsmem_tEENKUlT_SN_SO_SP_E_clISG_PjSI_PS9_EESM_S12_SN_SO_SP_EUlS12_E1_NS1_11comp_targetILNS1_3genE9ELNS1_11target_archE1100ELNS1_3gpuE3ELNS1_3repE0EEENS1_36merge_oddeven_config_static_selectorELNS0_4arch9wavefront6targetE0EEEvSO_,comdat
.Lfunc_end137:
	.size	_ZN7rocprim17ROCPRIM_400000_NS6detail17trampoline_kernelINS0_14default_configENS1_38merge_sort_block_merge_config_selectorIjN6thrust23THRUST_200600_302600_NS5tupleIffNS6_9null_typeES8_S8_S8_S8_S8_S8_S8_EEEEZZNS1_27merge_sort_block_merge_implIS3_NS6_6detail15normal_iteratorINS6_10device_ptrIjEEEENSD_INSE_IS9_EEEEjNS1_19radix_merge_compareILb0ELb1EjNS0_19identity_decomposerEEEEE10hipError_tT0_T1_T2_jT3_P12ihipStream_tbPNSt15iterator_traitsISN_E10value_typeEPNST_ISO_E10value_typeEPSP_NS1_7vsmem_tEENKUlT_SN_SO_SP_E_clISG_PjSI_PS9_EESM_S12_SN_SO_SP_EUlS12_E1_NS1_11comp_targetILNS1_3genE9ELNS1_11target_archE1100ELNS1_3gpuE3ELNS1_3repE0EEENS1_36merge_oddeven_config_static_selectorELNS0_4arch9wavefront6targetE0EEEvSO_, .Lfunc_end137-_ZN7rocprim17ROCPRIM_400000_NS6detail17trampoline_kernelINS0_14default_configENS1_38merge_sort_block_merge_config_selectorIjN6thrust23THRUST_200600_302600_NS5tupleIffNS6_9null_typeES8_S8_S8_S8_S8_S8_S8_EEEEZZNS1_27merge_sort_block_merge_implIS3_NS6_6detail15normal_iteratorINS6_10device_ptrIjEEEENSD_INSE_IS9_EEEEjNS1_19radix_merge_compareILb0ELb1EjNS0_19identity_decomposerEEEEE10hipError_tT0_T1_T2_jT3_P12ihipStream_tbPNSt15iterator_traitsISN_E10value_typeEPNST_ISO_E10value_typeEPSP_NS1_7vsmem_tEENKUlT_SN_SO_SP_E_clISG_PjSI_PS9_EESM_S12_SN_SO_SP_EUlS12_E1_NS1_11comp_targetILNS1_3genE9ELNS1_11target_archE1100ELNS1_3gpuE3ELNS1_3repE0EEENS1_36merge_oddeven_config_static_selectorELNS0_4arch9wavefront6targetE0EEEvSO_
                                        ; -- End function
	.set _ZN7rocprim17ROCPRIM_400000_NS6detail17trampoline_kernelINS0_14default_configENS1_38merge_sort_block_merge_config_selectorIjN6thrust23THRUST_200600_302600_NS5tupleIffNS6_9null_typeES8_S8_S8_S8_S8_S8_S8_EEEEZZNS1_27merge_sort_block_merge_implIS3_NS6_6detail15normal_iteratorINS6_10device_ptrIjEEEENSD_INSE_IS9_EEEEjNS1_19radix_merge_compareILb0ELb1EjNS0_19identity_decomposerEEEEE10hipError_tT0_T1_T2_jT3_P12ihipStream_tbPNSt15iterator_traitsISN_E10value_typeEPNST_ISO_E10value_typeEPSP_NS1_7vsmem_tEENKUlT_SN_SO_SP_E_clISG_PjSI_PS9_EESM_S12_SN_SO_SP_EUlS12_E1_NS1_11comp_targetILNS1_3genE9ELNS1_11target_archE1100ELNS1_3gpuE3ELNS1_3repE0EEENS1_36merge_oddeven_config_static_selectorELNS0_4arch9wavefront6targetE0EEEvSO_.num_vgpr, 0
	.set _ZN7rocprim17ROCPRIM_400000_NS6detail17trampoline_kernelINS0_14default_configENS1_38merge_sort_block_merge_config_selectorIjN6thrust23THRUST_200600_302600_NS5tupleIffNS6_9null_typeES8_S8_S8_S8_S8_S8_S8_EEEEZZNS1_27merge_sort_block_merge_implIS3_NS6_6detail15normal_iteratorINS6_10device_ptrIjEEEENSD_INSE_IS9_EEEEjNS1_19radix_merge_compareILb0ELb1EjNS0_19identity_decomposerEEEEE10hipError_tT0_T1_T2_jT3_P12ihipStream_tbPNSt15iterator_traitsISN_E10value_typeEPNST_ISO_E10value_typeEPSP_NS1_7vsmem_tEENKUlT_SN_SO_SP_E_clISG_PjSI_PS9_EESM_S12_SN_SO_SP_EUlS12_E1_NS1_11comp_targetILNS1_3genE9ELNS1_11target_archE1100ELNS1_3gpuE3ELNS1_3repE0EEENS1_36merge_oddeven_config_static_selectorELNS0_4arch9wavefront6targetE0EEEvSO_.num_agpr, 0
	.set _ZN7rocprim17ROCPRIM_400000_NS6detail17trampoline_kernelINS0_14default_configENS1_38merge_sort_block_merge_config_selectorIjN6thrust23THRUST_200600_302600_NS5tupleIffNS6_9null_typeES8_S8_S8_S8_S8_S8_S8_EEEEZZNS1_27merge_sort_block_merge_implIS3_NS6_6detail15normal_iteratorINS6_10device_ptrIjEEEENSD_INSE_IS9_EEEEjNS1_19radix_merge_compareILb0ELb1EjNS0_19identity_decomposerEEEEE10hipError_tT0_T1_T2_jT3_P12ihipStream_tbPNSt15iterator_traitsISN_E10value_typeEPNST_ISO_E10value_typeEPSP_NS1_7vsmem_tEENKUlT_SN_SO_SP_E_clISG_PjSI_PS9_EESM_S12_SN_SO_SP_EUlS12_E1_NS1_11comp_targetILNS1_3genE9ELNS1_11target_archE1100ELNS1_3gpuE3ELNS1_3repE0EEENS1_36merge_oddeven_config_static_selectorELNS0_4arch9wavefront6targetE0EEEvSO_.numbered_sgpr, 0
	.set _ZN7rocprim17ROCPRIM_400000_NS6detail17trampoline_kernelINS0_14default_configENS1_38merge_sort_block_merge_config_selectorIjN6thrust23THRUST_200600_302600_NS5tupleIffNS6_9null_typeES8_S8_S8_S8_S8_S8_S8_EEEEZZNS1_27merge_sort_block_merge_implIS3_NS6_6detail15normal_iteratorINS6_10device_ptrIjEEEENSD_INSE_IS9_EEEEjNS1_19radix_merge_compareILb0ELb1EjNS0_19identity_decomposerEEEEE10hipError_tT0_T1_T2_jT3_P12ihipStream_tbPNSt15iterator_traitsISN_E10value_typeEPNST_ISO_E10value_typeEPSP_NS1_7vsmem_tEENKUlT_SN_SO_SP_E_clISG_PjSI_PS9_EESM_S12_SN_SO_SP_EUlS12_E1_NS1_11comp_targetILNS1_3genE9ELNS1_11target_archE1100ELNS1_3gpuE3ELNS1_3repE0EEENS1_36merge_oddeven_config_static_selectorELNS0_4arch9wavefront6targetE0EEEvSO_.num_named_barrier, 0
	.set _ZN7rocprim17ROCPRIM_400000_NS6detail17trampoline_kernelINS0_14default_configENS1_38merge_sort_block_merge_config_selectorIjN6thrust23THRUST_200600_302600_NS5tupleIffNS6_9null_typeES8_S8_S8_S8_S8_S8_S8_EEEEZZNS1_27merge_sort_block_merge_implIS3_NS6_6detail15normal_iteratorINS6_10device_ptrIjEEEENSD_INSE_IS9_EEEEjNS1_19radix_merge_compareILb0ELb1EjNS0_19identity_decomposerEEEEE10hipError_tT0_T1_T2_jT3_P12ihipStream_tbPNSt15iterator_traitsISN_E10value_typeEPNST_ISO_E10value_typeEPSP_NS1_7vsmem_tEENKUlT_SN_SO_SP_E_clISG_PjSI_PS9_EESM_S12_SN_SO_SP_EUlS12_E1_NS1_11comp_targetILNS1_3genE9ELNS1_11target_archE1100ELNS1_3gpuE3ELNS1_3repE0EEENS1_36merge_oddeven_config_static_selectorELNS0_4arch9wavefront6targetE0EEEvSO_.private_seg_size, 0
	.set _ZN7rocprim17ROCPRIM_400000_NS6detail17trampoline_kernelINS0_14default_configENS1_38merge_sort_block_merge_config_selectorIjN6thrust23THRUST_200600_302600_NS5tupleIffNS6_9null_typeES8_S8_S8_S8_S8_S8_S8_EEEEZZNS1_27merge_sort_block_merge_implIS3_NS6_6detail15normal_iteratorINS6_10device_ptrIjEEEENSD_INSE_IS9_EEEEjNS1_19radix_merge_compareILb0ELb1EjNS0_19identity_decomposerEEEEE10hipError_tT0_T1_T2_jT3_P12ihipStream_tbPNSt15iterator_traitsISN_E10value_typeEPNST_ISO_E10value_typeEPSP_NS1_7vsmem_tEENKUlT_SN_SO_SP_E_clISG_PjSI_PS9_EESM_S12_SN_SO_SP_EUlS12_E1_NS1_11comp_targetILNS1_3genE9ELNS1_11target_archE1100ELNS1_3gpuE3ELNS1_3repE0EEENS1_36merge_oddeven_config_static_selectorELNS0_4arch9wavefront6targetE0EEEvSO_.uses_vcc, 0
	.set _ZN7rocprim17ROCPRIM_400000_NS6detail17trampoline_kernelINS0_14default_configENS1_38merge_sort_block_merge_config_selectorIjN6thrust23THRUST_200600_302600_NS5tupleIffNS6_9null_typeES8_S8_S8_S8_S8_S8_S8_EEEEZZNS1_27merge_sort_block_merge_implIS3_NS6_6detail15normal_iteratorINS6_10device_ptrIjEEEENSD_INSE_IS9_EEEEjNS1_19radix_merge_compareILb0ELb1EjNS0_19identity_decomposerEEEEE10hipError_tT0_T1_T2_jT3_P12ihipStream_tbPNSt15iterator_traitsISN_E10value_typeEPNST_ISO_E10value_typeEPSP_NS1_7vsmem_tEENKUlT_SN_SO_SP_E_clISG_PjSI_PS9_EESM_S12_SN_SO_SP_EUlS12_E1_NS1_11comp_targetILNS1_3genE9ELNS1_11target_archE1100ELNS1_3gpuE3ELNS1_3repE0EEENS1_36merge_oddeven_config_static_selectorELNS0_4arch9wavefront6targetE0EEEvSO_.uses_flat_scratch, 0
	.set _ZN7rocprim17ROCPRIM_400000_NS6detail17trampoline_kernelINS0_14default_configENS1_38merge_sort_block_merge_config_selectorIjN6thrust23THRUST_200600_302600_NS5tupleIffNS6_9null_typeES8_S8_S8_S8_S8_S8_S8_EEEEZZNS1_27merge_sort_block_merge_implIS3_NS6_6detail15normal_iteratorINS6_10device_ptrIjEEEENSD_INSE_IS9_EEEEjNS1_19radix_merge_compareILb0ELb1EjNS0_19identity_decomposerEEEEE10hipError_tT0_T1_T2_jT3_P12ihipStream_tbPNSt15iterator_traitsISN_E10value_typeEPNST_ISO_E10value_typeEPSP_NS1_7vsmem_tEENKUlT_SN_SO_SP_E_clISG_PjSI_PS9_EESM_S12_SN_SO_SP_EUlS12_E1_NS1_11comp_targetILNS1_3genE9ELNS1_11target_archE1100ELNS1_3gpuE3ELNS1_3repE0EEENS1_36merge_oddeven_config_static_selectorELNS0_4arch9wavefront6targetE0EEEvSO_.has_dyn_sized_stack, 0
	.set _ZN7rocprim17ROCPRIM_400000_NS6detail17trampoline_kernelINS0_14default_configENS1_38merge_sort_block_merge_config_selectorIjN6thrust23THRUST_200600_302600_NS5tupleIffNS6_9null_typeES8_S8_S8_S8_S8_S8_S8_EEEEZZNS1_27merge_sort_block_merge_implIS3_NS6_6detail15normal_iteratorINS6_10device_ptrIjEEEENSD_INSE_IS9_EEEEjNS1_19radix_merge_compareILb0ELb1EjNS0_19identity_decomposerEEEEE10hipError_tT0_T1_T2_jT3_P12ihipStream_tbPNSt15iterator_traitsISN_E10value_typeEPNST_ISO_E10value_typeEPSP_NS1_7vsmem_tEENKUlT_SN_SO_SP_E_clISG_PjSI_PS9_EESM_S12_SN_SO_SP_EUlS12_E1_NS1_11comp_targetILNS1_3genE9ELNS1_11target_archE1100ELNS1_3gpuE3ELNS1_3repE0EEENS1_36merge_oddeven_config_static_selectorELNS0_4arch9wavefront6targetE0EEEvSO_.has_recursion, 0
	.set _ZN7rocprim17ROCPRIM_400000_NS6detail17trampoline_kernelINS0_14default_configENS1_38merge_sort_block_merge_config_selectorIjN6thrust23THRUST_200600_302600_NS5tupleIffNS6_9null_typeES8_S8_S8_S8_S8_S8_S8_EEEEZZNS1_27merge_sort_block_merge_implIS3_NS6_6detail15normal_iteratorINS6_10device_ptrIjEEEENSD_INSE_IS9_EEEEjNS1_19radix_merge_compareILb0ELb1EjNS0_19identity_decomposerEEEEE10hipError_tT0_T1_T2_jT3_P12ihipStream_tbPNSt15iterator_traitsISN_E10value_typeEPNST_ISO_E10value_typeEPSP_NS1_7vsmem_tEENKUlT_SN_SO_SP_E_clISG_PjSI_PS9_EESM_S12_SN_SO_SP_EUlS12_E1_NS1_11comp_targetILNS1_3genE9ELNS1_11target_archE1100ELNS1_3gpuE3ELNS1_3repE0EEENS1_36merge_oddeven_config_static_selectorELNS0_4arch9wavefront6targetE0EEEvSO_.has_indirect_call, 0
	.section	.AMDGPU.csdata,"",@progbits
; Kernel info:
; codeLenInByte = 0
; TotalNumSgprs: 0
; NumVgprs: 0
; ScratchSize: 0
; MemoryBound: 0
; FloatMode: 240
; IeeeMode: 1
; LDSByteSize: 0 bytes/workgroup (compile time only)
; SGPRBlocks: 0
; VGPRBlocks: 0
; NumSGPRsForWavesPerEU: 1
; NumVGPRsForWavesPerEU: 1
; Occupancy: 16
; WaveLimiterHint : 0
; COMPUTE_PGM_RSRC2:SCRATCH_EN: 0
; COMPUTE_PGM_RSRC2:USER_SGPR: 6
; COMPUTE_PGM_RSRC2:TRAP_HANDLER: 0
; COMPUTE_PGM_RSRC2:TGID_X_EN: 1
; COMPUTE_PGM_RSRC2:TGID_Y_EN: 0
; COMPUTE_PGM_RSRC2:TGID_Z_EN: 0
; COMPUTE_PGM_RSRC2:TIDIG_COMP_CNT: 0
	.section	.text._ZN7rocprim17ROCPRIM_400000_NS6detail17trampoline_kernelINS0_14default_configENS1_38merge_sort_block_merge_config_selectorIjN6thrust23THRUST_200600_302600_NS5tupleIffNS6_9null_typeES8_S8_S8_S8_S8_S8_S8_EEEEZZNS1_27merge_sort_block_merge_implIS3_NS6_6detail15normal_iteratorINS6_10device_ptrIjEEEENSD_INSE_IS9_EEEEjNS1_19radix_merge_compareILb0ELb1EjNS0_19identity_decomposerEEEEE10hipError_tT0_T1_T2_jT3_P12ihipStream_tbPNSt15iterator_traitsISN_E10value_typeEPNST_ISO_E10value_typeEPSP_NS1_7vsmem_tEENKUlT_SN_SO_SP_E_clISG_PjSI_PS9_EESM_S12_SN_SO_SP_EUlS12_E1_NS1_11comp_targetILNS1_3genE8ELNS1_11target_archE1030ELNS1_3gpuE2ELNS1_3repE0EEENS1_36merge_oddeven_config_static_selectorELNS0_4arch9wavefront6targetE0EEEvSO_,"axG",@progbits,_ZN7rocprim17ROCPRIM_400000_NS6detail17trampoline_kernelINS0_14default_configENS1_38merge_sort_block_merge_config_selectorIjN6thrust23THRUST_200600_302600_NS5tupleIffNS6_9null_typeES8_S8_S8_S8_S8_S8_S8_EEEEZZNS1_27merge_sort_block_merge_implIS3_NS6_6detail15normal_iteratorINS6_10device_ptrIjEEEENSD_INSE_IS9_EEEEjNS1_19radix_merge_compareILb0ELb1EjNS0_19identity_decomposerEEEEE10hipError_tT0_T1_T2_jT3_P12ihipStream_tbPNSt15iterator_traitsISN_E10value_typeEPNST_ISO_E10value_typeEPSP_NS1_7vsmem_tEENKUlT_SN_SO_SP_E_clISG_PjSI_PS9_EESM_S12_SN_SO_SP_EUlS12_E1_NS1_11comp_targetILNS1_3genE8ELNS1_11target_archE1030ELNS1_3gpuE2ELNS1_3repE0EEENS1_36merge_oddeven_config_static_selectorELNS0_4arch9wavefront6targetE0EEEvSO_,comdat
	.protected	_ZN7rocprim17ROCPRIM_400000_NS6detail17trampoline_kernelINS0_14default_configENS1_38merge_sort_block_merge_config_selectorIjN6thrust23THRUST_200600_302600_NS5tupleIffNS6_9null_typeES8_S8_S8_S8_S8_S8_S8_EEEEZZNS1_27merge_sort_block_merge_implIS3_NS6_6detail15normal_iteratorINS6_10device_ptrIjEEEENSD_INSE_IS9_EEEEjNS1_19radix_merge_compareILb0ELb1EjNS0_19identity_decomposerEEEEE10hipError_tT0_T1_T2_jT3_P12ihipStream_tbPNSt15iterator_traitsISN_E10value_typeEPNST_ISO_E10value_typeEPSP_NS1_7vsmem_tEENKUlT_SN_SO_SP_E_clISG_PjSI_PS9_EESM_S12_SN_SO_SP_EUlS12_E1_NS1_11comp_targetILNS1_3genE8ELNS1_11target_archE1030ELNS1_3gpuE2ELNS1_3repE0EEENS1_36merge_oddeven_config_static_selectorELNS0_4arch9wavefront6targetE0EEEvSO_ ; -- Begin function _ZN7rocprim17ROCPRIM_400000_NS6detail17trampoline_kernelINS0_14default_configENS1_38merge_sort_block_merge_config_selectorIjN6thrust23THRUST_200600_302600_NS5tupleIffNS6_9null_typeES8_S8_S8_S8_S8_S8_S8_EEEEZZNS1_27merge_sort_block_merge_implIS3_NS6_6detail15normal_iteratorINS6_10device_ptrIjEEEENSD_INSE_IS9_EEEEjNS1_19radix_merge_compareILb0ELb1EjNS0_19identity_decomposerEEEEE10hipError_tT0_T1_T2_jT3_P12ihipStream_tbPNSt15iterator_traitsISN_E10value_typeEPNST_ISO_E10value_typeEPSP_NS1_7vsmem_tEENKUlT_SN_SO_SP_E_clISG_PjSI_PS9_EESM_S12_SN_SO_SP_EUlS12_E1_NS1_11comp_targetILNS1_3genE8ELNS1_11target_archE1030ELNS1_3gpuE2ELNS1_3repE0EEENS1_36merge_oddeven_config_static_selectorELNS0_4arch9wavefront6targetE0EEEvSO_
	.globl	_ZN7rocprim17ROCPRIM_400000_NS6detail17trampoline_kernelINS0_14default_configENS1_38merge_sort_block_merge_config_selectorIjN6thrust23THRUST_200600_302600_NS5tupleIffNS6_9null_typeES8_S8_S8_S8_S8_S8_S8_EEEEZZNS1_27merge_sort_block_merge_implIS3_NS6_6detail15normal_iteratorINS6_10device_ptrIjEEEENSD_INSE_IS9_EEEEjNS1_19radix_merge_compareILb0ELb1EjNS0_19identity_decomposerEEEEE10hipError_tT0_T1_T2_jT3_P12ihipStream_tbPNSt15iterator_traitsISN_E10value_typeEPNST_ISO_E10value_typeEPSP_NS1_7vsmem_tEENKUlT_SN_SO_SP_E_clISG_PjSI_PS9_EESM_S12_SN_SO_SP_EUlS12_E1_NS1_11comp_targetILNS1_3genE8ELNS1_11target_archE1030ELNS1_3gpuE2ELNS1_3repE0EEENS1_36merge_oddeven_config_static_selectorELNS0_4arch9wavefront6targetE0EEEvSO_
	.p2align	8
	.type	_ZN7rocprim17ROCPRIM_400000_NS6detail17trampoline_kernelINS0_14default_configENS1_38merge_sort_block_merge_config_selectorIjN6thrust23THRUST_200600_302600_NS5tupleIffNS6_9null_typeES8_S8_S8_S8_S8_S8_S8_EEEEZZNS1_27merge_sort_block_merge_implIS3_NS6_6detail15normal_iteratorINS6_10device_ptrIjEEEENSD_INSE_IS9_EEEEjNS1_19radix_merge_compareILb0ELb1EjNS0_19identity_decomposerEEEEE10hipError_tT0_T1_T2_jT3_P12ihipStream_tbPNSt15iterator_traitsISN_E10value_typeEPNST_ISO_E10value_typeEPSP_NS1_7vsmem_tEENKUlT_SN_SO_SP_E_clISG_PjSI_PS9_EESM_S12_SN_SO_SP_EUlS12_E1_NS1_11comp_targetILNS1_3genE8ELNS1_11target_archE1030ELNS1_3gpuE2ELNS1_3repE0EEENS1_36merge_oddeven_config_static_selectorELNS0_4arch9wavefront6targetE0EEEvSO_,@function
_ZN7rocprim17ROCPRIM_400000_NS6detail17trampoline_kernelINS0_14default_configENS1_38merge_sort_block_merge_config_selectorIjN6thrust23THRUST_200600_302600_NS5tupleIffNS6_9null_typeES8_S8_S8_S8_S8_S8_S8_EEEEZZNS1_27merge_sort_block_merge_implIS3_NS6_6detail15normal_iteratorINS6_10device_ptrIjEEEENSD_INSE_IS9_EEEEjNS1_19radix_merge_compareILb0ELb1EjNS0_19identity_decomposerEEEEE10hipError_tT0_T1_T2_jT3_P12ihipStream_tbPNSt15iterator_traitsISN_E10value_typeEPNST_ISO_E10value_typeEPSP_NS1_7vsmem_tEENKUlT_SN_SO_SP_E_clISG_PjSI_PS9_EESM_S12_SN_SO_SP_EUlS12_E1_NS1_11comp_targetILNS1_3genE8ELNS1_11target_archE1030ELNS1_3gpuE2ELNS1_3repE0EEENS1_36merge_oddeven_config_static_selectorELNS0_4arch9wavefront6targetE0EEEvSO_: ; @_ZN7rocprim17ROCPRIM_400000_NS6detail17trampoline_kernelINS0_14default_configENS1_38merge_sort_block_merge_config_selectorIjN6thrust23THRUST_200600_302600_NS5tupleIffNS6_9null_typeES8_S8_S8_S8_S8_S8_S8_EEEEZZNS1_27merge_sort_block_merge_implIS3_NS6_6detail15normal_iteratorINS6_10device_ptrIjEEEENSD_INSE_IS9_EEEEjNS1_19radix_merge_compareILb0ELb1EjNS0_19identity_decomposerEEEEE10hipError_tT0_T1_T2_jT3_P12ihipStream_tbPNSt15iterator_traitsISN_E10value_typeEPNST_ISO_E10value_typeEPSP_NS1_7vsmem_tEENKUlT_SN_SO_SP_E_clISG_PjSI_PS9_EESM_S12_SN_SO_SP_EUlS12_E1_NS1_11comp_targetILNS1_3genE8ELNS1_11target_archE1030ELNS1_3gpuE2ELNS1_3repE0EEENS1_36merge_oddeven_config_static_selectorELNS0_4arch9wavefront6targetE0EEEvSO_
; %bb.0:
	s_load_dword s7, s[4:5], 0x20
	s_lshl_b32 s2, s6, 8
	s_waitcnt lgkmcnt(0)
	s_lshr_b32 s0, s7, 8
	s_cmp_eq_u32 s6, s0
	s_cselect_b32 s16, -1, 0
	s_cmp_lg_u32 s6, s0
	s_cselect_b32 s0, -1, 0
	s_sub_i32 s1, s7, s2
	v_cmp_gt_u32_e64 s1, s1, v0
	s_or_b32 s0, s0, s1
	s_and_saveexec_b32 s3, s0
	s_cbranch_execz .LBB138_24
; %bb.1:
	s_load_dwordx8 s[8:15], s[4:5], 0x0
	s_mov_b32 s3, 0
	v_lshlrev_b32_e32 v1, 2, v0
	s_lshl_b64 s[18:19], s[2:3], 2
	v_lshlrev_b32_e32 v2, 3, v0
	v_add_nc_u32_e32 v3, s2, v0
	s_waitcnt lgkmcnt(0)
	s_add_u32 s18, s8, s18
	s_addc_u32 s19, s9, s19
	s_lshl_b64 s[20:21], s[2:3], 3
	s_mov_b32 s2, -1
	s_add_u32 s12, s12, s20
	s_addc_u32 s13, s13, s21
	global_load_dword v5, v1, s[18:19]
	global_load_dwordx2 v[1:2], v2, s[12:13]
	s_load_dword s12, s[4:5], 0x24
	s_waitcnt lgkmcnt(0)
	s_lshr_b32 s0, s12, 8
	s_sub_i32 s3, 0, s0
	s_and_b32 s3, s6, s3
	s_and_b32 s0, s3, s0
	s_lshl_b32 s6, s3, 8
	s_sub_i32 s3, 0, s12
	s_cmp_eq_u32 s0, 0
	s_cselect_b32 s0, -1, 0
	s_and_b32 s13, s0, exec_lo
	s_cselect_b32 s3, s12, s3
	s_add_i32 s3, s3, s6
	s_cmp_gt_u32 s7, s3
	s_cbranch_scc1 .LBB138_9
; %bb.2:
	s_and_b32 vcc_lo, exec_lo, s16
	s_cbranch_vccz .LBB138_6
; %bb.3:
	s_mov_b32 s2, exec_lo
	v_cmpx_gt_u32_e64 s7, v3
	s_cbranch_execz .LBB138_5
; %bb.4:
	v_mov_b32_e32 v4, 0
	v_lshlrev_b64 v[6:7], 2, v[3:4]
	v_lshlrev_b64 v[8:9], 3, v[3:4]
	v_add_co_u32 v6, vcc_lo, s10, v6
	v_add_co_ci_u32_e64 v7, null, s11, v7, vcc_lo
	v_add_co_u32 v8, vcc_lo, s14, v8
	v_add_co_ci_u32_e64 v9, null, s15, v9, vcc_lo
	s_waitcnt vmcnt(1)
	global_store_dword v[6:7], v5, off
	s_waitcnt vmcnt(0)
	global_store_dwordx2 v[8:9], v[1:2], off
.LBB138_5:
	s_or_b32 exec_lo, exec_lo, s2
	s_mov_b32 s2, 0
.LBB138_6:
	s_andn2_b32 vcc_lo, exec_lo, s2
	s_cbranch_vccnz .LBB138_8
; %bb.7:
	v_mov_b32_e32 v4, 0
	v_lshlrev_b64 v[6:7], 2, v[3:4]
	v_lshlrev_b64 v[8:9], 3, v[3:4]
	v_add_co_u32 v6, vcc_lo, s10, v6
	v_add_co_ci_u32_e64 v7, null, s11, v7, vcc_lo
	v_add_co_u32 v8, vcc_lo, s14, v8
	v_add_co_ci_u32_e64 v9, null, s15, v9, vcc_lo
	s_waitcnt vmcnt(1)
	global_store_dword v[6:7], v5, off
	s_waitcnt vmcnt(0)
	global_store_dwordx2 v[8:9], v[1:2], off
.LBB138_8:
	s_mov_b32 s2, 0
.LBB138_9:
	s_andn2_b32 vcc_lo, exec_lo, s2
	s_cbranch_vccnz .LBB138_24
; %bb.10:
	s_load_dword s2, s[4:5], 0x28
	s_min_u32 s4, s3, s7
	s_and_b32 vcc_lo, exec_lo, s16
	s_add_i32 s5, s6, s4
	s_min_u32 s6, s6, s4
	v_subrev_nc_u32_e32 v0, s5, v3
	s_add_i32 s5, s4, s12
	s_min_u32 s5, s5, s7
	v_add_nc_u32_e32 v0, s6, v0
	s_mov_b32 s6, -1
	s_waitcnt vmcnt(1) lgkmcnt(0)
	v_and_b32_e32 v6, s2, v5
	s_cbranch_vccz .LBB138_18
; %bb.11:
	s_and_saveexec_b32 s6, s1
	s_cbranch_execz .LBB138_17
; %bb.12:
	v_mov_b32_e32 v7, s4
	s_cmp_ge_u32 s3, s5
	s_cbranch_scc1 .LBB138_16
; %bb.13:
	v_mov_b32_e32 v8, s5
	v_mov_b32_e32 v7, s4
	;; [unrolled: 1-line block ×3, first 2 shown]
	s_mov_b32 s1, 0
	.p2align	6
.LBB138_14:                             ; =>This Inner Loop Header: Depth=1
	v_add_nc_u32_e32 v3, v7, v8
	v_lshrrev_b32_e32 v3, 1, v3
	v_lshlrev_b64 v[9:10], 2, v[3:4]
	v_add_co_u32 v9, vcc_lo, s8, v9
	v_add_co_ci_u32_e64 v10, null, s9, v10, vcc_lo
	global_load_dword v9, v[9:10], off
	s_waitcnt vmcnt(0)
	v_and_b32_e32 v9, s2, v9
	v_cmp_gt_u32_e32 vcc_lo, v6, v9
	v_cndmask_b32_e64 v10, 0, 1, vcc_lo
	v_cmp_le_u32_e32 vcc_lo, v9, v6
	v_cndmask_b32_e64 v9, 0, 1, vcc_lo
	v_cndmask_b32_e64 v9, v9, v10, s0
	v_add_nc_u32_e32 v10, 1, v3
	v_and_b32_e32 v9, 1, v9
	v_cmp_eq_u32_e32 vcc_lo, 1, v9
	v_cndmask_b32_e32 v8, v3, v8, vcc_lo
	v_cndmask_b32_e32 v7, v7, v10, vcc_lo
	v_cmp_ge_u32_e32 vcc_lo, v7, v8
	s_or_b32 s1, vcc_lo, s1
	s_andn2_b32 exec_lo, exec_lo, s1
	s_cbranch_execnz .LBB138_14
; %bb.15:
	s_or_b32 exec_lo, exec_lo, s1
.LBB138_16:
	v_add_nc_u32_e32 v3, v7, v0
	v_mov_b32_e32 v4, 0
	v_lshlrev_b64 v[7:8], 2, v[3:4]
	v_lshlrev_b64 v[3:4], 3, v[3:4]
	v_add_co_u32 v7, vcc_lo, s10, v7
	v_add_co_ci_u32_e64 v8, null, s11, v8, vcc_lo
	v_add_co_u32 v3, vcc_lo, s14, v3
	v_add_co_ci_u32_e64 v4, null, s15, v4, vcc_lo
	global_store_dword v[7:8], v5, off
	s_waitcnt vmcnt(0)
	global_store_dwordx2 v[3:4], v[1:2], off
.LBB138_17:
	s_or_b32 exec_lo, exec_lo, s6
	s_mov_b32 s6, 0
.LBB138_18:
	s_andn2_b32 vcc_lo, exec_lo, s6
	s_cbranch_vccnz .LBB138_24
; %bb.19:
	v_mov_b32_e32 v7, s4
	s_cmp_ge_u32 s3, s5
	s_cbranch_scc1 .LBB138_23
; %bb.20:
	v_mov_b32_e32 v8, s5
	v_mov_b32_e32 v7, s4
	;; [unrolled: 1-line block ×3, first 2 shown]
	s_mov_b32 s1, 0
	.p2align	6
.LBB138_21:                             ; =>This Inner Loop Header: Depth=1
	v_add_nc_u32_e32 v3, v7, v8
	v_lshrrev_b32_e32 v3, 1, v3
	v_lshlrev_b64 v[9:10], 2, v[3:4]
	v_add_co_u32 v9, vcc_lo, s8, v9
	v_add_co_ci_u32_e64 v10, null, s9, v10, vcc_lo
	global_load_dword v9, v[9:10], off
	s_waitcnt vmcnt(0)
	v_and_b32_e32 v9, s2, v9
	v_cmp_gt_u32_e32 vcc_lo, v6, v9
	v_cndmask_b32_e64 v10, 0, 1, vcc_lo
	v_cmp_le_u32_e32 vcc_lo, v9, v6
	v_cndmask_b32_e64 v9, 0, 1, vcc_lo
	v_cndmask_b32_e64 v9, v9, v10, s0
	v_add_nc_u32_e32 v10, 1, v3
	v_and_b32_e32 v9, 1, v9
	v_cmp_eq_u32_e32 vcc_lo, 1, v9
	v_cndmask_b32_e32 v8, v3, v8, vcc_lo
	v_cndmask_b32_e32 v7, v7, v10, vcc_lo
	v_cmp_ge_u32_e32 vcc_lo, v7, v8
	s_or_b32 s1, vcc_lo, s1
	s_andn2_b32 exec_lo, exec_lo, s1
	s_cbranch_execnz .LBB138_21
; %bb.22:
	s_or_b32 exec_lo, exec_lo, s1
.LBB138_23:
	v_add_nc_u32_e32 v3, v7, v0
	v_mov_b32_e32 v4, 0
	v_lshlrev_b64 v[6:7], 2, v[3:4]
	v_lshlrev_b64 v[3:4], 3, v[3:4]
	v_add_co_u32 v6, vcc_lo, s10, v6
	v_add_co_ci_u32_e64 v7, null, s11, v7, vcc_lo
	v_add_co_u32 v3, vcc_lo, s14, v3
	v_add_co_ci_u32_e64 v4, null, s15, v4, vcc_lo
	global_store_dword v[6:7], v5, off
	s_waitcnt vmcnt(0)
	global_store_dwordx2 v[3:4], v[1:2], off
.LBB138_24:
	s_endpgm
	.section	.rodata,"a",@progbits
	.p2align	6, 0x0
	.amdhsa_kernel _ZN7rocprim17ROCPRIM_400000_NS6detail17trampoline_kernelINS0_14default_configENS1_38merge_sort_block_merge_config_selectorIjN6thrust23THRUST_200600_302600_NS5tupleIffNS6_9null_typeES8_S8_S8_S8_S8_S8_S8_EEEEZZNS1_27merge_sort_block_merge_implIS3_NS6_6detail15normal_iteratorINS6_10device_ptrIjEEEENSD_INSE_IS9_EEEEjNS1_19radix_merge_compareILb0ELb1EjNS0_19identity_decomposerEEEEE10hipError_tT0_T1_T2_jT3_P12ihipStream_tbPNSt15iterator_traitsISN_E10value_typeEPNST_ISO_E10value_typeEPSP_NS1_7vsmem_tEENKUlT_SN_SO_SP_E_clISG_PjSI_PS9_EESM_S12_SN_SO_SP_EUlS12_E1_NS1_11comp_targetILNS1_3genE8ELNS1_11target_archE1030ELNS1_3gpuE2ELNS1_3repE0EEENS1_36merge_oddeven_config_static_selectorELNS0_4arch9wavefront6targetE0EEEvSO_
		.amdhsa_group_segment_fixed_size 0
		.amdhsa_private_segment_fixed_size 0
		.amdhsa_kernarg_size 48
		.amdhsa_user_sgpr_count 6
		.amdhsa_user_sgpr_private_segment_buffer 1
		.amdhsa_user_sgpr_dispatch_ptr 0
		.amdhsa_user_sgpr_queue_ptr 0
		.amdhsa_user_sgpr_kernarg_segment_ptr 1
		.amdhsa_user_sgpr_dispatch_id 0
		.amdhsa_user_sgpr_flat_scratch_init 0
		.amdhsa_user_sgpr_private_segment_size 0
		.amdhsa_wavefront_size32 1
		.amdhsa_uses_dynamic_stack 0
		.amdhsa_system_sgpr_private_segment_wavefront_offset 0
		.amdhsa_system_sgpr_workgroup_id_x 1
		.amdhsa_system_sgpr_workgroup_id_y 0
		.amdhsa_system_sgpr_workgroup_id_z 0
		.amdhsa_system_sgpr_workgroup_info 0
		.amdhsa_system_vgpr_workitem_id 0
		.amdhsa_next_free_vgpr 11
		.amdhsa_next_free_sgpr 22
		.amdhsa_reserve_vcc 1
		.amdhsa_reserve_flat_scratch 0
		.amdhsa_float_round_mode_32 0
		.amdhsa_float_round_mode_16_64 0
		.amdhsa_float_denorm_mode_32 3
		.amdhsa_float_denorm_mode_16_64 3
		.amdhsa_dx10_clamp 1
		.amdhsa_ieee_mode 1
		.amdhsa_fp16_overflow 0
		.amdhsa_workgroup_processor_mode 1
		.amdhsa_memory_ordered 1
		.amdhsa_forward_progress 1
		.amdhsa_shared_vgpr_count 0
		.amdhsa_exception_fp_ieee_invalid_op 0
		.amdhsa_exception_fp_denorm_src 0
		.amdhsa_exception_fp_ieee_div_zero 0
		.amdhsa_exception_fp_ieee_overflow 0
		.amdhsa_exception_fp_ieee_underflow 0
		.amdhsa_exception_fp_ieee_inexact 0
		.amdhsa_exception_int_div_zero 0
	.end_amdhsa_kernel
	.section	.text._ZN7rocprim17ROCPRIM_400000_NS6detail17trampoline_kernelINS0_14default_configENS1_38merge_sort_block_merge_config_selectorIjN6thrust23THRUST_200600_302600_NS5tupleIffNS6_9null_typeES8_S8_S8_S8_S8_S8_S8_EEEEZZNS1_27merge_sort_block_merge_implIS3_NS6_6detail15normal_iteratorINS6_10device_ptrIjEEEENSD_INSE_IS9_EEEEjNS1_19radix_merge_compareILb0ELb1EjNS0_19identity_decomposerEEEEE10hipError_tT0_T1_T2_jT3_P12ihipStream_tbPNSt15iterator_traitsISN_E10value_typeEPNST_ISO_E10value_typeEPSP_NS1_7vsmem_tEENKUlT_SN_SO_SP_E_clISG_PjSI_PS9_EESM_S12_SN_SO_SP_EUlS12_E1_NS1_11comp_targetILNS1_3genE8ELNS1_11target_archE1030ELNS1_3gpuE2ELNS1_3repE0EEENS1_36merge_oddeven_config_static_selectorELNS0_4arch9wavefront6targetE0EEEvSO_,"axG",@progbits,_ZN7rocprim17ROCPRIM_400000_NS6detail17trampoline_kernelINS0_14default_configENS1_38merge_sort_block_merge_config_selectorIjN6thrust23THRUST_200600_302600_NS5tupleIffNS6_9null_typeES8_S8_S8_S8_S8_S8_S8_EEEEZZNS1_27merge_sort_block_merge_implIS3_NS6_6detail15normal_iteratorINS6_10device_ptrIjEEEENSD_INSE_IS9_EEEEjNS1_19radix_merge_compareILb0ELb1EjNS0_19identity_decomposerEEEEE10hipError_tT0_T1_T2_jT3_P12ihipStream_tbPNSt15iterator_traitsISN_E10value_typeEPNST_ISO_E10value_typeEPSP_NS1_7vsmem_tEENKUlT_SN_SO_SP_E_clISG_PjSI_PS9_EESM_S12_SN_SO_SP_EUlS12_E1_NS1_11comp_targetILNS1_3genE8ELNS1_11target_archE1030ELNS1_3gpuE2ELNS1_3repE0EEENS1_36merge_oddeven_config_static_selectorELNS0_4arch9wavefront6targetE0EEEvSO_,comdat
.Lfunc_end138:
	.size	_ZN7rocprim17ROCPRIM_400000_NS6detail17trampoline_kernelINS0_14default_configENS1_38merge_sort_block_merge_config_selectorIjN6thrust23THRUST_200600_302600_NS5tupleIffNS6_9null_typeES8_S8_S8_S8_S8_S8_S8_EEEEZZNS1_27merge_sort_block_merge_implIS3_NS6_6detail15normal_iteratorINS6_10device_ptrIjEEEENSD_INSE_IS9_EEEEjNS1_19radix_merge_compareILb0ELb1EjNS0_19identity_decomposerEEEEE10hipError_tT0_T1_T2_jT3_P12ihipStream_tbPNSt15iterator_traitsISN_E10value_typeEPNST_ISO_E10value_typeEPSP_NS1_7vsmem_tEENKUlT_SN_SO_SP_E_clISG_PjSI_PS9_EESM_S12_SN_SO_SP_EUlS12_E1_NS1_11comp_targetILNS1_3genE8ELNS1_11target_archE1030ELNS1_3gpuE2ELNS1_3repE0EEENS1_36merge_oddeven_config_static_selectorELNS0_4arch9wavefront6targetE0EEEvSO_, .Lfunc_end138-_ZN7rocprim17ROCPRIM_400000_NS6detail17trampoline_kernelINS0_14default_configENS1_38merge_sort_block_merge_config_selectorIjN6thrust23THRUST_200600_302600_NS5tupleIffNS6_9null_typeES8_S8_S8_S8_S8_S8_S8_EEEEZZNS1_27merge_sort_block_merge_implIS3_NS6_6detail15normal_iteratorINS6_10device_ptrIjEEEENSD_INSE_IS9_EEEEjNS1_19radix_merge_compareILb0ELb1EjNS0_19identity_decomposerEEEEE10hipError_tT0_T1_T2_jT3_P12ihipStream_tbPNSt15iterator_traitsISN_E10value_typeEPNST_ISO_E10value_typeEPSP_NS1_7vsmem_tEENKUlT_SN_SO_SP_E_clISG_PjSI_PS9_EESM_S12_SN_SO_SP_EUlS12_E1_NS1_11comp_targetILNS1_3genE8ELNS1_11target_archE1030ELNS1_3gpuE2ELNS1_3repE0EEENS1_36merge_oddeven_config_static_selectorELNS0_4arch9wavefront6targetE0EEEvSO_
                                        ; -- End function
	.set _ZN7rocprim17ROCPRIM_400000_NS6detail17trampoline_kernelINS0_14default_configENS1_38merge_sort_block_merge_config_selectorIjN6thrust23THRUST_200600_302600_NS5tupleIffNS6_9null_typeES8_S8_S8_S8_S8_S8_S8_EEEEZZNS1_27merge_sort_block_merge_implIS3_NS6_6detail15normal_iteratorINS6_10device_ptrIjEEEENSD_INSE_IS9_EEEEjNS1_19radix_merge_compareILb0ELb1EjNS0_19identity_decomposerEEEEE10hipError_tT0_T1_T2_jT3_P12ihipStream_tbPNSt15iterator_traitsISN_E10value_typeEPNST_ISO_E10value_typeEPSP_NS1_7vsmem_tEENKUlT_SN_SO_SP_E_clISG_PjSI_PS9_EESM_S12_SN_SO_SP_EUlS12_E1_NS1_11comp_targetILNS1_3genE8ELNS1_11target_archE1030ELNS1_3gpuE2ELNS1_3repE0EEENS1_36merge_oddeven_config_static_selectorELNS0_4arch9wavefront6targetE0EEEvSO_.num_vgpr, 11
	.set _ZN7rocprim17ROCPRIM_400000_NS6detail17trampoline_kernelINS0_14default_configENS1_38merge_sort_block_merge_config_selectorIjN6thrust23THRUST_200600_302600_NS5tupleIffNS6_9null_typeES8_S8_S8_S8_S8_S8_S8_EEEEZZNS1_27merge_sort_block_merge_implIS3_NS6_6detail15normal_iteratorINS6_10device_ptrIjEEEENSD_INSE_IS9_EEEEjNS1_19radix_merge_compareILb0ELb1EjNS0_19identity_decomposerEEEEE10hipError_tT0_T1_T2_jT3_P12ihipStream_tbPNSt15iterator_traitsISN_E10value_typeEPNST_ISO_E10value_typeEPSP_NS1_7vsmem_tEENKUlT_SN_SO_SP_E_clISG_PjSI_PS9_EESM_S12_SN_SO_SP_EUlS12_E1_NS1_11comp_targetILNS1_3genE8ELNS1_11target_archE1030ELNS1_3gpuE2ELNS1_3repE0EEENS1_36merge_oddeven_config_static_selectorELNS0_4arch9wavefront6targetE0EEEvSO_.num_agpr, 0
	.set _ZN7rocprim17ROCPRIM_400000_NS6detail17trampoline_kernelINS0_14default_configENS1_38merge_sort_block_merge_config_selectorIjN6thrust23THRUST_200600_302600_NS5tupleIffNS6_9null_typeES8_S8_S8_S8_S8_S8_S8_EEEEZZNS1_27merge_sort_block_merge_implIS3_NS6_6detail15normal_iteratorINS6_10device_ptrIjEEEENSD_INSE_IS9_EEEEjNS1_19radix_merge_compareILb0ELb1EjNS0_19identity_decomposerEEEEE10hipError_tT0_T1_T2_jT3_P12ihipStream_tbPNSt15iterator_traitsISN_E10value_typeEPNST_ISO_E10value_typeEPSP_NS1_7vsmem_tEENKUlT_SN_SO_SP_E_clISG_PjSI_PS9_EESM_S12_SN_SO_SP_EUlS12_E1_NS1_11comp_targetILNS1_3genE8ELNS1_11target_archE1030ELNS1_3gpuE2ELNS1_3repE0EEENS1_36merge_oddeven_config_static_selectorELNS0_4arch9wavefront6targetE0EEEvSO_.numbered_sgpr, 22
	.set _ZN7rocprim17ROCPRIM_400000_NS6detail17trampoline_kernelINS0_14default_configENS1_38merge_sort_block_merge_config_selectorIjN6thrust23THRUST_200600_302600_NS5tupleIffNS6_9null_typeES8_S8_S8_S8_S8_S8_S8_EEEEZZNS1_27merge_sort_block_merge_implIS3_NS6_6detail15normal_iteratorINS6_10device_ptrIjEEEENSD_INSE_IS9_EEEEjNS1_19radix_merge_compareILb0ELb1EjNS0_19identity_decomposerEEEEE10hipError_tT0_T1_T2_jT3_P12ihipStream_tbPNSt15iterator_traitsISN_E10value_typeEPNST_ISO_E10value_typeEPSP_NS1_7vsmem_tEENKUlT_SN_SO_SP_E_clISG_PjSI_PS9_EESM_S12_SN_SO_SP_EUlS12_E1_NS1_11comp_targetILNS1_3genE8ELNS1_11target_archE1030ELNS1_3gpuE2ELNS1_3repE0EEENS1_36merge_oddeven_config_static_selectorELNS0_4arch9wavefront6targetE0EEEvSO_.num_named_barrier, 0
	.set _ZN7rocprim17ROCPRIM_400000_NS6detail17trampoline_kernelINS0_14default_configENS1_38merge_sort_block_merge_config_selectorIjN6thrust23THRUST_200600_302600_NS5tupleIffNS6_9null_typeES8_S8_S8_S8_S8_S8_S8_EEEEZZNS1_27merge_sort_block_merge_implIS3_NS6_6detail15normal_iteratorINS6_10device_ptrIjEEEENSD_INSE_IS9_EEEEjNS1_19radix_merge_compareILb0ELb1EjNS0_19identity_decomposerEEEEE10hipError_tT0_T1_T2_jT3_P12ihipStream_tbPNSt15iterator_traitsISN_E10value_typeEPNST_ISO_E10value_typeEPSP_NS1_7vsmem_tEENKUlT_SN_SO_SP_E_clISG_PjSI_PS9_EESM_S12_SN_SO_SP_EUlS12_E1_NS1_11comp_targetILNS1_3genE8ELNS1_11target_archE1030ELNS1_3gpuE2ELNS1_3repE0EEENS1_36merge_oddeven_config_static_selectorELNS0_4arch9wavefront6targetE0EEEvSO_.private_seg_size, 0
	.set _ZN7rocprim17ROCPRIM_400000_NS6detail17trampoline_kernelINS0_14default_configENS1_38merge_sort_block_merge_config_selectorIjN6thrust23THRUST_200600_302600_NS5tupleIffNS6_9null_typeES8_S8_S8_S8_S8_S8_S8_EEEEZZNS1_27merge_sort_block_merge_implIS3_NS6_6detail15normal_iteratorINS6_10device_ptrIjEEEENSD_INSE_IS9_EEEEjNS1_19radix_merge_compareILb0ELb1EjNS0_19identity_decomposerEEEEE10hipError_tT0_T1_T2_jT3_P12ihipStream_tbPNSt15iterator_traitsISN_E10value_typeEPNST_ISO_E10value_typeEPSP_NS1_7vsmem_tEENKUlT_SN_SO_SP_E_clISG_PjSI_PS9_EESM_S12_SN_SO_SP_EUlS12_E1_NS1_11comp_targetILNS1_3genE8ELNS1_11target_archE1030ELNS1_3gpuE2ELNS1_3repE0EEENS1_36merge_oddeven_config_static_selectorELNS0_4arch9wavefront6targetE0EEEvSO_.uses_vcc, 1
	.set _ZN7rocprim17ROCPRIM_400000_NS6detail17trampoline_kernelINS0_14default_configENS1_38merge_sort_block_merge_config_selectorIjN6thrust23THRUST_200600_302600_NS5tupleIffNS6_9null_typeES8_S8_S8_S8_S8_S8_S8_EEEEZZNS1_27merge_sort_block_merge_implIS3_NS6_6detail15normal_iteratorINS6_10device_ptrIjEEEENSD_INSE_IS9_EEEEjNS1_19radix_merge_compareILb0ELb1EjNS0_19identity_decomposerEEEEE10hipError_tT0_T1_T2_jT3_P12ihipStream_tbPNSt15iterator_traitsISN_E10value_typeEPNST_ISO_E10value_typeEPSP_NS1_7vsmem_tEENKUlT_SN_SO_SP_E_clISG_PjSI_PS9_EESM_S12_SN_SO_SP_EUlS12_E1_NS1_11comp_targetILNS1_3genE8ELNS1_11target_archE1030ELNS1_3gpuE2ELNS1_3repE0EEENS1_36merge_oddeven_config_static_selectorELNS0_4arch9wavefront6targetE0EEEvSO_.uses_flat_scratch, 0
	.set _ZN7rocprim17ROCPRIM_400000_NS6detail17trampoline_kernelINS0_14default_configENS1_38merge_sort_block_merge_config_selectorIjN6thrust23THRUST_200600_302600_NS5tupleIffNS6_9null_typeES8_S8_S8_S8_S8_S8_S8_EEEEZZNS1_27merge_sort_block_merge_implIS3_NS6_6detail15normal_iteratorINS6_10device_ptrIjEEEENSD_INSE_IS9_EEEEjNS1_19radix_merge_compareILb0ELb1EjNS0_19identity_decomposerEEEEE10hipError_tT0_T1_T2_jT3_P12ihipStream_tbPNSt15iterator_traitsISN_E10value_typeEPNST_ISO_E10value_typeEPSP_NS1_7vsmem_tEENKUlT_SN_SO_SP_E_clISG_PjSI_PS9_EESM_S12_SN_SO_SP_EUlS12_E1_NS1_11comp_targetILNS1_3genE8ELNS1_11target_archE1030ELNS1_3gpuE2ELNS1_3repE0EEENS1_36merge_oddeven_config_static_selectorELNS0_4arch9wavefront6targetE0EEEvSO_.has_dyn_sized_stack, 0
	.set _ZN7rocprim17ROCPRIM_400000_NS6detail17trampoline_kernelINS0_14default_configENS1_38merge_sort_block_merge_config_selectorIjN6thrust23THRUST_200600_302600_NS5tupleIffNS6_9null_typeES8_S8_S8_S8_S8_S8_S8_EEEEZZNS1_27merge_sort_block_merge_implIS3_NS6_6detail15normal_iteratorINS6_10device_ptrIjEEEENSD_INSE_IS9_EEEEjNS1_19radix_merge_compareILb0ELb1EjNS0_19identity_decomposerEEEEE10hipError_tT0_T1_T2_jT3_P12ihipStream_tbPNSt15iterator_traitsISN_E10value_typeEPNST_ISO_E10value_typeEPSP_NS1_7vsmem_tEENKUlT_SN_SO_SP_E_clISG_PjSI_PS9_EESM_S12_SN_SO_SP_EUlS12_E1_NS1_11comp_targetILNS1_3genE8ELNS1_11target_archE1030ELNS1_3gpuE2ELNS1_3repE0EEENS1_36merge_oddeven_config_static_selectorELNS0_4arch9wavefront6targetE0EEEvSO_.has_recursion, 0
	.set _ZN7rocprim17ROCPRIM_400000_NS6detail17trampoline_kernelINS0_14default_configENS1_38merge_sort_block_merge_config_selectorIjN6thrust23THRUST_200600_302600_NS5tupleIffNS6_9null_typeES8_S8_S8_S8_S8_S8_S8_EEEEZZNS1_27merge_sort_block_merge_implIS3_NS6_6detail15normal_iteratorINS6_10device_ptrIjEEEENSD_INSE_IS9_EEEEjNS1_19radix_merge_compareILb0ELb1EjNS0_19identity_decomposerEEEEE10hipError_tT0_T1_T2_jT3_P12ihipStream_tbPNSt15iterator_traitsISN_E10value_typeEPNST_ISO_E10value_typeEPSP_NS1_7vsmem_tEENKUlT_SN_SO_SP_E_clISG_PjSI_PS9_EESM_S12_SN_SO_SP_EUlS12_E1_NS1_11comp_targetILNS1_3genE8ELNS1_11target_archE1030ELNS1_3gpuE2ELNS1_3repE0EEENS1_36merge_oddeven_config_static_selectorELNS0_4arch9wavefront6targetE0EEEvSO_.has_indirect_call, 0
	.section	.AMDGPU.csdata,"",@progbits
; Kernel info:
; codeLenInByte = 968
; TotalNumSgprs: 24
; NumVgprs: 11
; ScratchSize: 0
; MemoryBound: 0
; FloatMode: 240
; IeeeMode: 1
; LDSByteSize: 0 bytes/workgroup (compile time only)
; SGPRBlocks: 0
; VGPRBlocks: 1
; NumSGPRsForWavesPerEU: 24
; NumVGPRsForWavesPerEU: 11
; Occupancy: 16
; WaveLimiterHint : 0
; COMPUTE_PGM_RSRC2:SCRATCH_EN: 0
; COMPUTE_PGM_RSRC2:USER_SGPR: 6
; COMPUTE_PGM_RSRC2:TRAP_HANDLER: 0
; COMPUTE_PGM_RSRC2:TGID_X_EN: 1
; COMPUTE_PGM_RSRC2:TGID_Y_EN: 0
; COMPUTE_PGM_RSRC2:TGID_Z_EN: 0
; COMPUTE_PGM_RSRC2:TIDIG_COMP_CNT: 0
	.section	.text._ZN7rocprim17ROCPRIM_400000_NS6detail17trampoline_kernelINS0_14default_configENS1_35radix_sort_onesweep_config_selectorIjN6thrust23THRUST_200600_302600_NS5tupleIffNS6_9null_typeES8_S8_S8_S8_S8_S8_S8_EEEEZNS1_34radix_sort_onesweep_global_offsetsIS3_Lb0ENS6_6detail15normal_iteratorINS6_10device_ptrIjEEEENSD_INSE_IS9_EEEEjNS0_19identity_decomposerEEE10hipError_tT1_T2_PT3_SN_jT4_jjP12ihipStream_tbEUlT_E_NS1_11comp_targetILNS1_3genE0ELNS1_11target_archE4294967295ELNS1_3gpuE0ELNS1_3repE0EEENS1_52radix_sort_onesweep_histogram_config_static_selectorELNS0_4arch9wavefront6targetE0EEEvSL_,"axG",@progbits,_ZN7rocprim17ROCPRIM_400000_NS6detail17trampoline_kernelINS0_14default_configENS1_35radix_sort_onesweep_config_selectorIjN6thrust23THRUST_200600_302600_NS5tupleIffNS6_9null_typeES8_S8_S8_S8_S8_S8_S8_EEEEZNS1_34radix_sort_onesweep_global_offsetsIS3_Lb0ENS6_6detail15normal_iteratorINS6_10device_ptrIjEEEENSD_INSE_IS9_EEEEjNS0_19identity_decomposerEEE10hipError_tT1_T2_PT3_SN_jT4_jjP12ihipStream_tbEUlT_E_NS1_11comp_targetILNS1_3genE0ELNS1_11target_archE4294967295ELNS1_3gpuE0ELNS1_3repE0EEENS1_52radix_sort_onesweep_histogram_config_static_selectorELNS0_4arch9wavefront6targetE0EEEvSL_,comdat
	.protected	_ZN7rocprim17ROCPRIM_400000_NS6detail17trampoline_kernelINS0_14default_configENS1_35radix_sort_onesweep_config_selectorIjN6thrust23THRUST_200600_302600_NS5tupleIffNS6_9null_typeES8_S8_S8_S8_S8_S8_S8_EEEEZNS1_34radix_sort_onesweep_global_offsetsIS3_Lb0ENS6_6detail15normal_iteratorINS6_10device_ptrIjEEEENSD_INSE_IS9_EEEEjNS0_19identity_decomposerEEE10hipError_tT1_T2_PT3_SN_jT4_jjP12ihipStream_tbEUlT_E_NS1_11comp_targetILNS1_3genE0ELNS1_11target_archE4294967295ELNS1_3gpuE0ELNS1_3repE0EEENS1_52radix_sort_onesweep_histogram_config_static_selectorELNS0_4arch9wavefront6targetE0EEEvSL_ ; -- Begin function _ZN7rocprim17ROCPRIM_400000_NS6detail17trampoline_kernelINS0_14default_configENS1_35radix_sort_onesweep_config_selectorIjN6thrust23THRUST_200600_302600_NS5tupleIffNS6_9null_typeES8_S8_S8_S8_S8_S8_S8_EEEEZNS1_34radix_sort_onesweep_global_offsetsIS3_Lb0ENS6_6detail15normal_iteratorINS6_10device_ptrIjEEEENSD_INSE_IS9_EEEEjNS0_19identity_decomposerEEE10hipError_tT1_T2_PT3_SN_jT4_jjP12ihipStream_tbEUlT_E_NS1_11comp_targetILNS1_3genE0ELNS1_11target_archE4294967295ELNS1_3gpuE0ELNS1_3repE0EEENS1_52radix_sort_onesweep_histogram_config_static_selectorELNS0_4arch9wavefront6targetE0EEEvSL_
	.globl	_ZN7rocprim17ROCPRIM_400000_NS6detail17trampoline_kernelINS0_14default_configENS1_35radix_sort_onesweep_config_selectorIjN6thrust23THRUST_200600_302600_NS5tupleIffNS6_9null_typeES8_S8_S8_S8_S8_S8_S8_EEEEZNS1_34radix_sort_onesweep_global_offsetsIS3_Lb0ENS6_6detail15normal_iteratorINS6_10device_ptrIjEEEENSD_INSE_IS9_EEEEjNS0_19identity_decomposerEEE10hipError_tT1_T2_PT3_SN_jT4_jjP12ihipStream_tbEUlT_E_NS1_11comp_targetILNS1_3genE0ELNS1_11target_archE4294967295ELNS1_3gpuE0ELNS1_3repE0EEENS1_52radix_sort_onesweep_histogram_config_static_selectorELNS0_4arch9wavefront6targetE0EEEvSL_
	.p2align	8
	.type	_ZN7rocprim17ROCPRIM_400000_NS6detail17trampoline_kernelINS0_14default_configENS1_35radix_sort_onesweep_config_selectorIjN6thrust23THRUST_200600_302600_NS5tupleIffNS6_9null_typeES8_S8_S8_S8_S8_S8_S8_EEEEZNS1_34radix_sort_onesweep_global_offsetsIS3_Lb0ENS6_6detail15normal_iteratorINS6_10device_ptrIjEEEENSD_INSE_IS9_EEEEjNS0_19identity_decomposerEEE10hipError_tT1_T2_PT3_SN_jT4_jjP12ihipStream_tbEUlT_E_NS1_11comp_targetILNS1_3genE0ELNS1_11target_archE4294967295ELNS1_3gpuE0ELNS1_3repE0EEENS1_52radix_sort_onesweep_histogram_config_static_selectorELNS0_4arch9wavefront6targetE0EEEvSL_,@function
_ZN7rocprim17ROCPRIM_400000_NS6detail17trampoline_kernelINS0_14default_configENS1_35radix_sort_onesweep_config_selectorIjN6thrust23THRUST_200600_302600_NS5tupleIffNS6_9null_typeES8_S8_S8_S8_S8_S8_S8_EEEEZNS1_34radix_sort_onesweep_global_offsetsIS3_Lb0ENS6_6detail15normal_iteratorINS6_10device_ptrIjEEEENSD_INSE_IS9_EEEEjNS0_19identity_decomposerEEE10hipError_tT1_T2_PT3_SN_jT4_jjP12ihipStream_tbEUlT_E_NS1_11comp_targetILNS1_3genE0ELNS1_11target_archE4294967295ELNS1_3gpuE0ELNS1_3repE0EEENS1_52radix_sort_onesweep_histogram_config_static_selectorELNS0_4arch9wavefront6targetE0EEEvSL_: ; @_ZN7rocprim17ROCPRIM_400000_NS6detail17trampoline_kernelINS0_14default_configENS1_35radix_sort_onesweep_config_selectorIjN6thrust23THRUST_200600_302600_NS5tupleIffNS6_9null_typeES8_S8_S8_S8_S8_S8_S8_EEEEZNS1_34radix_sort_onesweep_global_offsetsIS3_Lb0ENS6_6detail15normal_iteratorINS6_10device_ptrIjEEEENSD_INSE_IS9_EEEEjNS0_19identity_decomposerEEE10hipError_tT1_T2_PT3_SN_jT4_jjP12ihipStream_tbEUlT_E_NS1_11comp_targetILNS1_3genE0ELNS1_11target_archE4294967295ELNS1_3gpuE0ELNS1_3repE0EEENS1_52radix_sort_onesweep_histogram_config_static_selectorELNS0_4arch9wavefront6targetE0EEEvSL_
; %bb.0:
	.section	.rodata,"a",@progbits
	.p2align	6, 0x0
	.amdhsa_kernel _ZN7rocprim17ROCPRIM_400000_NS6detail17trampoline_kernelINS0_14default_configENS1_35radix_sort_onesweep_config_selectorIjN6thrust23THRUST_200600_302600_NS5tupleIffNS6_9null_typeES8_S8_S8_S8_S8_S8_S8_EEEEZNS1_34radix_sort_onesweep_global_offsetsIS3_Lb0ENS6_6detail15normal_iteratorINS6_10device_ptrIjEEEENSD_INSE_IS9_EEEEjNS0_19identity_decomposerEEE10hipError_tT1_T2_PT3_SN_jT4_jjP12ihipStream_tbEUlT_E_NS1_11comp_targetILNS1_3genE0ELNS1_11target_archE4294967295ELNS1_3gpuE0ELNS1_3repE0EEENS1_52radix_sort_onesweep_histogram_config_static_selectorELNS0_4arch9wavefront6targetE0EEEvSL_
		.amdhsa_group_segment_fixed_size 0
		.amdhsa_private_segment_fixed_size 0
		.amdhsa_kernarg_size 40
		.amdhsa_user_sgpr_count 6
		.amdhsa_user_sgpr_private_segment_buffer 1
		.amdhsa_user_sgpr_dispatch_ptr 0
		.amdhsa_user_sgpr_queue_ptr 0
		.amdhsa_user_sgpr_kernarg_segment_ptr 1
		.amdhsa_user_sgpr_dispatch_id 0
		.amdhsa_user_sgpr_flat_scratch_init 0
		.amdhsa_user_sgpr_private_segment_size 0
		.amdhsa_wavefront_size32 1
		.amdhsa_uses_dynamic_stack 0
		.amdhsa_system_sgpr_private_segment_wavefront_offset 0
		.amdhsa_system_sgpr_workgroup_id_x 1
		.amdhsa_system_sgpr_workgroup_id_y 0
		.amdhsa_system_sgpr_workgroup_id_z 0
		.amdhsa_system_sgpr_workgroup_info 0
		.amdhsa_system_vgpr_workitem_id 0
		.amdhsa_next_free_vgpr 1
		.amdhsa_next_free_sgpr 1
		.amdhsa_reserve_vcc 0
		.amdhsa_reserve_flat_scratch 0
		.amdhsa_float_round_mode_32 0
		.amdhsa_float_round_mode_16_64 0
		.amdhsa_float_denorm_mode_32 3
		.amdhsa_float_denorm_mode_16_64 3
		.amdhsa_dx10_clamp 1
		.amdhsa_ieee_mode 1
		.amdhsa_fp16_overflow 0
		.amdhsa_workgroup_processor_mode 1
		.amdhsa_memory_ordered 1
		.amdhsa_forward_progress 1
		.amdhsa_shared_vgpr_count 0
		.amdhsa_exception_fp_ieee_invalid_op 0
		.amdhsa_exception_fp_denorm_src 0
		.amdhsa_exception_fp_ieee_div_zero 0
		.amdhsa_exception_fp_ieee_overflow 0
		.amdhsa_exception_fp_ieee_underflow 0
		.amdhsa_exception_fp_ieee_inexact 0
		.amdhsa_exception_int_div_zero 0
	.end_amdhsa_kernel
	.section	.text._ZN7rocprim17ROCPRIM_400000_NS6detail17trampoline_kernelINS0_14default_configENS1_35radix_sort_onesweep_config_selectorIjN6thrust23THRUST_200600_302600_NS5tupleIffNS6_9null_typeES8_S8_S8_S8_S8_S8_S8_EEEEZNS1_34radix_sort_onesweep_global_offsetsIS3_Lb0ENS6_6detail15normal_iteratorINS6_10device_ptrIjEEEENSD_INSE_IS9_EEEEjNS0_19identity_decomposerEEE10hipError_tT1_T2_PT3_SN_jT4_jjP12ihipStream_tbEUlT_E_NS1_11comp_targetILNS1_3genE0ELNS1_11target_archE4294967295ELNS1_3gpuE0ELNS1_3repE0EEENS1_52radix_sort_onesweep_histogram_config_static_selectorELNS0_4arch9wavefront6targetE0EEEvSL_,"axG",@progbits,_ZN7rocprim17ROCPRIM_400000_NS6detail17trampoline_kernelINS0_14default_configENS1_35radix_sort_onesweep_config_selectorIjN6thrust23THRUST_200600_302600_NS5tupleIffNS6_9null_typeES8_S8_S8_S8_S8_S8_S8_EEEEZNS1_34radix_sort_onesweep_global_offsetsIS3_Lb0ENS6_6detail15normal_iteratorINS6_10device_ptrIjEEEENSD_INSE_IS9_EEEEjNS0_19identity_decomposerEEE10hipError_tT1_T2_PT3_SN_jT4_jjP12ihipStream_tbEUlT_E_NS1_11comp_targetILNS1_3genE0ELNS1_11target_archE4294967295ELNS1_3gpuE0ELNS1_3repE0EEENS1_52radix_sort_onesweep_histogram_config_static_selectorELNS0_4arch9wavefront6targetE0EEEvSL_,comdat
.Lfunc_end139:
	.size	_ZN7rocprim17ROCPRIM_400000_NS6detail17trampoline_kernelINS0_14default_configENS1_35radix_sort_onesweep_config_selectorIjN6thrust23THRUST_200600_302600_NS5tupleIffNS6_9null_typeES8_S8_S8_S8_S8_S8_S8_EEEEZNS1_34radix_sort_onesweep_global_offsetsIS3_Lb0ENS6_6detail15normal_iteratorINS6_10device_ptrIjEEEENSD_INSE_IS9_EEEEjNS0_19identity_decomposerEEE10hipError_tT1_T2_PT3_SN_jT4_jjP12ihipStream_tbEUlT_E_NS1_11comp_targetILNS1_3genE0ELNS1_11target_archE4294967295ELNS1_3gpuE0ELNS1_3repE0EEENS1_52radix_sort_onesweep_histogram_config_static_selectorELNS0_4arch9wavefront6targetE0EEEvSL_, .Lfunc_end139-_ZN7rocprim17ROCPRIM_400000_NS6detail17trampoline_kernelINS0_14default_configENS1_35radix_sort_onesweep_config_selectorIjN6thrust23THRUST_200600_302600_NS5tupleIffNS6_9null_typeES8_S8_S8_S8_S8_S8_S8_EEEEZNS1_34radix_sort_onesweep_global_offsetsIS3_Lb0ENS6_6detail15normal_iteratorINS6_10device_ptrIjEEEENSD_INSE_IS9_EEEEjNS0_19identity_decomposerEEE10hipError_tT1_T2_PT3_SN_jT4_jjP12ihipStream_tbEUlT_E_NS1_11comp_targetILNS1_3genE0ELNS1_11target_archE4294967295ELNS1_3gpuE0ELNS1_3repE0EEENS1_52radix_sort_onesweep_histogram_config_static_selectorELNS0_4arch9wavefront6targetE0EEEvSL_
                                        ; -- End function
	.set _ZN7rocprim17ROCPRIM_400000_NS6detail17trampoline_kernelINS0_14default_configENS1_35radix_sort_onesweep_config_selectorIjN6thrust23THRUST_200600_302600_NS5tupleIffNS6_9null_typeES8_S8_S8_S8_S8_S8_S8_EEEEZNS1_34radix_sort_onesweep_global_offsetsIS3_Lb0ENS6_6detail15normal_iteratorINS6_10device_ptrIjEEEENSD_INSE_IS9_EEEEjNS0_19identity_decomposerEEE10hipError_tT1_T2_PT3_SN_jT4_jjP12ihipStream_tbEUlT_E_NS1_11comp_targetILNS1_3genE0ELNS1_11target_archE4294967295ELNS1_3gpuE0ELNS1_3repE0EEENS1_52radix_sort_onesweep_histogram_config_static_selectorELNS0_4arch9wavefront6targetE0EEEvSL_.num_vgpr, 0
	.set _ZN7rocprim17ROCPRIM_400000_NS6detail17trampoline_kernelINS0_14default_configENS1_35radix_sort_onesweep_config_selectorIjN6thrust23THRUST_200600_302600_NS5tupleIffNS6_9null_typeES8_S8_S8_S8_S8_S8_S8_EEEEZNS1_34radix_sort_onesweep_global_offsetsIS3_Lb0ENS6_6detail15normal_iteratorINS6_10device_ptrIjEEEENSD_INSE_IS9_EEEEjNS0_19identity_decomposerEEE10hipError_tT1_T2_PT3_SN_jT4_jjP12ihipStream_tbEUlT_E_NS1_11comp_targetILNS1_3genE0ELNS1_11target_archE4294967295ELNS1_3gpuE0ELNS1_3repE0EEENS1_52radix_sort_onesweep_histogram_config_static_selectorELNS0_4arch9wavefront6targetE0EEEvSL_.num_agpr, 0
	.set _ZN7rocprim17ROCPRIM_400000_NS6detail17trampoline_kernelINS0_14default_configENS1_35radix_sort_onesweep_config_selectorIjN6thrust23THRUST_200600_302600_NS5tupleIffNS6_9null_typeES8_S8_S8_S8_S8_S8_S8_EEEEZNS1_34radix_sort_onesweep_global_offsetsIS3_Lb0ENS6_6detail15normal_iteratorINS6_10device_ptrIjEEEENSD_INSE_IS9_EEEEjNS0_19identity_decomposerEEE10hipError_tT1_T2_PT3_SN_jT4_jjP12ihipStream_tbEUlT_E_NS1_11comp_targetILNS1_3genE0ELNS1_11target_archE4294967295ELNS1_3gpuE0ELNS1_3repE0EEENS1_52radix_sort_onesweep_histogram_config_static_selectorELNS0_4arch9wavefront6targetE0EEEvSL_.numbered_sgpr, 0
	.set _ZN7rocprim17ROCPRIM_400000_NS6detail17trampoline_kernelINS0_14default_configENS1_35radix_sort_onesweep_config_selectorIjN6thrust23THRUST_200600_302600_NS5tupleIffNS6_9null_typeES8_S8_S8_S8_S8_S8_S8_EEEEZNS1_34radix_sort_onesweep_global_offsetsIS3_Lb0ENS6_6detail15normal_iteratorINS6_10device_ptrIjEEEENSD_INSE_IS9_EEEEjNS0_19identity_decomposerEEE10hipError_tT1_T2_PT3_SN_jT4_jjP12ihipStream_tbEUlT_E_NS1_11comp_targetILNS1_3genE0ELNS1_11target_archE4294967295ELNS1_3gpuE0ELNS1_3repE0EEENS1_52radix_sort_onesweep_histogram_config_static_selectorELNS0_4arch9wavefront6targetE0EEEvSL_.num_named_barrier, 0
	.set _ZN7rocprim17ROCPRIM_400000_NS6detail17trampoline_kernelINS0_14default_configENS1_35radix_sort_onesweep_config_selectorIjN6thrust23THRUST_200600_302600_NS5tupleIffNS6_9null_typeES8_S8_S8_S8_S8_S8_S8_EEEEZNS1_34radix_sort_onesweep_global_offsetsIS3_Lb0ENS6_6detail15normal_iteratorINS6_10device_ptrIjEEEENSD_INSE_IS9_EEEEjNS0_19identity_decomposerEEE10hipError_tT1_T2_PT3_SN_jT4_jjP12ihipStream_tbEUlT_E_NS1_11comp_targetILNS1_3genE0ELNS1_11target_archE4294967295ELNS1_3gpuE0ELNS1_3repE0EEENS1_52radix_sort_onesweep_histogram_config_static_selectorELNS0_4arch9wavefront6targetE0EEEvSL_.private_seg_size, 0
	.set _ZN7rocprim17ROCPRIM_400000_NS6detail17trampoline_kernelINS0_14default_configENS1_35radix_sort_onesweep_config_selectorIjN6thrust23THRUST_200600_302600_NS5tupleIffNS6_9null_typeES8_S8_S8_S8_S8_S8_S8_EEEEZNS1_34radix_sort_onesweep_global_offsetsIS3_Lb0ENS6_6detail15normal_iteratorINS6_10device_ptrIjEEEENSD_INSE_IS9_EEEEjNS0_19identity_decomposerEEE10hipError_tT1_T2_PT3_SN_jT4_jjP12ihipStream_tbEUlT_E_NS1_11comp_targetILNS1_3genE0ELNS1_11target_archE4294967295ELNS1_3gpuE0ELNS1_3repE0EEENS1_52radix_sort_onesweep_histogram_config_static_selectorELNS0_4arch9wavefront6targetE0EEEvSL_.uses_vcc, 0
	.set _ZN7rocprim17ROCPRIM_400000_NS6detail17trampoline_kernelINS0_14default_configENS1_35radix_sort_onesweep_config_selectorIjN6thrust23THRUST_200600_302600_NS5tupleIffNS6_9null_typeES8_S8_S8_S8_S8_S8_S8_EEEEZNS1_34radix_sort_onesweep_global_offsetsIS3_Lb0ENS6_6detail15normal_iteratorINS6_10device_ptrIjEEEENSD_INSE_IS9_EEEEjNS0_19identity_decomposerEEE10hipError_tT1_T2_PT3_SN_jT4_jjP12ihipStream_tbEUlT_E_NS1_11comp_targetILNS1_3genE0ELNS1_11target_archE4294967295ELNS1_3gpuE0ELNS1_3repE0EEENS1_52radix_sort_onesweep_histogram_config_static_selectorELNS0_4arch9wavefront6targetE0EEEvSL_.uses_flat_scratch, 0
	.set _ZN7rocprim17ROCPRIM_400000_NS6detail17trampoline_kernelINS0_14default_configENS1_35radix_sort_onesweep_config_selectorIjN6thrust23THRUST_200600_302600_NS5tupleIffNS6_9null_typeES8_S8_S8_S8_S8_S8_S8_EEEEZNS1_34radix_sort_onesweep_global_offsetsIS3_Lb0ENS6_6detail15normal_iteratorINS6_10device_ptrIjEEEENSD_INSE_IS9_EEEEjNS0_19identity_decomposerEEE10hipError_tT1_T2_PT3_SN_jT4_jjP12ihipStream_tbEUlT_E_NS1_11comp_targetILNS1_3genE0ELNS1_11target_archE4294967295ELNS1_3gpuE0ELNS1_3repE0EEENS1_52radix_sort_onesweep_histogram_config_static_selectorELNS0_4arch9wavefront6targetE0EEEvSL_.has_dyn_sized_stack, 0
	.set _ZN7rocprim17ROCPRIM_400000_NS6detail17trampoline_kernelINS0_14default_configENS1_35radix_sort_onesweep_config_selectorIjN6thrust23THRUST_200600_302600_NS5tupleIffNS6_9null_typeES8_S8_S8_S8_S8_S8_S8_EEEEZNS1_34radix_sort_onesweep_global_offsetsIS3_Lb0ENS6_6detail15normal_iteratorINS6_10device_ptrIjEEEENSD_INSE_IS9_EEEEjNS0_19identity_decomposerEEE10hipError_tT1_T2_PT3_SN_jT4_jjP12ihipStream_tbEUlT_E_NS1_11comp_targetILNS1_3genE0ELNS1_11target_archE4294967295ELNS1_3gpuE0ELNS1_3repE0EEENS1_52radix_sort_onesweep_histogram_config_static_selectorELNS0_4arch9wavefront6targetE0EEEvSL_.has_recursion, 0
	.set _ZN7rocprim17ROCPRIM_400000_NS6detail17trampoline_kernelINS0_14default_configENS1_35radix_sort_onesweep_config_selectorIjN6thrust23THRUST_200600_302600_NS5tupleIffNS6_9null_typeES8_S8_S8_S8_S8_S8_S8_EEEEZNS1_34radix_sort_onesweep_global_offsetsIS3_Lb0ENS6_6detail15normal_iteratorINS6_10device_ptrIjEEEENSD_INSE_IS9_EEEEjNS0_19identity_decomposerEEE10hipError_tT1_T2_PT3_SN_jT4_jjP12ihipStream_tbEUlT_E_NS1_11comp_targetILNS1_3genE0ELNS1_11target_archE4294967295ELNS1_3gpuE0ELNS1_3repE0EEENS1_52radix_sort_onesweep_histogram_config_static_selectorELNS0_4arch9wavefront6targetE0EEEvSL_.has_indirect_call, 0
	.section	.AMDGPU.csdata,"",@progbits
; Kernel info:
; codeLenInByte = 0
; TotalNumSgprs: 0
; NumVgprs: 0
; ScratchSize: 0
; MemoryBound: 0
; FloatMode: 240
; IeeeMode: 1
; LDSByteSize: 0 bytes/workgroup (compile time only)
; SGPRBlocks: 0
; VGPRBlocks: 0
; NumSGPRsForWavesPerEU: 1
; NumVGPRsForWavesPerEU: 1
; Occupancy: 16
; WaveLimiterHint : 0
; COMPUTE_PGM_RSRC2:SCRATCH_EN: 0
; COMPUTE_PGM_RSRC2:USER_SGPR: 6
; COMPUTE_PGM_RSRC2:TRAP_HANDLER: 0
; COMPUTE_PGM_RSRC2:TGID_X_EN: 1
; COMPUTE_PGM_RSRC2:TGID_Y_EN: 0
; COMPUTE_PGM_RSRC2:TGID_Z_EN: 0
; COMPUTE_PGM_RSRC2:TIDIG_COMP_CNT: 0
	.section	.text._ZN7rocprim17ROCPRIM_400000_NS6detail17trampoline_kernelINS0_14default_configENS1_35radix_sort_onesweep_config_selectorIjN6thrust23THRUST_200600_302600_NS5tupleIffNS6_9null_typeES8_S8_S8_S8_S8_S8_S8_EEEEZNS1_34radix_sort_onesweep_global_offsetsIS3_Lb0ENS6_6detail15normal_iteratorINS6_10device_ptrIjEEEENSD_INSE_IS9_EEEEjNS0_19identity_decomposerEEE10hipError_tT1_T2_PT3_SN_jT4_jjP12ihipStream_tbEUlT_E_NS1_11comp_targetILNS1_3genE6ELNS1_11target_archE950ELNS1_3gpuE13ELNS1_3repE0EEENS1_52radix_sort_onesweep_histogram_config_static_selectorELNS0_4arch9wavefront6targetE0EEEvSL_,"axG",@progbits,_ZN7rocprim17ROCPRIM_400000_NS6detail17trampoline_kernelINS0_14default_configENS1_35radix_sort_onesweep_config_selectorIjN6thrust23THRUST_200600_302600_NS5tupleIffNS6_9null_typeES8_S8_S8_S8_S8_S8_S8_EEEEZNS1_34radix_sort_onesweep_global_offsetsIS3_Lb0ENS6_6detail15normal_iteratorINS6_10device_ptrIjEEEENSD_INSE_IS9_EEEEjNS0_19identity_decomposerEEE10hipError_tT1_T2_PT3_SN_jT4_jjP12ihipStream_tbEUlT_E_NS1_11comp_targetILNS1_3genE6ELNS1_11target_archE950ELNS1_3gpuE13ELNS1_3repE0EEENS1_52radix_sort_onesweep_histogram_config_static_selectorELNS0_4arch9wavefront6targetE0EEEvSL_,comdat
	.protected	_ZN7rocprim17ROCPRIM_400000_NS6detail17trampoline_kernelINS0_14default_configENS1_35radix_sort_onesweep_config_selectorIjN6thrust23THRUST_200600_302600_NS5tupleIffNS6_9null_typeES8_S8_S8_S8_S8_S8_S8_EEEEZNS1_34radix_sort_onesweep_global_offsetsIS3_Lb0ENS6_6detail15normal_iteratorINS6_10device_ptrIjEEEENSD_INSE_IS9_EEEEjNS0_19identity_decomposerEEE10hipError_tT1_T2_PT3_SN_jT4_jjP12ihipStream_tbEUlT_E_NS1_11comp_targetILNS1_3genE6ELNS1_11target_archE950ELNS1_3gpuE13ELNS1_3repE0EEENS1_52radix_sort_onesweep_histogram_config_static_selectorELNS0_4arch9wavefront6targetE0EEEvSL_ ; -- Begin function _ZN7rocprim17ROCPRIM_400000_NS6detail17trampoline_kernelINS0_14default_configENS1_35radix_sort_onesweep_config_selectorIjN6thrust23THRUST_200600_302600_NS5tupleIffNS6_9null_typeES8_S8_S8_S8_S8_S8_S8_EEEEZNS1_34radix_sort_onesweep_global_offsetsIS3_Lb0ENS6_6detail15normal_iteratorINS6_10device_ptrIjEEEENSD_INSE_IS9_EEEEjNS0_19identity_decomposerEEE10hipError_tT1_T2_PT3_SN_jT4_jjP12ihipStream_tbEUlT_E_NS1_11comp_targetILNS1_3genE6ELNS1_11target_archE950ELNS1_3gpuE13ELNS1_3repE0EEENS1_52radix_sort_onesweep_histogram_config_static_selectorELNS0_4arch9wavefront6targetE0EEEvSL_
	.globl	_ZN7rocprim17ROCPRIM_400000_NS6detail17trampoline_kernelINS0_14default_configENS1_35radix_sort_onesweep_config_selectorIjN6thrust23THRUST_200600_302600_NS5tupleIffNS6_9null_typeES8_S8_S8_S8_S8_S8_S8_EEEEZNS1_34radix_sort_onesweep_global_offsetsIS3_Lb0ENS6_6detail15normal_iteratorINS6_10device_ptrIjEEEENSD_INSE_IS9_EEEEjNS0_19identity_decomposerEEE10hipError_tT1_T2_PT3_SN_jT4_jjP12ihipStream_tbEUlT_E_NS1_11comp_targetILNS1_3genE6ELNS1_11target_archE950ELNS1_3gpuE13ELNS1_3repE0EEENS1_52radix_sort_onesweep_histogram_config_static_selectorELNS0_4arch9wavefront6targetE0EEEvSL_
	.p2align	8
	.type	_ZN7rocprim17ROCPRIM_400000_NS6detail17trampoline_kernelINS0_14default_configENS1_35radix_sort_onesweep_config_selectorIjN6thrust23THRUST_200600_302600_NS5tupleIffNS6_9null_typeES8_S8_S8_S8_S8_S8_S8_EEEEZNS1_34radix_sort_onesweep_global_offsetsIS3_Lb0ENS6_6detail15normal_iteratorINS6_10device_ptrIjEEEENSD_INSE_IS9_EEEEjNS0_19identity_decomposerEEE10hipError_tT1_T2_PT3_SN_jT4_jjP12ihipStream_tbEUlT_E_NS1_11comp_targetILNS1_3genE6ELNS1_11target_archE950ELNS1_3gpuE13ELNS1_3repE0EEENS1_52radix_sort_onesweep_histogram_config_static_selectorELNS0_4arch9wavefront6targetE0EEEvSL_,@function
_ZN7rocprim17ROCPRIM_400000_NS6detail17trampoline_kernelINS0_14default_configENS1_35radix_sort_onesweep_config_selectorIjN6thrust23THRUST_200600_302600_NS5tupleIffNS6_9null_typeES8_S8_S8_S8_S8_S8_S8_EEEEZNS1_34radix_sort_onesweep_global_offsetsIS3_Lb0ENS6_6detail15normal_iteratorINS6_10device_ptrIjEEEENSD_INSE_IS9_EEEEjNS0_19identity_decomposerEEE10hipError_tT1_T2_PT3_SN_jT4_jjP12ihipStream_tbEUlT_E_NS1_11comp_targetILNS1_3genE6ELNS1_11target_archE950ELNS1_3gpuE13ELNS1_3repE0EEENS1_52radix_sort_onesweep_histogram_config_static_selectorELNS0_4arch9wavefront6targetE0EEEvSL_: ; @_ZN7rocprim17ROCPRIM_400000_NS6detail17trampoline_kernelINS0_14default_configENS1_35radix_sort_onesweep_config_selectorIjN6thrust23THRUST_200600_302600_NS5tupleIffNS6_9null_typeES8_S8_S8_S8_S8_S8_S8_EEEEZNS1_34radix_sort_onesweep_global_offsetsIS3_Lb0ENS6_6detail15normal_iteratorINS6_10device_ptrIjEEEENSD_INSE_IS9_EEEEjNS0_19identity_decomposerEEE10hipError_tT1_T2_PT3_SN_jT4_jjP12ihipStream_tbEUlT_E_NS1_11comp_targetILNS1_3genE6ELNS1_11target_archE950ELNS1_3gpuE13ELNS1_3repE0EEENS1_52radix_sort_onesweep_histogram_config_static_selectorELNS0_4arch9wavefront6targetE0EEEvSL_
; %bb.0:
	.section	.rodata,"a",@progbits
	.p2align	6, 0x0
	.amdhsa_kernel _ZN7rocprim17ROCPRIM_400000_NS6detail17trampoline_kernelINS0_14default_configENS1_35radix_sort_onesweep_config_selectorIjN6thrust23THRUST_200600_302600_NS5tupleIffNS6_9null_typeES8_S8_S8_S8_S8_S8_S8_EEEEZNS1_34radix_sort_onesweep_global_offsetsIS3_Lb0ENS6_6detail15normal_iteratorINS6_10device_ptrIjEEEENSD_INSE_IS9_EEEEjNS0_19identity_decomposerEEE10hipError_tT1_T2_PT3_SN_jT4_jjP12ihipStream_tbEUlT_E_NS1_11comp_targetILNS1_3genE6ELNS1_11target_archE950ELNS1_3gpuE13ELNS1_3repE0EEENS1_52radix_sort_onesweep_histogram_config_static_selectorELNS0_4arch9wavefront6targetE0EEEvSL_
		.amdhsa_group_segment_fixed_size 0
		.amdhsa_private_segment_fixed_size 0
		.amdhsa_kernarg_size 40
		.amdhsa_user_sgpr_count 6
		.amdhsa_user_sgpr_private_segment_buffer 1
		.amdhsa_user_sgpr_dispatch_ptr 0
		.amdhsa_user_sgpr_queue_ptr 0
		.amdhsa_user_sgpr_kernarg_segment_ptr 1
		.amdhsa_user_sgpr_dispatch_id 0
		.amdhsa_user_sgpr_flat_scratch_init 0
		.amdhsa_user_sgpr_private_segment_size 0
		.amdhsa_wavefront_size32 1
		.amdhsa_uses_dynamic_stack 0
		.amdhsa_system_sgpr_private_segment_wavefront_offset 0
		.amdhsa_system_sgpr_workgroup_id_x 1
		.amdhsa_system_sgpr_workgroup_id_y 0
		.amdhsa_system_sgpr_workgroup_id_z 0
		.amdhsa_system_sgpr_workgroup_info 0
		.amdhsa_system_vgpr_workitem_id 0
		.amdhsa_next_free_vgpr 1
		.amdhsa_next_free_sgpr 1
		.amdhsa_reserve_vcc 0
		.amdhsa_reserve_flat_scratch 0
		.amdhsa_float_round_mode_32 0
		.amdhsa_float_round_mode_16_64 0
		.amdhsa_float_denorm_mode_32 3
		.amdhsa_float_denorm_mode_16_64 3
		.amdhsa_dx10_clamp 1
		.amdhsa_ieee_mode 1
		.amdhsa_fp16_overflow 0
		.amdhsa_workgroup_processor_mode 1
		.amdhsa_memory_ordered 1
		.amdhsa_forward_progress 1
		.amdhsa_shared_vgpr_count 0
		.amdhsa_exception_fp_ieee_invalid_op 0
		.amdhsa_exception_fp_denorm_src 0
		.amdhsa_exception_fp_ieee_div_zero 0
		.amdhsa_exception_fp_ieee_overflow 0
		.amdhsa_exception_fp_ieee_underflow 0
		.amdhsa_exception_fp_ieee_inexact 0
		.amdhsa_exception_int_div_zero 0
	.end_amdhsa_kernel
	.section	.text._ZN7rocprim17ROCPRIM_400000_NS6detail17trampoline_kernelINS0_14default_configENS1_35radix_sort_onesweep_config_selectorIjN6thrust23THRUST_200600_302600_NS5tupleIffNS6_9null_typeES8_S8_S8_S8_S8_S8_S8_EEEEZNS1_34radix_sort_onesweep_global_offsetsIS3_Lb0ENS6_6detail15normal_iteratorINS6_10device_ptrIjEEEENSD_INSE_IS9_EEEEjNS0_19identity_decomposerEEE10hipError_tT1_T2_PT3_SN_jT4_jjP12ihipStream_tbEUlT_E_NS1_11comp_targetILNS1_3genE6ELNS1_11target_archE950ELNS1_3gpuE13ELNS1_3repE0EEENS1_52radix_sort_onesweep_histogram_config_static_selectorELNS0_4arch9wavefront6targetE0EEEvSL_,"axG",@progbits,_ZN7rocprim17ROCPRIM_400000_NS6detail17trampoline_kernelINS0_14default_configENS1_35radix_sort_onesweep_config_selectorIjN6thrust23THRUST_200600_302600_NS5tupleIffNS6_9null_typeES8_S8_S8_S8_S8_S8_S8_EEEEZNS1_34radix_sort_onesweep_global_offsetsIS3_Lb0ENS6_6detail15normal_iteratorINS6_10device_ptrIjEEEENSD_INSE_IS9_EEEEjNS0_19identity_decomposerEEE10hipError_tT1_T2_PT3_SN_jT4_jjP12ihipStream_tbEUlT_E_NS1_11comp_targetILNS1_3genE6ELNS1_11target_archE950ELNS1_3gpuE13ELNS1_3repE0EEENS1_52radix_sort_onesweep_histogram_config_static_selectorELNS0_4arch9wavefront6targetE0EEEvSL_,comdat
.Lfunc_end140:
	.size	_ZN7rocprim17ROCPRIM_400000_NS6detail17trampoline_kernelINS0_14default_configENS1_35radix_sort_onesweep_config_selectorIjN6thrust23THRUST_200600_302600_NS5tupleIffNS6_9null_typeES8_S8_S8_S8_S8_S8_S8_EEEEZNS1_34radix_sort_onesweep_global_offsetsIS3_Lb0ENS6_6detail15normal_iteratorINS6_10device_ptrIjEEEENSD_INSE_IS9_EEEEjNS0_19identity_decomposerEEE10hipError_tT1_T2_PT3_SN_jT4_jjP12ihipStream_tbEUlT_E_NS1_11comp_targetILNS1_3genE6ELNS1_11target_archE950ELNS1_3gpuE13ELNS1_3repE0EEENS1_52radix_sort_onesweep_histogram_config_static_selectorELNS0_4arch9wavefront6targetE0EEEvSL_, .Lfunc_end140-_ZN7rocprim17ROCPRIM_400000_NS6detail17trampoline_kernelINS0_14default_configENS1_35radix_sort_onesweep_config_selectorIjN6thrust23THRUST_200600_302600_NS5tupleIffNS6_9null_typeES8_S8_S8_S8_S8_S8_S8_EEEEZNS1_34radix_sort_onesweep_global_offsetsIS3_Lb0ENS6_6detail15normal_iteratorINS6_10device_ptrIjEEEENSD_INSE_IS9_EEEEjNS0_19identity_decomposerEEE10hipError_tT1_T2_PT3_SN_jT4_jjP12ihipStream_tbEUlT_E_NS1_11comp_targetILNS1_3genE6ELNS1_11target_archE950ELNS1_3gpuE13ELNS1_3repE0EEENS1_52radix_sort_onesweep_histogram_config_static_selectorELNS0_4arch9wavefront6targetE0EEEvSL_
                                        ; -- End function
	.set _ZN7rocprim17ROCPRIM_400000_NS6detail17trampoline_kernelINS0_14default_configENS1_35radix_sort_onesweep_config_selectorIjN6thrust23THRUST_200600_302600_NS5tupleIffNS6_9null_typeES8_S8_S8_S8_S8_S8_S8_EEEEZNS1_34radix_sort_onesweep_global_offsetsIS3_Lb0ENS6_6detail15normal_iteratorINS6_10device_ptrIjEEEENSD_INSE_IS9_EEEEjNS0_19identity_decomposerEEE10hipError_tT1_T2_PT3_SN_jT4_jjP12ihipStream_tbEUlT_E_NS1_11comp_targetILNS1_3genE6ELNS1_11target_archE950ELNS1_3gpuE13ELNS1_3repE0EEENS1_52radix_sort_onesweep_histogram_config_static_selectorELNS0_4arch9wavefront6targetE0EEEvSL_.num_vgpr, 0
	.set _ZN7rocprim17ROCPRIM_400000_NS6detail17trampoline_kernelINS0_14default_configENS1_35radix_sort_onesweep_config_selectorIjN6thrust23THRUST_200600_302600_NS5tupleIffNS6_9null_typeES8_S8_S8_S8_S8_S8_S8_EEEEZNS1_34radix_sort_onesweep_global_offsetsIS3_Lb0ENS6_6detail15normal_iteratorINS6_10device_ptrIjEEEENSD_INSE_IS9_EEEEjNS0_19identity_decomposerEEE10hipError_tT1_T2_PT3_SN_jT4_jjP12ihipStream_tbEUlT_E_NS1_11comp_targetILNS1_3genE6ELNS1_11target_archE950ELNS1_3gpuE13ELNS1_3repE0EEENS1_52radix_sort_onesweep_histogram_config_static_selectorELNS0_4arch9wavefront6targetE0EEEvSL_.num_agpr, 0
	.set _ZN7rocprim17ROCPRIM_400000_NS6detail17trampoline_kernelINS0_14default_configENS1_35radix_sort_onesweep_config_selectorIjN6thrust23THRUST_200600_302600_NS5tupleIffNS6_9null_typeES8_S8_S8_S8_S8_S8_S8_EEEEZNS1_34radix_sort_onesweep_global_offsetsIS3_Lb0ENS6_6detail15normal_iteratorINS6_10device_ptrIjEEEENSD_INSE_IS9_EEEEjNS0_19identity_decomposerEEE10hipError_tT1_T2_PT3_SN_jT4_jjP12ihipStream_tbEUlT_E_NS1_11comp_targetILNS1_3genE6ELNS1_11target_archE950ELNS1_3gpuE13ELNS1_3repE0EEENS1_52radix_sort_onesweep_histogram_config_static_selectorELNS0_4arch9wavefront6targetE0EEEvSL_.numbered_sgpr, 0
	.set _ZN7rocprim17ROCPRIM_400000_NS6detail17trampoline_kernelINS0_14default_configENS1_35radix_sort_onesweep_config_selectorIjN6thrust23THRUST_200600_302600_NS5tupleIffNS6_9null_typeES8_S8_S8_S8_S8_S8_S8_EEEEZNS1_34radix_sort_onesweep_global_offsetsIS3_Lb0ENS6_6detail15normal_iteratorINS6_10device_ptrIjEEEENSD_INSE_IS9_EEEEjNS0_19identity_decomposerEEE10hipError_tT1_T2_PT3_SN_jT4_jjP12ihipStream_tbEUlT_E_NS1_11comp_targetILNS1_3genE6ELNS1_11target_archE950ELNS1_3gpuE13ELNS1_3repE0EEENS1_52radix_sort_onesweep_histogram_config_static_selectorELNS0_4arch9wavefront6targetE0EEEvSL_.num_named_barrier, 0
	.set _ZN7rocprim17ROCPRIM_400000_NS6detail17trampoline_kernelINS0_14default_configENS1_35radix_sort_onesweep_config_selectorIjN6thrust23THRUST_200600_302600_NS5tupleIffNS6_9null_typeES8_S8_S8_S8_S8_S8_S8_EEEEZNS1_34radix_sort_onesweep_global_offsetsIS3_Lb0ENS6_6detail15normal_iteratorINS6_10device_ptrIjEEEENSD_INSE_IS9_EEEEjNS0_19identity_decomposerEEE10hipError_tT1_T2_PT3_SN_jT4_jjP12ihipStream_tbEUlT_E_NS1_11comp_targetILNS1_3genE6ELNS1_11target_archE950ELNS1_3gpuE13ELNS1_3repE0EEENS1_52radix_sort_onesweep_histogram_config_static_selectorELNS0_4arch9wavefront6targetE0EEEvSL_.private_seg_size, 0
	.set _ZN7rocprim17ROCPRIM_400000_NS6detail17trampoline_kernelINS0_14default_configENS1_35radix_sort_onesweep_config_selectorIjN6thrust23THRUST_200600_302600_NS5tupleIffNS6_9null_typeES8_S8_S8_S8_S8_S8_S8_EEEEZNS1_34radix_sort_onesweep_global_offsetsIS3_Lb0ENS6_6detail15normal_iteratorINS6_10device_ptrIjEEEENSD_INSE_IS9_EEEEjNS0_19identity_decomposerEEE10hipError_tT1_T2_PT3_SN_jT4_jjP12ihipStream_tbEUlT_E_NS1_11comp_targetILNS1_3genE6ELNS1_11target_archE950ELNS1_3gpuE13ELNS1_3repE0EEENS1_52radix_sort_onesweep_histogram_config_static_selectorELNS0_4arch9wavefront6targetE0EEEvSL_.uses_vcc, 0
	.set _ZN7rocprim17ROCPRIM_400000_NS6detail17trampoline_kernelINS0_14default_configENS1_35radix_sort_onesweep_config_selectorIjN6thrust23THRUST_200600_302600_NS5tupleIffNS6_9null_typeES8_S8_S8_S8_S8_S8_S8_EEEEZNS1_34radix_sort_onesweep_global_offsetsIS3_Lb0ENS6_6detail15normal_iteratorINS6_10device_ptrIjEEEENSD_INSE_IS9_EEEEjNS0_19identity_decomposerEEE10hipError_tT1_T2_PT3_SN_jT4_jjP12ihipStream_tbEUlT_E_NS1_11comp_targetILNS1_3genE6ELNS1_11target_archE950ELNS1_3gpuE13ELNS1_3repE0EEENS1_52radix_sort_onesweep_histogram_config_static_selectorELNS0_4arch9wavefront6targetE0EEEvSL_.uses_flat_scratch, 0
	.set _ZN7rocprim17ROCPRIM_400000_NS6detail17trampoline_kernelINS0_14default_configENS1_35radix_sort_onesweep_config_selectorIjN6thrust23THRUST_200600_302600_NS5tupleIffNS6_9null_typeES8_S8_S8_S8_S8_S8_S8_EEEEZNS1_34radix_sort_onesweep_global_offsetsIS3_Lb0ENS6_6detail15normal_iteratorINS6_10device_ptrIjEEEENSD_INSE_IS9_EEEEjNS0_19identity_decomposerEEE10hipError_tT1_T2_PT3_SN_jT4_jjP12ihipStream_tbEUlT_E_NS1_11comp_targetILNS1_3genE6ELNS1_11target_archE950ELNS1_3gpuE13ELNS1_3repE0EEENS1_52radix_sort_onesweep_histogram_config_static_selectorELNS0_4arch9wavefront6targetE0EEEvSL_.has_dyn_sized_stack, 0
	.set _ZN7rocprim17ROCPRIM_400000_NS6detail17trampoline_kernelINS0_14default_configENS1_35radix_sort_onesweep_config_selectorIjN6thrust23THRUST_200600_302600_NS5tupleIffNS6_9null_typeES8_S8_S8_S8_S8_S8_S8_EEEEZNS1_34radix_sort_onesweep_global_offsetsIS3_Lb0ENS6_6detail15normal_iteratorINS6_10device_ptrIjEEEENSD_INSE_IS9_EEEEjNS0_19identity_decomposerEEE10hipError_tT1_T2_PT3_SN_jT4_jjP12ihipStream_tbEUlT_E_NS1_11comp_targetILNS1_3genE6ELNS1_11target_archE950ELNS1_3gpuE13ELNS1_3repE0EEENS1_52radix_sort_onesweep_histogram_config_static_selectorELNS0_4arch9wavefront6targetE0EEEvSL_.has_recursion, 0
	.set _ZN7rocprim17ROCPRIM_400000_NS6detail17trampoline_kernelINS0_14default_configENS1_35radix_sort_onesweep_config_selectorIjN6thrust23THRUST_200600_302600_NS5tupleIffNS6_9null_typeES8_S8_S8_S8_S8_S8_S8_EEEEZNS1_34radix_sort_onesweep_global_offsetsIS3_Lb0ENS6_6detail15normal_iteratorINS6_10device_ptrIjEEEENSD_INSE_IS9_EEEEjNS0_19identity_decomposerEEE10hipError_tT1_T2_PT3_SN_jT4_jjP12ihipStream_tbEUlT_E_NS1_11comp_targetILNS1_3genE6ELNS1_11target_archE950ELNS1_3gpuE13ELNS1_3repE0EEENS1_52radix_sort_onesweep_histogram_config_static_selectorELNS0_4arch9wavefront6targetE0EEEvSL_.has_indirect_call, 0
	.section	.AMDGPU.csdata,"",@progbits
; Kernel info:
; codeLenInByte = 0
; TotalNumSgprs: 0
; NumVgprs: 0
; ScratchSize: 0
; MemoryBound: 0
; FloatMode: 240
; IeeeMode: 1
; LDSByteSize: 0 bytes/workgroup (compile time only)
; SGPRBlocks: 0
; VGPRBlocks: 0
; NumSGPRsForWavesPerEU: 1
; NumVGPRsForWavesPerEU: 1
; Occupancy: 16
; WaveLimiterHint : 0
; COMPUTE_PGM_RSRC2:SCRATCH_EN: 0
; COMPUTE_PGM_RSRC2:USER_SGPR: 6
; COMPUTE_PGM_RSRC2:TRAP_HANDLER: 0
; COMPUTE_PGM_RSRC2:TGID_X_EN: 1
; COMPUTE_PGM_RSRC2:TGID_Y_EN: 0
; COMPUTE_PGM_RSRC2:TGID_Z_EN: 0
; COMPUTE_PGM_RSRC2:TIDIG_COMP_CNT: 0
	.section	.text._ZN7rocprim17ROCPRIM_400000_NS6detail17trampoline_kernelINS0_14default_configENS1_35radix_sort_onesweep_config_selectorIjN6thrust23THRUST_200600_302600_NS5tupleIffNS6_9null_typeES8_S8_S8_S8_S8_S8_S8_EEEEZNS1_34radix_sort_onesweep_global_offsetsIS3_Lb0ENS6_6detail15normal_iteratorINS6_10device_ptrIjEEEENSD_INSE_IS9_EEEEjNS0_19identity_decomposerEEE10hipError_tT1_T2_PT3_SN_jT4_jjP12ihipStream_tbEUlT_E_NS1_11comp_targetILNS1_3genE5ELNS1_11target_archE942ELNS1_3gpuE9ELNS1_3repE0EEENS1_52radix_sort_onesweep_histogram_config_static_selectorELNS0_4arch9wavefront6targetE0EEEvSL_,"axG",@progbits,_ZN7rocprim17ROCPRIM_400000_NS6detail17trampoline_kernelINS0_14default_configENS1_35radix_sort_onesweep_config_selectorIjN6thrust23THRUST_200600_302600_NS5tupleIffNS6_9null_typeES8_S8_S8_S8_S8_S8_S8_EEEEZNS1_34radix_sort_onesweep_global_offsetsIS3_Lb0ENS6_6detail15normal_iteratorINS6_10device_ptrIjEEEENSD_INSE_IS9_EEEEjNS0_19identity_decomposerEEE10hipError_tT1_T2_PT3_SN_jT4_jjP12ihipStream_tbEUlT_E_NS1_11comp_targetILNS1_3genE5ELNS1_11target_archE942ELNS1_3gpuE9ELNS1_3repE0EEENS1_52radix_sort_onesweep_histogram_config_static_selectorELNS0_4arch9wavefront6targetE0EEEvSL_,comdat
	.protected	_ZN7rocprim17ROCPRIM_400000_NS6detail17trampoline_kernelINS0_14default_configENS1_35radix_sort_onesweep_config_selectorIjN6thrust23THRUST_200600_302600_NS5tupleIffNS6_9null_typeES8_S8_S8_S8_S8_S8_S8_EEEEZNS1_34radix_sort_onesweep_global_offsetsIS3_Lb0ENS6_6detail15normal_iteratorINS6_10device_ptrIjEEEENSD_INSE_IS9_EEEEjNS0_19identity_decomposerEEE10hipError_tT1_T2_PT3_SN_jT4_jjP12ihipStream_tbEUlT_E_NS1_11comp_targetILNS1_3genE5ELNS1_11target_archE942ELNS1_3gpuE9ELNS1_3repE0EEENS1_52radix_sort_onesweep_histogram_config_static_selectorELNS0_4arch9wavefront6targetE0EEEvSL_ ; -- Begin function _ZN7rocprim17ROCPRIM_400000_NS6detail17trampoline_kernelINS0_14default_configENS1_35radix_sort_onesweep_config_selectorIjN6thrust23THRUST_200600_302600_NS5tupleIffNS6_9null_typeES8_S8_S8_S8_S8_S8_S8_EEEEZNS1_34radix_sort_onesweep_global_offsetsIS3_Lb0ENS6_6detail15normal_iteratorINS6_10device_ptrIjEEEENSD_INSE_IS9_EEEEjNS0_19identity_decomposerEEE10hipError_tT1_T2_PT3_SN_jT4_jjP12ihipStream_tbEUlT_E_NS1_11comp_targetILNS1_3genE5ELNS1_11target_archE942ELNS1_3gpuE9ELNS1_3repE0EEENS1_52radix_sort_onesweep_histogram_config_static_selectorELNS0_4arch9wavefront6targetE0EEEvSL_
	.globl	_ZN7rocprim17ROCPRIM_400000_NS6detail17trampoline_kernelINS0_14default_configENS1_35radix_sort_onesweep_config_selectorIjN6thrust23THRUST_200600_302600_NS5tupleIffNS6_9null_typeES8_S8_S8_S8_S8_S8_S8_EEEEZNS1_34radix_sort_onesweep_global_offsetsIS3_Lb0ENS6_6detail15normal_iteratorINS6_10device_ptrIjEEEENSD_INSE_IS9_EEEEjNS0_19identity_decomposerEEE10hipError_tT1_T2_PT3_SN_jT4_jjP12ihipStream_tbEUlT_E_NS1_11comp_targetILNS1_3genE5ELNS1_11target_archE942ELNS1_3gpuE9ELNS1_3repE0EEENS1_52radix_sort_onesweep_histogram_config_static_selectorELNS0_4arch9wavefront6targetE0EEEvSL_
	.p2align	8
	.type	_ZN7rocprim17ROCPRIM_400000_NS6detail17trampoline_kernelINS0_14default_configENS1_35radix_sort_onesweep_config_selectorIjN6thrust23THRUST_200600_302600_NS5tupleIffNS6_9null_typeES8_S8_S8_S8_S8_S8_S8_EEEEZNS1_34radix_sort_onesweep_global_offsetsIS3_Lb0ENS6_6detail15normal_iteratorINS6_10device_ptrIjEEEENSD_INSE_IS9_EEEEjNS0_19identity_decomposerEEE10hipError_tT1_T2_PT3_SN_jT4_jjP12ihipStream_tbEUlT_E_NS1_11comp_targetILNS1_3genE5ELNS1_11target_archE942ELNS1_3gpuE9ELNS1_3repE0EEENS1_52radix_sort_onesweep_histogram_config_static_selectorELNS0_4arch9wavefront6targetE0EEEvSL_,@function
_ZN7rocprim17ROCPRIM_400000_NS6detail17trampoline_kernelINS0_14default_configENS1_35radix_sort_onesweep_config_selectorIjN6thrust23THRUST_200600_302600_NS5tupleIffNS6_9null_typeES8_S8_S8_S8_S8_S8_S8_EEEEZNS1_34radix_sort_onesweep_global_offsetsIS3_Lb0ENS6_6detail15normal_iteratorINS6_10device_ptrIjEEEENSD_INSE_IS9_EEEEjNS0_19identity_decomposerEEE10hipError_tT1_T2_PT3_SN_jT4_jjP12ihipStream_tbEUlT_E_NS1_11comp_targetILNS1_3genE5ELNS1_11target_archE942ELNS1_3gpuE9ELNS1_3repE0EEENS1_52radix_sort_onesweep_histogram_config_static_selectorELNS0_4arch9wavefront6targetE0EEEvSL_: ; @_ZN7rocprim17ROCPRIM_400000_NS6detail17trampoline_kernelINS0_14default_configENS1_35radix_sort_onesweep_config_selectorIjN6thrust23THRUST_200600_302600_NS5tupleIffNS6_9null_typeES8_S8_S8_S8_S8_S8_S8_EEEEZNS1_34radix_sort_onesweep_global_offsetsIS3_Lb0ENS6_6detail15normal_iteratorINS6_10device_ptrIjEEEENSD_INSE_IS9_EEEEjNS0_19identity_decomposerEEE10hipError_tT1_T2_PT3_SN_jT4_jjP12ihipStream_tbEUlT_E_NS1_11comp_targetILNS1_3genE5ELNS1_11target_archE942ELNS1_3gpuE9ELNS1_3repE0EEENS1_52radix_sort_onesweep_histogram_config_static_selectorELNS0_4arch9wavefront6targetE0EEEvSL_
; %bb.0:
	.section	.rodata,"a",@progbits
	.p2align	6, 0x0
	.amdhsa_kernel _ZN7rocprim17ROCPRIM_400000_NS6detail17trampoline_kernelINS0_14default_configENS1_35radix_sort_onesweep_config_selectorIjN6thrust23THRUST_200600_302600_NS5tupleIffNS6_9null_typeES8_S8_S8_S8_S8_S8_S8_EEEEZNS1_34radix_sort_onesweep_global_offsetsIS3_Lb0ENS6_6detail15normal_iteratorINS6_10device_ptrIjEEEENSD_INSE_IS9_EEEEjNS0_19identity_decomposerEEE10hipError_tT1_T2_PT3_SN_jT4_jjP12ihipStream_tbEUlT_E_NS1_11comp_targetILNS1_3genE5ELNS1_11target_archE942ELNS1_3gpuE9ELNS1_3repE0EEENS1_52radix_sort_onesweep_histogram_config_static_selectorELNS0_4arch9wavefront6targetE0EEEvSL_
		.amdhsa_group_segment_fixed_size 0
		.amdhsa_private_segment_fixed_size 0
		.amdhsa_kernarg_size 40
		.amdhsa_user_sgpr_count 6
		.amdhsa_user_sgpr_private_segment_buffer 1
		.amdhsa_user_sgpr_dispatch_ptr 0
		.amdhsa_user_sgpr_queue_ptr 0
		.amdhsa_user_sgpr_kernarg_segment_ptr 1
		.amdhsa_user_sgpr_dispatch_id 0
		.amdhsa_user_sgpr_flat_scratch_init 0
		.amdhsa_user_sgpr_private_segment_size 0
		.amdhsa_wavefront_size32 1
		.amdhsa_uses_dynamic_stack 0
		.amdhsa_system_sgpr_private_segment_wavefront_offset 0
		.amdhsa_system_sgpr_workgroup_id_x 1
		.amdhsa_system_sgpr_workgroup_id_y 0
		.amdhsa_system_sgpr_workgroup_id_z 0
		.amdhsa_system_sgpr_workgroup_info 0
		.amdhsa_system_vgpr_workitem_id 0
		.amdhsa_next_free_vgpr 1
		.amdhsa_next_free_sgpr 1
		.amdhsa_reserve_vcc 0
		.amdhsa_reserve_flat_scratch 0
		.amdhsa_float_round_mode_32 0
		.amdhsa_float_round_mode_16_64 0
		.amdhsa_float_denorm_mode_32 3
		.amdhsa_float_denorm_mode_16_64 3
		.amdhsa_dx10_clamp 1
		.amdhsa_ieee_mode 1
		.amdhsa_fp16_overflow 0
		.amdhsa_workgroup_processor_mode 1
		.amdhsa_memory_ordered 1
		.amdhsa_forward_progress 1
		.amdhsa_shared_vgpr_count 0
		.amdhsa_exception_fp_ieee_invalid_op 0
		.amdhsa_exception_fp_denorm_src 0
		.amdhsa_exception_fp_ieee_div_zero 0
		.amdhsa_exception_fp_ieee_overflow 0
		.amdhsa_exception_fp_ieee_underflow 0
		.amdhsa_exception_fp_ieee_inexact 0
		.amdhsa_exception_int_div_zero 0
	.end_amdhsa_kernel
	.section	.text._ZN7rocprim17ROCPRIM_400000_NS6detail17trampoline_kernelINS0_14default_configENS1_35radix_sort_onesweep_config_selectorIjN6thrust23THRUST_200600_302600_NS5tupleIffNS6_9null_typeES8_S8_S8_S8_S8_S8_S8_EEEEZNS1_34radix_sort_onesweep_global_offsetsIS3_Lb0ENS6_6detail15normal_iteratorINS6_10device_ptrIjEEEENSD_INSE_IS9_EEEEjNS0_19identity_decomposerEEE10hipError_tT1_T2_PT3_SN_jT4_jjP12ihipStream_tbEUlT_E_NS1_11comp_targetILNS1_3genE5ELNS1_11target_archE942ELNS1_3gpuE9ELNS1_3repE0EEENS1_52radix_sort_onesweep_histogram_config_static_selectorELNS0_4arch9wavefront6targetE0EEEvSL_,"axG",@progbits,_ZN7rocprim17ROCPRIM_400000_NS6detail17trampoline_kernelINS0_14default_configENS1_35radix_sort_onesweep_config_selectorIjN6thrust23THRUST_200600_302600_NS5tupleIffNS6_9null_typeES8_S8_S8_S8_S8_S8_S8_EEEEZNS1_34radix_sort_onesweep_global_offsetsIS3_Lb0ENS6_6detail15normal_iteratorINS6_10device_ptrIjEEEENSD_INSE_IS9_EEEEjNS0_19identity_decomposerEEE10hipError_tT1_T2_PT3_SN_jT4_jjP12ihipStream_tbEUlT_E_NS1_11comp_targetILNS1_3genE5ELNS1_11target_archE942ELNS1_3gpuE9ELNS1_3repE0EEENS1_52radix_sort_onesweep_histogram_config_static_selectorELNS0_4arch9wavefront6targetE0EEEvSL_,comdat
.Lfunc_end141:
	.size	_ZN7rocprim17ROCPRIM_400000_NS6detail17trampoline_kernelINS0_14default_configENS1_35radix_sort_onesweep_config_selectorIjN6thrust23THRUST_200600_302600_NS5tupleIffNS6_9null_typeES8_S8_S8_S8_S8_S8_S8_EEEEZNS1_34radix_sort_onesweep_global_offsetsIS3_Lb0ENS6_6detail15normal_iteratorINS6_10device_ptrIjEEEENSD_INSE_IS9_EEEEjNS0_19identity_decomposerEEE10hipError_tT1_T2_PT3_SN_jT4_jjP12ihipStream_tbEUlT_E_NS1_11comp_targetILNS1_3genE5ELNS1_11target_archE942ELNS1_3gpuE9ELNS1_3repE0EEENS1_52radix_sort_onesweep_histogram_config_static_selectorELNS0_4arch9wavefront6targetE0EEEvSL_, .Lfunc_end141-_ZN7rocprim17ROCPRIM_400000_NS6detail17trampoline_kernelINS0_14default_configENS1_35radix_sort_onesweep_config_selectorIjN6thrust23THRUST_200600_302600_NS5tupleIffNS6_9null_typeES8_S8_S8_S8_S8_S8_S8_EEEEZNS1_34radix_sort_onesweep_global_offsetsIS3_Lb0ENS6_6detail15normal_iteratorINS6_10device_ptrIjEEEENSD_INSE_IS9_EEEEjNS0_19identity_decomposerEEE10hipError_tT1_T2_PT3_SN_jT4_jjP12ihipStream_tbEUlT_E_NS1_11comp_targetILNS1_3genE5ELNS1_11target_archE942ELNS1_3gpuE9ELNS1_3repE0EEENS1_52radix_sort_onesweep_histogram_config_static_selectorELNS0_4arch9wavefront6targetE0EEEvSL_
                                        ; -- End function
	.set _ZN7rocprim17ROCPRIM_400000_NS6detail17trampoline_kernelINS0_14default_configENS1_35radix_sort_onesweep_config_selectorIjN6thrust23THRUST_200600_302600_NS5tupleIffNS6_9null_typeES8_S8_S8_S8_S8_S8_S8_EEEEZNS1_34radix_sort_onesweep_global_offsetsIS3_Lb0ENS6_6detail15normal_iteratorINS6_10device_ptrIjEEEENSD_INSE_IS9_EEEEjNS0_19identity_decomposerEEE10hipError_tT1_T2_PT3_SN_jT4_jjP12ihipStream_tbEUlT_E_NS1_11comp_targetILNS1_3genE5ELNS1_11target_archE942ELNS1_3gpuE9ELNS1_3repE0EEENS1_52radix_sort_onesweep_histogram_config_static_selectorELNS0_4arch9wavefront6targetE0EEEvSL_.num_vgpr, 0
	.set _ZN7rocprim17ROCPRIM_400000_NS6detail17trampoline_kernelINS0_14default_configENS1_35radix_sort_onesweep_config_selectorIjN6thrust23THRUST_200600_302600_NS5tupleIffNS6_9null_typeES8_S8_S8_S8_S8_S8_S8_EEEEZNS1_34radix_sort_onesweep_global_offsetsIS3_Lb0ENS6_6detail15normal_iteratorINS6_10device_ptrIjEEEENSD_INSE_IS9_EEEEjNS0_19identity_decomposerEEE10hipError_tT1_T2_PT3_SN_jT4_jjP12ihipStream_tbEUlT_E_NS1_11comp_targetILNS1_3genE5ELNS1_11target_archE942ELNS1_3gpuE9ELNS1_3repE0EEENS1_52radix_sort_onesweep_histogram_config_static_selectorELNS0_4arch9wavefront6targetE0EEEvSL_.num_agpr, 0
	.set _ZN7rocprim17ROCPRIM_400000_NS6detail17trampoline_kernelINS0_14default_configENS1_35radix_sort_onesweep_config_selectorIjN6thrust23THRUST_200600_302600_NS5tupleIffNS6_9null_typeES8_S8_S8_S8_S8_S8_S8_EEEEZNS1_34radix_sort_onesweep_global_offsetsIS3_Lb0ENS6_6detail15normal_iteratorINS6_10device_ptrIjEEEENSD_INSE_IS9_EEEEjNS0_19identity_decomposerEEE10hipError_tT1_T2_PT3_SN_jT4_jjP12ihipStream_tbEUlT_E_NS1_11comp_targetILNS1_3genE5ELNS1_11target_archE942ELNS1_3gpuE9ELNS1_3repE0EEENS1_52radix_sort_onesweep_histogram_config_static_selectorELNS0_4arch9wavefront6targetE0EEEvSL_.numbered_sgpr, 0
	.set _ZN7rocprim17ROCPRIM_400000_NS6detail17trampoline_kernelINS0_14default_configENS1_35radix_sort_onesweep_config_selectorIjN6thrust23THRUST_200600_302600_NS5tupleIffNS6_9null_typeES8_S8_S8_S8_S8_S8_S8_EEEEZNS1_34radix_sort_onesweep_global_offsetsIS3_Lb0ENS6_6detail15normal_iteratorINS6_10device_ptrIjEEEENSD_INSE_IS9_EEEEjNS0_19identity_decomposerEEE10hipError_tT1_T2_PT3_SN_jT4_jjP12ihipStream_tbEUlT_E_NS1_11comp_targetILNS1_3genE5ELNS1_11target_archE942ELNS1_3gpuE9ELNS1_3repE0EEENS1_52radix_sort_onesweep_histogram_config_static_selectorELNS0_4arch9wavefront6targetE0EEEvSL_.num_named_barrier, 0
	.set _ZN7rocprim17ROCPRIM_400000_NS6detail17trampoline_kernelINS0_14default_configENS1_35radix_sort_onesweep_config_selectorIjN6thrust23THRUST_200600_302600_NS5tupleIffNS6_9null_typeES8_S8_S8_S8_S8_S8_S8_EEEEZNS1_34radix_sort_onesweep_global_offsetsIS3_Lb0ENS6_6detail15normal_iteratorINS6_10device_ptrIjEEEENSD_INSE_IS9_EEEEjNS0_19identity_decomposerEEE10hipError_tT1_T2_PT3_SN_jT4_jjP12ihipStream_tbEUlT_E_NS1_11comp_targetILNS1_3genE5ELNS1_11target_archE942ELNS1_3gpuE9ELNS1_3repE0EEENS1_52radix_sort_onesweep_histogram_config_static_selectorELNS0_4arch9wavefront6targetE0EEEvSL_.private_seg_size, 0
	.set _ZN7rocprim17ROCPRIM_400000_NS6detail17trampoline_kernelINS0_14default_configENS1_35radix_sort_onesweep_config_selectorIjN6thrust23THRUST_200600_302600_NS5tupleIffNS6_9null_typeES8_S8_S8_S8_S8_S8_S8_EEEEZNS1_34radix_sort_onesweep_global_offsetsIS3_Lb0ENS6_6detail15normal_iteratorINS6_10device_ptrIjEEEENSD_INSE_IS9_EEEEjNS0_19identity_decomposerEEE10hipError_tT1_T2_PT3_SN_jT4_jjP12ihipStream_tbEUlT_E_NS1_11comp_targetILNS1_3genE5ELNS1_11target_archE942ELNS1_3gpuE9ELNS1_3repE0EEENS1_52radix_sort_onesweep_histogram_config_static_selectorELNS0_4arch9wavefront6targetE0EEEvSL_.uses_vcc, 0
	.set _ZN7rocprim17ROCPRIM_400000_NS6detail17trampoline_kernelINS0_14default_configENS1_35radix_sort_onesweep_config_selectorIjN6thrust23THRUST_200600_302600_NS5tupleIffNS6_9null_typeES8_S8_S8_S8_S8_S8_S8_EEEEZNS1_34radix_sort_onesweep_global_offsetsIS3_Lb0ENS6_6detail15normal_iteratorINS6_10device_ptrIjEEEENSD_INSE_IS9_EEEEjNS0_19identity_decomposerEEE10hipError_tT1_T2_PT3_SN_jT4_jjP12ihipStream_tbEUlT_E_NS1_11comp_targetILNS1_3genE5ELNS1_11target_archE942ELNS1_3gpuE9ELNS1_3repE0EEENS1_52radix_sort_onesweep_histogram_config_static_selectorELNS0_4arch9wavefront6targetE0EEEvSL_.uses_flat_scratch, 0
	.set _ZN7rocprim17ROCPRIM_400000_NS6detail17trampoline_kernelINS0_14default_configENS1_35radix_sort_onesweep_config_selectorIjN6thrust23THRUST_200600_302600_NS5tupleIffNS6_9null_typeES8_S8_S8_S8_S8_S8_S8_EEEEZNS1_34radix_sort_onesweep_global_offsetsIS3_Lb0ENS6_6detail15normal_iteratorINS6_10device_ptrIjEEEENSD_INSE_IS9_EEEEjNS0_19identity_decomposerEEE10hipError_tT1_T2_PT3_SN_jT4_jjP12ihipStream_tbEUlT_E_NS1_11comp_targetILNS1_3genE5ELNS1_11target_archE942ELNS1_3gpuE9ELNS1_3repE0EEENS1_52radix_sort_onesweep_histogram_config_static_selectorELNS0_4arch9wavefront6targetE0EEEvSL_.has_dyn_sized_stack, 0
	.set _ZN7rocprim17ROCPRIM_400000_NS6detail17trampoline_kernelINS0_14default_configENS1_35radix_sort_onesweep_config_selectorIjN6thrust23THRUST_200600_302600_NS5tupleIffNS6_9null_typeES8_S8_S8_S8_S8_S8_S8_EEEEZNS1_34radix_sort_onesweep_global_offsetsIS3_Lb0ENS6_6detail15normal_iteratorINS6_10device_ptrIjEEEENSD_INSE_IS9_EEEEjNS0_19identity_decomposerEEE10hipError_tT1_T2_PT3_SN_jT4_jjP12ihipStream_tbEUlT_E_NS1_11comp_targetILNS1_3genE5ELNS1_11target_archE942ELNS1_3gpuE9ELNS1_3repE0EEENS1_52radix_sort_onesweep_histogram_config_static_selectorELNS0_4arch9wavefront6targetE0EEEvSL_.has_recursion, 0
	.set _ZN7rocprim17ROCPRIM_400000_NS6detail17trampoline_kernelINS0_14default_configENS1_35radix_sort_onesweep_config_selectorIjN6thrust23THRUST_200600_302600_NS5tupleIffNS6_9null_typeES8_S8_S8_S8_S8_S8_S8_EEEEZNS1_34radix_sort_onesweep_global_offsetsIS3_Lb0ENS6_6detail15normal_iteratorINS6_10device_ptrIjEEEENSD_INSE_IS9_EEEEjNS0_19identity_decomposerEEE10hipError_tT1_T2_PT3_SN_jT4_jjP12ihipStream_tbEUlT_E_NS1_11comp_targetILNS1_3genE5ELNS1_11target_archE942ELNS1_3gpuE9ELNS1_3repE0EEENS1_52radix_sort_onesweep_histogram_config_static_selectorELNS0_4arch9wavefront6targetE0EEEvSL_.has_indirect_call, 0
	.section	.AMDGPU.csdata,"",@progbits
; Kernel info:
; codeLenInByte = 0
; TotalNumSgprs: 0
; NumVgprs: 0
; ScratchSize: 0
; MemoryBound: 0
; FloatMode: 240
; IeeeMode: 1
; LDSByteSize: 0 bytes/workgroup (compile time only)
; SGPRBlocks: 0
; VGPRBlocks: 0
; NumSGPRsForWavesPerEU: 1
; NumVGPRsForWavesPerEU: 1
; Occupancy: 16
; WaveLimiterHint : 0
; COMPUTE_PGM_RSRC2:SCRATCH_EN: 0
; COMPUTE_PGM_RSRC2:USER_SGPR: 6
; COMPUTE_PGM_RSRC2:TRAP_HANDLER: 0
; COMPUTE_PGM_RSRC2:TGID_X_EN: 1
; COMPUTE_PGM_RSRC2:TGID_Y_EN: 0
; COMPUTE_PGM_RSRC2:TGID_Z_EN: 0
; COMPUTE_PGM_RSRC2:TIDIG_COMP_CNT: 0
	.section	.text._ZN7rocprim17ROCPRIM_400000_NS6detail17trampoline_kernelINS0_14default_configENS1_35radix_sort_onesweep_config_selectorIjN6thrust23THRUST_200600_302600_NS5tupleIffNS6_9null_typeES8_S8_S8_S8_S8_S8_S8_EEEEZNS1_34radix_sort_onesweep_global_offsetsIS3_Lb0ENS6_6detail15normal_iteratorINS6_10device_ptrIjEEEENSD_INSE_IS9_EEEEjNS0_19identity_decomposerEEE10hipError_tT1_T2_PT3_SN_jT4_jjP12ihipStream_tbEUlT_E_NS1_11comp_targetILNS1_3genE2ELNS1_11target_archE906ELNS1_3gpuE6ELNS1_3repE0EEENS1_52radix_sort_onesweep_histogram_config_static_selectorELNS0_4arch9wavefront6targetE0EEEvSL_,"axG",@progbits,_ZN7rocprim17ROCPRIM_400000_NS6detail17trampoline_kernelINS0_14default_configENS1_35radix_sort_onesweep_config_selectorIjN6thrust23THRUST_200600_302600_NS5tupleIffNS6_9null_typeES8_S8_S8_S8_S8_S8_S8_EEEEZNS1_34radix_sort_onesweep_global_offsetsIS3_Lb0ENS6_6detail15normal_iteratorINS6_10device_ptrIjEEEENSD_INSE_IS9_EEEEjNS0_19identity_decomposerEEE10hipError_tT1_T2_PT3_SN_jT4_jjP12ihipStream_tbEUlT_E_NS1_11comp_targetILNS1_3genE2ELNS1_11target_archE906ELNS1_3gpuE6ELNS1_3repE0EEENS1_52radix_sort_onesweep_histogram_config_static_selectorELNS0_4arch9wavefront6targetE0EEEvSL_,comdat
	.protected	_ZN7rocprim17ROCPRIM_400000_NS6detail17trampoline_kernelINS0_14default_configENS1_35radix_sort_onesweep_config_selectorIjN6thrust23THRUST_200600_302600_NS5tupleIffNS6_9null_typeES8_S8_S8_S8_S8_S8_S8_EEEEZNS1_34radix_sort_onesweep_global_offsetsIS3_Lb0ENS6_6detail15normal_iteratorINS6_10device_ptrIjEEEENSD_INSE_IS9_EEEEjNS0_19identity_decomposerEEE10hipError_tT1_T2_PT3_SN_jT4_jjP12ihipStream_tbEUlT_E_NS1_11comp_targetILNS1_3genE2ELNS1_11target_archE906ELNS1_3gpuE6ELNS1_3repE0EEENS1_52radix_sort_onesweep_histogram_config_static_selectorELNS0_4arch9wavefront6targetE0EEEvSL_ ; -- Begin function _ZN7rocprim17ROCPRIM_400000_NS6detail17trampoline_kernelINS0_14default_configENS1_35radix_sort_onesweep_config_selectorIjN6thrust23THRUST_200600_302600_NS5tupleIffNS6_9null_typeES8_S8_S8_S8_S8_S8_S8_EEEEZNS1_34radix_sort_onesweep_global_offsetsIS3_Lb0ENS6_6detail15normal_iteratorINS6_10device_ptrIjEEEENSD_INSE_IS9_EEEEjNS0_19identity_decomposerEEE10hipError_tT1_T2_PT3_SN_jT4_jjP12ihipStream_tbEUlT_E_NS1_11comp_targetILNS1_3genE2ELNS1_11target_archE906ELNS1_3gpuE6ELNS1_3repE0EEENS1_52radix_sort_onesweep_histogram_config_static_selectorELNS0_4arch9wavefront6targetE0EEEvSL_
	.globl	_ZN7rocprim17ROCPRIM_400000_NS6detail17trampoline_kernelINS0_14default_configENS1_35radix_sort_onesweep_config_selectorIjN6thrust23THRUST_200600_302600_NS5tupleIffNS6_9null_typeES8_S8_S8_S8_S8_S8_S8_EEEEZNS1_34radix_sort_onesweep_global_offsetsIS3_Lb0ENS6_6detail15normal_iteratorINS6_10device_ptrIjEEEENSD_INSE_IS9_EEEEjNS0_19identity_decomposerEEE10hipError_tT1_T2_PT3_SN_jT4_jjP12ihipStream_tbEUlT_E_NS1_11comp_targetILNS1_3genE2ELNS1_11target_archE906ELNS1_3gpuE6ELNS1_3repE0EEENS1_52radix_sort_onesweep_histogram_config_static_selectorELNS0_4arch9wavefront6targetE0EEEvSL_
	.p2align	8
	.type	_ZN7rocprim17ROCPRIM_400000_NS6detail17trampoline_kernelINS0_14default_configENS1_35radix_sort_onesweep_config_selectorIjN6thrust23THRUST_200600_302600_NS5tupleIffNS6_9null_typeES8_S8_S8_S8_S8_S8_S8_EEEEZNS1_34radix_sort_onesweep_global_offsetsIS3_Lb0ENS6_6detail15normal_iteratorINS6_10device_ptrIjEEEENSD_INSE_IS9_EEEEjNS0_19identity_decomposerEEE10hipError_tT1_T2_PT3_SN_jT4_jjP12ihipStream_tbEUlT_E_NS1_11comp_targetILNS1_3genE2ELNS1_11target_archE906ELNS1_3gpuE6ELNS1_3repE0EEENS1_52radix_sort_onesweep_histogram_config_static_selectorELNS0_4arch9wavefront6targetE0EEEvSL_,@function
_ZN7rocprim17ROCPRIM_400000_NS6detail17trampoline_kernelINS0_14default_configENS1_35radix_sort_onesweep_config_selectorIjN6thrust23THRUST_200600_302600_NS5tupleIffNS6_9null_typeES8_S8_S8_S8_S8_S8_S8_EEEEZNS1_34radix_sort_onesweep_global_offsetsIS3_Lb0ENS6_6detail15normal_iteratorINS6_10device_ptrIjEEEENSD_INSE_IS9_EEEEjNS0_19identity_decomposerEEE10hipError_tT1_T2_PT3_SN_jT4_jjP12ihipStream_tbEUlT_E_NS1_11comp_targetILNS1_3genE2ELNS1_11target_archE906ELNS1_3gpuE6ELNS1_3repE0EEENS1_52radix_sort_onesweep_histogram_config_static_selectorELNS0_4arch9wavefront6targetE0EEEvSL_: ; @_ZN7rocprim17ROCPRIM_400000_NS6detail17trampoline_kernelINS0_14default_configENS1_35radix_sort_onesweep_config_selectorIjN6thrust23THRUST_200600_302600_NS5tupleIffNS6_9null_typeES8_S8_S8_S8_S8_S8_S8_EEEEZNS1_34radix_sort_onesweep_global_offsetsIS3_Lb0ENS6_6detail15normal_iteratorINS6_10device_ptrIjEEEENSD_INSE_IS9_EEEEjNS0_19identity_decomposerEEE10hipError_tT1_T2_PT3_SN_jT4_jjP12ihipStream_tbEUlT_E_NS1_11comp_targetILNS1_3genE2ELNS1_11target_archE906ELNS1_3gpuE6ELNS1_3repE0EEENS1_52radix_sort_onesweep_histogram_config_static_selectorELNS0_4arch9wavefront6targetE0EEEvSL_
; %bb.0:
	.section	.rodata,"a",@progbits
	.p2align	6, 0x0
	.amdhsa_kernel _ZN7rocprim17ROCPRIM_400000_NS6detail17trampoline_kernelINS0_14default_configENS1_35radix_sort_onesweep_config_selectorIjN6thrust23THRUST_200600_302600_NS5tupleIffNS6_9null_typeES8_S8_S8_S8_S8_S8_S8_EEEEZNS1_34radix_sort_onesweep_global_offsetsIS3_Lb0ENS6_6detail15normal_iteratorINS6_10device_ptrIjEEEENSD_INSE_IS9_EEEEjNS0_19identity_decomposerEEE10hipError_tT1_T2_PT3_SN_jT4_jjP12ihipStream_tbEUlT_E_NS1_11comp_targetILNS1_3genE2ELNS1_11target_archE906ELNS1_3gpuE6ELNS1_3repE0EEENS1_52radix_sort_onesweep_histogram_config_static_selectorELNS0_4arch9wavefront6targetE0EEEvSL_
		.amdhsa_group_segment_fixed_size 0
		.amdhsa_private_segment_fixed_size 0
		.amdhsa_kernarg_size 40
		.amdhsa_user_sgpr_count 6
		.amdhsa_user_sgpr_private_segment_buffer 1
		.amdhsa_user_sgpr_dispatch_ptr 0
		.amdhsa_user_sgpr_queue_ptr 0
		.amdhsa_user_sgpr_kernarg_segment_ptr 1
		.amdhsa_user_sgpr_dispatch_id 0
		.amdhsa_user_sgpr_flat_scratch_init 0
		.amdhsa_user_sgpr_private_segment_size 0
		.amdhsa_wavefront_size32 1
		.amdhsa_uses_dynamic_stack 0
		.amdhsa_system_sgpr_private_segment_wavefront_offset 0
		.amdhsa_system_sgpr_workgroup_id_x 1
		.amdhsa_system_sgpr_workgroup_id_y 0
		.amdhsa_system_sgpr_workgroup_id_z 0
		.amdhsa_system_sgpr_workgroup_info 0
		.amdhsa_system_vgpr_workitem_id 0
		.amdhsa_next_free_vgpr 1
		.amdhsa_next_free_sgpr 1
		.amdhsa_reserve_vcc 0
		.amdhsa_reserve_flat_scratch 0
		.amdhsa_float_round_mode_32 0
		.amdhsa_float_round_mode_16_64 0
		.amdhsa_float_denorm_mode_32 3
		.amdhsa_float_denorm_mode_16_64 3
		.amdhsa_dx10_clamp 1
		.amdhsa_ieee_mode 1
		.amdhsa_fp16_overflow 0
		.amdhsa_workgroup_processor_mode 1
		.amdhsa_memory_ordered 1
		.amdhsa_forward_progress 1
		.amdhsa_shared_vgpr_count 0
		.amdhsa_exception_fp_ieee_invalid_op 0
		.amdhsa_exception_fp_denorm_src 0
		.amdhsa_exception_fp_ieee_div_zero 0
		.amdhsa_exception_fp_ieee_overflow 0
		.amdhsa_exception_fp_ieee_underflow 0
		.amdhsa_exception_fp_ieee_inexact 0
		.amdhsa_exception_int_div_zero 0
	.end_amdhsa_kernel
	.section	.text._ZN7rocprim17ROCPRIM_400000_NS6detail17trampoline_kernelINS0_14default_configENS1_35radix_sort_onesweep_config_selectorIjN6thrust23THRUST_200600_302600_NS5tupleIffNS6_9null_typeES8_S8_S8_S8_S8_S8_S8_EEEEZNS1_34radix_sort_onesweep_global_offsetsIS3_Lb0ENS6_6detail15normal_iteratorINS6_10device_ptrIjEEEENSD_INSE_IS9_EEEEjNS0_19identity_decomposerEEE10hipError_tT1_T2_PT3_SN_jT4_jjP12ihipStream_tbEUlT_E_NS1_11comp_targetILNS1_3genE2ELNS1_11target_archE906ELNS1_3gpuE6ELNS1_3repE0EEENS1_52radix_sort_onesweep_histogram_config_static_selectorELNS0_4arch9wavefront6targetE0EEEvSL_,"axG",@progbits,_ZN7rocprim17ROCPRIM_400000_NS6detail17trampoline_kernelINS0_14default_configENS1_35radix_sort_onesweep_config_selectorIjN6thrust23THRUST_200600_302600_NS5tupleIffNS6_9null_typeES8_S8_S8_S8_S8_S8_S8_EEEEZNS1_34radix_sort_onesweep_global_offsetsIS3_Lb0ENS6_6detail15normal_iteratorINS6_10device_ptrIjEEEENSD_INSE_IS9_EEEEjNS0_19identity_decomposerEEE10hipError_tT1_T2_PT3_SN_jT4_jjP12ihipStream_tbEUlT_E_NS1_11comp_targetILNS1_3genE2ELNS1_11target_archE906ELNS1_3gpuE6ELNS1_3repE0EEENS1_52radix_sort_onesweep_histogram_config_static_selectorELNS0_4arch9wavefront6targetE0EEEvSL_,comdat
.Lfunc_end142:
	.size	_ZN7rocprim17ROCPRIM_400000_NS6detail17trampoline_kernelINS0_14default_configENS1_35radix_sort_onesweep_config_selectorIjN6thrust23THRUST_200600_302600_NS5tupleIffNS6_9null_typeES8_S8_S8_S8_S8_S8_S8_EEEEZNS1_34radix_sort_onesweep_global_offsetsIS3_Lb0ENS6_6detail15normal_iteratorINS6_10device_ptrIjEEEENSD_INSE_IS9_EEEEjNS0_19identity_decomposerEEE10hipError_tT1_T2_PT3_SN_jT4_jjP12ihipStream_tbEUlT_E_NS1_11comp_targetILNS1_3genE2ELNS1_11target_archE906ELNS1_3gpuE6ELNS1_3repE0EEENS1_52radix_sort_onesweep_histogram_config_static_selectorELNS0_4arch9wavefront6targetE0EEEvSL_, .Lfunc_end142-_ZN7rocprim17ROCPRIM_400000_NS6detail17trampoline_kernelINS0_14default_configENS1_35radix_sort_onesweep_config_selectorIjN6thrust23THRUST_200600_302600_NS5tupleIffNS6_9null_typeES8_S8_S8_S8_S8_S8_S8_EEEEZNS1_34radix_sort_onesweep_global_offsetsIS3_Lb0ENS6_6detail15normal_iteratorINS6_10device_ptrIjEEEENSD_INSE_IS9_EEEEjNS0_19identity_decomposerEEE10hipError_tT1_T2_PT3_SN_jT4_jjP12ihipStream_tbEUlT_E_NS1_11comp_targetILNS1_3genE2ELNS1_11target_archE906ELNS1_3gpuE6ELNS1_3repE0EEENS1_52radix_sort_onesweep_histogram_config_static_selectorELNS0_4arch9wavefront6targetE0EEEvSL_
                                        ; -- End function
	.set _ZN7rocprim17ROCPRIM_400000_NS6detail17trampoline_kernelINS0_14default_configENS1_35radix_sort_onesweep_config_selectorIjN6thrust23THRUST_200600_302600_NS5tupleIffNS6_9null_typeES8_S8_S8_S8_S8_S8_S8_EEEEZNS1_34radix_sort_onesweep_global_offsetsIS3_Lb0ENS6_6detail15normal_iteratorINS6_10device_ptrIjEEEENSD_INSE_IS9_EEEEjNS0_19identity_decomposerEEE10hipError_tT1_T2_PT3_SN_jT4_jjP12ihipStream_tbEUlT_E_NS1_11comp_targetILNS1_3genE2ELNS1_11target_archE906ELNS1_3gpuE6ELNS1_3repE0EEENS1_52radix_sort_onesweep_histogram_config_static_selectorELNS0_4arch9wavefront6targetE0EEEvSL_.num_vgpr, 0
	.set _ZN7rocprim17ROCPRIM_400000_NS6detail17trampoline_kernelINS0_14default_configENS1_35radix_sort_onesweep_config_selectorIjN6thrust23THRUST_200600_302600_NS5tupleIffNS6_9null_typeES8_S8_S8_S8_S8_S8_S8_EEEEZNS1_34radix_sort_onesweep_global_offsetsIS3_Lb0ENS6_6detail15normal_iteratorINS6_10device_ptrIjEEEENSD_INSE_IS9_EEEEjNS0_19identity_decomposerEEE10hipError_tT1_T2_PT3_SN_jT4_jjP12ihipStream_tbEUlT_E_NS1_11comp_targetILNS1_3genE2ELNS1_11target_archE906ELNS1_3gpuE6ELNS1_3repE0EEENS1_52radix_sort_onesweep_histogram_config_static_selectorELNS0_4arch9wavefront6targetE0EEEvSL_.num_agpr, 0
	.set _ZN7rocprim17ROCPRIM_400000_NS6detail17trampoline_kernelINS0_14default_configENS1_35radix_sort_onesweep_config_selectorIjN6thrust23THRUST_200600_302600_NS5tupleIffNS6_9null_typeES8_S8_S8_S8_S8_S8_S8_EEEEZNS1_34radix_sort_onesweep_global_offsetsIS3_Lb0ENS6_6detail15normal_iteratorINS6_10device_ptrIjEEEENSD_INSE_IS9_EEEEjNS0_19identity_decomposerEEE10hipError_tT1_T2_PT3_SN_jT4_jjP12ihipStream_tbEUlT_E_NS1_11comp_targetILNS1_3genE2ELNS1_11target_archE906ELNS1_3gpuE6ELNS1_3repE0EEENS1_52radix_sort_onesweep_histogram_config_static_selectorELNS0_4arch9wavefront6targetE0EEEvSL_.numbered_sgpr, 0
	.set _ZN7rocprim17ROCPRIM_400000_NS6detail17trampoline_kernelINS0_14default_configENS1_35radix_sort_onesweep_config_selectorIjN6thrust23THRUST_200600_302600_NS5tupleIffNS6_9null_typeES8_S8_S8_S8_S8_S8_S8_EEEEZNS1_34radix_sort_onesweep_global_offsetsIS3_Lb0ENS6_6detail15normal_iteratorINS6_10device_ptrIjEEEENSD_INSE_IS9_EEEEjNS0_19identity_decomposerEEE10hipError_tT1_T2_PT3_SN_jT4_jjP12ihipStream_tbEUlT_E_NS1_11comp_targetILNS1_3genE2ELNS1_11target_archE906ELNS1_3gpuE6ELNS1_3repE0EEENS1_52radix_sort_onesweep_histogram_config_static_selectorELNS0_4arch9wavefront6targetE0EEEvSL_.num_named_barrier, 0
	.set _ZN7rocprim17ROCPRIM_400000_NS6detail17trampoline_kernelINS0_14default_configENS1_35radix_sort_onesweep_config_selectorIjN6thrust23THRUST_200600_302600_NS5tupleIffNS6_9null_typeES8_S8_S8_S8_S8_S8_S8_EEEEZNS1_34radix_sort_onesweep_global_offsetsIS3_Lb0ENS6_6detail15normal_iteratorINS6_10device_ptrIjEEEENSD_INSE_IS9_EEEEjNS0_19identity_decomposerEEE10hipError_tT1_T2_PT3_SN_jT4_jjP12ihipStream_tbEUlT_E_NS1_11comp_targetILNS1_3genE2ELNS1_11target_archE906ELNS1_3gpuE6ELNS1_3repE0EEENS1_52radix_sort_onesweep_histogram_config_static_selectorELNS0_4arch9wavefront6targetE0EEEvSL_.private_seg_size, 0
	.set _ZN7rocprim17ROCPRIM_400000_NS6detail17trampoline_kernelINS0_14default_configENS1_35radix_sort_onesweep_config_selectorIjN6thrust23THRUST_200600_302600_NS5tupleIffNS6_9null_typeES8_S8_S8_S8_S8_S8_S8_EEEEZNS1_34radix_sort_onesweep_global_offsetsIS3_Lb0ENS6_6detail15normal_iteratorINS6_10device_ptrIjEEEENSD_INSE_IS9_EEEEjNS0_19identity_decomposerEEE10hipError_tT1_T2_PT3_SN_jT4_jjP12ihipStream_tbEUlT_E_NS1_11comp_targetILNS1_3genE2ELNS1_11target_archE906ELNS1_3gpuE6ELNS1_3repE0EEENS1_52radix_sort_onesweep_histogram_config_static_selectorELNS0_4arch9wavefront6targetE0EEEvSL_.uses_vcc, 0
	.set _ZN7rocprim17ROCPRIM_400000_NS6detail17trampoline_kernelINS0_14default_configENS1_35radix_sort_onesweep_config_selectorIjN6thrust23THRUST_200600_302600_NS5tupleIffNS6_9null_typeES8_S8_S8_S8_S8_S8_S8_EEEEZNS1_34radix_sort_onesweep_global_offsetsIS3_Lb0ENS6_6detail15normal_iteratorINS6_10device_ptrIjEEEENSD_INSE_IS9_EEEEjNS0_19identity_decomposerEEE10hipError_tT1_T2_PT3_SN_jT4_jjP12ihipStream_tbEUlT_E_NS1_11comp_targetILNS1_3genE2ELNS1_11target_archE906ELNS1_3gpuE6ELNS1_3repE0EEENS1_52radix_sort_onesweep_histogram_config_static_selectorELNS0_4arch9wavefront6targetE0EEEvSL_.uses_flat_scratch, 0
	.set _ZN7rocprim17ROCPRIM_400000_NS6detail17trampoline_kernelINS0_14default_configENS1_35radix_sort_onesweep_config_selectorIjN6thrust23THRUST_200600_302600_NS5tupleIffNS6_9null_typeES8_S8_S8_S8_S8_S8_S8_EEEEZNS1_34radix_sort_onesweep_global_offsetsIS3_Lb0ENS6_6detail15normal_iteratorINS6_10device_ptrIjEEEENSD_INSE_IS9_EEEEjNS0_19identity_decomposerEEE10hipError_tT1_T2_PT3_SN_jT4_jjP12ihipStream_tbEUlT_E_NS1_11comp_targetILNS1_3genE2ELNS1_11target_archE906ELNS1_3gpuE6ELNS1_3repE0EEENS1_52radix_sort_onesweep_histogram_config_static_selectorELNS0_4arch9wavefront6targetE0EEEvSL_.has_dyn_sized_stack, 0
	.set _ZN7rocprim17ROCPRIM_400000_NS6detail17trampoline_kernelINS0_14default_configENS1_35radix_sort_onesweep_config_selectorIjN6thrust23THRUST_200600_302600_NS5tupleIffNS6_9null_typeES8_S8_S8_S8_S8_S8_S8_EEEEZNS1_34radix_sort_onesweep_global_offsetsIS3_Lb0ENS6_6detail15normal_iteratorINS6_10device_ptrIjEEEENSD_INSE_IS9_EEEEjNS0_19identity_decomposerEEE10hipError_tT1_T2_PT3_SN_jT4_jjP12ihipStream_tbEUlT_E_NS1_11comp_targetILNS1_3genE2ELNS1_11target_archE906ELNS1_3gpuE6ELNS1_3repE0EEENS1_52radix_sort_onesweep_histogram_config_static_selectorELNS0_4arch9wavefront6targetE0EEEvSL_.has_recursion, 0
	.set _ZN7rocprim17ROCPRIM_400000_NS6detail17trampoline_kernelINS0_14default_configENS1_35radix_sort_onesweep_config_selectorIjN6thrust23THRUST_200600_302600_NS5tupleIffNS6_9null_typeES8_S8_S8_S8_S8_S8_S8_EEEEZNS1_34radix_sort_onesweep_global_offsetsIS3_Lb0ENS6_6detail15normal_iteratorINS6_10device_ptrIjEEEENSD_INSE_IS9_EEEEjNS0_19identity_decomposerEEE10hipError_tT1_T2_PT3_SN_jT4_jjP12ihipStream_tbEUlT_E_NS1_11comp_targetILNS1_3genE2ELNS1_11target_archE906ELNS1_3gpuE6ELNS1_3repE0EEENS1_52radix_sort_onesweep_histogram_config_static_selectorELNS0_4arch9wavefront6targetE0EEEvSL_.has_indirect_call, 0
	.section	.AMDGPU.csdata,"",@progbits
; Kernel info:
; codeLenInByte = 0
; TotalNumSgprs: 0
; NumVgprs: 0
; ScratchSize: 0
; MemoryBound: 0
; FloatMode: 240
; IeeeMode: 1
; LDSByteSize: 0 bytes/workgroup (compile time only)
; SGPRBlocks: 0
; VGPRBlocks: 0
; NumSGPRsForWavesPerEU: 1
; NumVGPRsForWavesPerEU: 1
; Occupancy: 16
; WaveLimiterHint : 0
; COMPUTE_PGM_RSRC2:SCRATCH_EN: 0
; COMPUTE_PGM_RSRC2:USER_SGPR: 6
; COMPUTE_PGM_RSRC2:TRAP_HANDLER: 0
; COMPUTE_PGM_RSRC2:TGID_X_EN: 1
; COMPUTE_PGM_RSRC2:TGID_Y_EN: 0
; COMPUTE_PGM_RSRC2:TGID_Z_EN: 0
; COMPUTE_PGM_RSRC2:TIDIG_COMP_CNT: 0
	.section	.text._ZN7rocprim17ROCPRIM_400000_NS6detail17trampoline_kernelINS0_14default_configENS1_35radix_sort_onesweep_config_selectorIjN6thrust23THRUST_200600_302600_NS5tupleIffNS6_9null_typeES8_S8_S8_S8_S8_S8_S8_EEEEZNS1_34radix_sort_onesweep_global_offsetsIS3_Lb0ENS6_6detail15normal_iteratorINS6_10device_ptrIjEEEENSD_INSE_IS9_EEEEjNS0_19identity_decomposerEEE10hipError_tT1_T2_PT3_SN_jT4_jjP12ihipStream_tbEUlT_E_NS1_11comp_targetILNS1_3genE4ELNS1_11target_archE910ELNS1_3gpuE8ELNS1_3repE0EEENS1_52radix_sort_onesweep_histogram_config_static_selectorELNS0_4arch9wavefront6targetE0EEEvSL_,"axG",@progbits,_ZN7rocprim17ROCPRIM_400000_NS6detail17trampoline_kernelINS0_14default_configENS1_35radix_sort_onesweep_config_selectorIjN6thrust23THRUST_200600_302600_NS5tupleIffNS6_9null_typeES8_S8_S8_S8_S8_S8_S8_EEEEZNS1_34radix_sort_onesweep_global_offsetsIS3_Lb0ENS6_6detail15normal_iteratorINS6_10device_ptrIjEEEENSD_INSE_IS9_EEEEjNS0_19identity_decomposerEEE10hipError_tT1_T2_PT3_SN_jT4_jjP12ihipStream_tbEUlT_E_NS1_11comp_targetILNS1_3genE4ELNS1_11target_archE910ELNS1_3gpuE8ELNS1_3repE0EEENS1_52radix_sort_onesweep_histogram_config_static_selectorELNS0_4arch9wavefront6targetE0EEEvSL_,comdat
	.protected	_ZN7rocprim17ROCPRIM_400000_NS6detail17trampoline_kernelINS0_14default_configENS1_35radix_sort_onesweep_config_selectorIjN6thrust23THRUST_200600_302600_NS5tupleIffNS6_9null_typeES8_S8_S8_S8_S8_S8_S8_EEEEZNS1_34radix_sort_onesweep_global_offsetsIS3_Lb0ENS6_6detail15normal_iteratorINS6_10device_ptrIjEEEENSD_INSE_IS9_EEEEjNS0_19identity_decomposerEEE10hipError_tT1_T2_PT3_SN_jT4_jjP12ihipStream_tbEUlT_E_NS1_11comp_targetILNS1_3genE4ELNS1_11target_archE910ELNS1_3gpuE8ELNS1_3repE0EEENS1_52radix_sort_onesweep_histogram_config_static_selectorELNS0_4arch9wavefront6targetE0EEEvSL_ ; -- Begin function _ZN7rocprim17ROCPRIM_400000_NS6detail17trampoline_kernelINS0_14default_configENS1_35radix_sort_onesweep_config_selectorIjN6thrust23THRUST_200600_302600_NS5tupleIffNS6_9null_typeES8_S8_S8_S8_S8_S8_S8_EEEEZNS1_34radix_sort_onesweep_global_offsetsIS3_Lb0ENS6_6detail15normal_iteratorINS6_10device_ptrIjEEEENSD_INSE_IS9_EEEEjNS0_19identity_decomposerEEE10hipError_tT1_T2_PT3_SN_jT4_jjP12ihipStream_tbEUlT_E_NS1_11comp_targetILNS1_3genE4ELNS1_11target_archE910ELNS1_3gpuE8ELNS1_3repE0EEENS1_52radix_sort_onesweep_histogram_config_static_selectorELNS0_4arch9wavefront6targetE0EEEvSL_
	.globl	_ZN7rocprim17ROCPRIM_400000_NS6detail17trampoline_kernelINS0_14default_configENS1_35radix_sort_onesweep_config_selectorIjN6thrust23THRUST_200600_302600_NS5tupleIffNS6_9null_typeES8_S8_S8_S8_S8_S8_S8_EEEEZNS1_34radix_sort_onesweep_global_offsetsIS3_Lb0ENS6_6detail15normal_iteratorINS6_10device_ptrIjEEEENSD_INSE_IS9_EEEEjNS0_19identity_decomposerEEE10hipError_tT1_T2_PT3_SN_jT4_jjP12ihipStream_tbEUlT_E_NS1_11comp_targetILNS1_3genE4ELNS1_11target_archE910ELNS1_3gpuE8ELNS1_3repE0EEENS1_52radix_sort_onesweep_histogram_config_static_selectorELNS0_4arch9wavefront6targetE0EEEvSL_
	.p2align	8
	.type	_ZN7rocprim17ROCPRIM_400000_NS6detail17trampoline_kernelINS0_14default_configENS1_35radix_sort_onesweep_config_selectorIjN6thrust23THRUST_200600_302600_NS5tupleIffNS6_9null_typeES8_S8_S8_S8_S8_S8_S8_EEEEZNS1_34radix_sort_onesweep_global_offsetsIS3_Lb0ENS6_6detail15normal_iteratorINS6_10device_ptrIjEEEENSD_INSE_IS9_EEEEjNS0_19identity_decomposerEEE10hipError_tT1_T2_PT3_SN_jT4_jjP12ihipStream_tbEUlT_E_NS1_11comp_targetILNS1_3genE4ELNS1_11target_archE910ELNS1_3gpuE8ELNS1_3repE0EEENS1_52radix_sort_onesweep_histogram_config_static_selectorELNS0_4arch9wavefront6targetE0EEEvSL_,@function
_ZN7rocprim17ROCPRIM_400000_NS6detail17trampoline_kernelINS0_14default_configENS1_35radix_sort_onesweep_config_selectorIjN6thrust23THRUST_200600_302600_NS5tupleIffNS6_9null_typeES8_S8_S8_S8_S8_S8_S8_EEEEZNS1_34radix_sort_onesweep_global_offsetsIS3_Lb0ENS6_6detail15normal_iteratorINS6_10device_ptrIjEEEENSD_INSE_IS9_EEEEjNS0_19identity_decomposerEEE10hipError_tT1_T2_PT3_SN_jT4_jjP12ihipStream_tbEUlT_E_NS1_11comp_targetILNS1_3genE4ELNS1_11target_archE910ELNS1_3gpuE8ELNS1_3repE0EEENS1_52radix_sort_onesweep_histogram_config_static_selectorELNS0_4arch9wavefront6targetE0EEEvSL_: ; @_ZN7rocprim17ROCPRIM_400000_NS6detail17trampoline_kernelINS0_14default_configENS1_35radix_sort_onesweep_config_selectorIjN6thrust23THRUST_200600_302600_NS5tupleIffNS6_9null_typeES8_S8_S8_S8_S8_S8_S8_EEEEZNS1_34radix_sort_onesweep_global_offsetsIS3_Lb0ENS6_6detail15normal_iteratorINS6_10device_ptrIjEEEENSD_INSE_IS9_EEEEjNS0_19identity_decomposerEEE10hipError_tT1_T2_PT3_SN_jT4_jjP12ihipStream_tbEUlT_E_NS1_11comp_targetILNS1_3genE4ELNS1_11target_archE910ELNS1_3gpuE8ELNS1_3repE0EEENS1_52radix_sort_onesweep_histogram_config_static_selectorELNS0_4arch9wavefront6targetE0EEEvSL_
; %bb.0:
	.section	.rodata,"a",@progbits
	.p2align	6, 0x0
	.amdhsa_kernel _ZN7rocprim17ROCPRIM_400000_NS6detail17trampoline_kernelINS0_14default_configENS1_35radix_sort_onesweep_config_selectorIjN6thrust23THRUST_200600_302600_NS5tupleIffNS6_9null_typeES8_S8_S8_S8_S8_S8_S8_EEEEZNS1_34radix_sort_onesweep_global_offsetsIS3_Lb0ENS6_6detail15normal_iteratorINS6_10device_ptrIjEEEENSD_INSE_IS9_EEEEjNS0_19identity_decomposerEEE10hipError_tT1_T2_PT3_SN_jT4_jjP12ihipStream_tbEUlT_E_NS1_11comp_targetILNS1_3genE4ELNS1_11target_archE910ELNS1_3gpuE8ELNS1_3repE0EEENS1_52radix_sort_onesweep_histogram_config_static_selectorELNS0_4arch9wavefront6targetE0EEEvSL_
		.amdhsa_group_segment_fixed_size 0
		.amdhsa_private_segment_fixed_size 0
		.amdhsa_kernarg_size 40
		.amdhsa_user_sgpr_count 6
		.amdhsa_user_sgpr_private_segment_buffer 1
		.amdhsa_user_sgpr_dispatch_ptr 0
		.amdhsa_user_sgpr_queue_ptr 0
		.amdhsa_user_sgpr_kernarg_segment_ptr 1
		.amdhsa_user_sgpr_dispatch_id 0
		.amdhsa_user_sgpr_flat_scratch_init 0
		.amdhsa_user_sgpr_private_segment_size 0
		.amdhsa_wavefront_size32 1
		.amdhsa_uses_dynamic_stack 0
		.amdhsa_system_sgpr_private_segment_wavefront_offset 0
		.amdhsa_system_sgpr_workgroup_id_x 1
		.amdhsa_system_sgpr_workgroup_id_y 0
		.amdhsa_system_sgpr_workgroup_id_z 0
		.amdhsa_system_sgpr_workgroup_info 0
		.amdhsa_system_vgpr_workitem_id 0
		.amdhsa_next_free_vgpr 1
		.amdhsa_next_free_sgpr 1
		.amdhsa_reserve_vcc 0
		.amdhsa_reserve_flat_scratch 0
		.amdhsa_float_round_mode_32 0
		.amdhsa_float_round_mode_16_64 0
		.amdhsa_float_denorm_mode_32 3
		.amdhsa_float_denorm_mode_16_64 3
		.amdhsa_dx10_clamp 1
		.amdhsa_ieee_mode 1
		.amdhsa_fp16_overflow 0
		.amdhsa_workgroup_processor_mode 1
		.amdhsa_memory_ordered 1
		.amdhsa_forward_progress 1
		.amdhsa_shared_vgpr_count 0
		.amdhsa_exception_fp_ieee_invalid_op 0
		.amdhsa_exception_fp_denorm_src 0
		.amdhsa_exception_fp_ieee_div_zero 0
		.amdhsa_exception_fp_ieee_overflow 0
		.amdhsa_exception_fp_ieee_underflow 0
		.amdhsa_exception_fp_ieee_inexact 0
		.amdhsa_exception_int_div_zero 0
	.end_amdhsa_kernel
	.section	.text._ZN7rocprim17ROCPRIM_400000_NS6detail17trampoline_kernelINS0_14default_configENS1_35radix_sort_onesweep_config_selectorIjN6thrust23THRUST_200600_302600_NS5tupleIffNS6_9null_typeES8_S8_S8_S8_S8_S8_S8_EEEEZNS1_34radix_sort_onesweep_global_offsetsIS3_Lb0ENS6_6detail15normal_iteratorINS6_10device_ptrIjEEEENSD_INSE_IS9_EEEEjNS0_19identity_decomposerEEE10hipError_tT1_T2_PT3_SN_jT4_jjP12ihipStream_tbEUlT_E_NS1_11comp_targetILNS1_3genE4ELNS1_11target_archE910ELNS1_3gpuE8ELNS1_3repE0EEENS1_52radix_sort_onesweep_histogram_config_static_selectorELNS0_4arch9wavefront6targetE0EEEvSL_,"axG",@progbits,_ZN7rocprim17ROCPRIM_400000_NS6detail17trampoline_kernelINS0_14default_configENS1_35radix_sort_onesweep_config_selectorIjN6thrust23THRUST_200600_302600_NS5tupleIffNS6_9null_typeES8_S8_S8_S8_S8_S8_S8_EEEEZNS1_34radix_sort_onesweep_global_offsetsIS3_Lb0ENS6_6detail15normal_iteratorINS6_10device_ptrIjEEEENSD_INSE_IS9_EEEEjNS0_19identity_decomposerEEE10hipError_tT1_T2_PT3_SN_jT4_jjP12ihipStream_tbEUlT_E_NS1_11comp_targetILNS1_3genE4ELNS1_11target_archE910ELNS1_3gpuE8ELNS1_3repE0EEENS1_52radix_sort_onesweep_histogram_config_static_selectorELNS0_4arch9wavefront6targetE0EEEvSL_,comdat
.Lfunc_end143:
	.size	_ZN7rocprim17ROCPRIM_400000_NS6detail17trampoline_kernelINS0_14default_configENS1_35radix_sort_onesweep_config_selectorIjN6thrust23THRUST_200600_302600_NS5tupleIffNS6_9null_typeES8_S8_S8_S8_S8_S8_S8_EEEEZNS1_34radix_sort_onesweep_global_offsetsIS3_Lb0ENS6_6detail15normal_iteratorINS6_10device_ptrIjEEEENSD_INSE_IS9_EEEEjNS0_19identity_decomposerEEE10hipError_tT1_T2_PT3_SN_jT4_jjP12ihipStream_tbEUlT_E_NS1_11comp_targetILNS1_3genE4ELNS1_11target_archE910ELNS1_3gpuE8ELNS1_3repE0EEENS1_52radix_sort_onesweep_histogram_config_static_selectorELNS0_4arch9wavefront6targetE0EEEvSL_, .Lfunc_end143-_ZN7rocprim17ROCPRIM_400000_NS6detail17trampoline_kernelINS0_14default_configENS1_35radix_sort_onesweep_config_selectorIjN6thrust23THRUST_200600_302600_NS5tupleIffNS6_9null_typeES8_S8_S8_S8_S8_S8_S8_EEEEZNS1_34radix_sort_onesweep_global_offsetsIS3_Lb0ENS6_6detail15normal_iteratorINS6_10device_ptrIjEEEENSD_INSE_IS9_EEEEjNS0_19identity_decomposerEEE10hipError_tT1_T2_PT3_SN_jT4_jjP12ihipStream_tbEUlT_E_NS1_11comp_targetILNS1_3genE4ELNS1_11target_archE910ELNS1_3gpuE8ELNS1_3repE0EEENS1_52radix_sort_onesweep_histogram_config_static_selectorELNS0_4arch9wavefront6targetE0EEEvSL_
                                        ; -- End function
	.set _ZN7rocprim17ROCPRIM_400000_NS6detail17trampoline_kernelINS0_14default_configENS1_35radix_sort_onesweep_config_selectorIjN6thrust23THRUST_200600_302600_NS5tupleIffNS6_9null_typeES8_S8_S8_S8_S8_S8_S8_EEEEZNS1_34radix_sort_onesweep_global_offsetsIS3_Lb0ENS6_6detail15normal_iteratorINS6_10device_ptrIjEEEENSD_INSE_IS9_EEEEjNS0_19identity_decomposerEEE10hipError_tT1_T2_PT3_SN_jT4_jjP12ihipStream_tbEUlT_E_NS1_11comp_targetILNS1_3genE4ELNS1_11target_archE910ELNS1_3gpuE8ELNS1_3repE0EEENS1_52radix_sort_onesweep_histogram_config_static_selectorELNS0_4arch9wavefront6targetE0EEEvSL_.num_vgpr, 0
	.set _ZN7rocprim17ROCPRIM_400000_NS6detail17trampoline_kernelINS0_14default_configENS1_35radix_sort_onesweep_config_selectorIjN6thrust23THRUST_200600_302600_NS5tupleIffNS6_9null_typeES8_S8_S8_S8_S8_S8_S8_EEEEZNS1_34radix_sort_onesweep_global_offsetsIS3_Lb0ENS6_6detail15normal_iteratorINS6_10device_ptrIjEEEENSD_INSE_IS9_EEEEjNS0_19identity_decomposerEEE10hipError_tT1_T2_PT3_SN_jT4_jjP12ihipStream_tbEUlT_E_NS1_11comp_targetILNS1_3genE4ELNS1_11target_archE910ELNS1_3gpuE8ELNS1_3repE0EEENS1_52radix_sort_onesweep_histogram_config_static_selectorELNS0_4arch9wavefront6targetE0EEEvSL_.num_agpr, 0
	.set _ZN7rocprim17ROCPRIM_400000_NS6detail17trampoline_kernelINS0_14default_configENS1_35radix_sort_onesweep_config_selectorIjN6thrust23THRUST_200600_302600_NS5tupleIffNS6_9null_typeES8_S8_S8_S8_S8_S8_S8_EEEEZNS1_34radix_sort_onesweep_global_offsetsIS3_Lb0ENS6_6detail15normal_iteratorINS6_10device_ptrIjEEEENSD_INSE_IS9_EEEEjNS0_19identity_decomposerEEE10hipError_tT1_T2_PT3_SN_jT4_jjP12ihipStream_tbEUlT_E_NS1_11comp_targetILNS1_3genE4ELNS1_11target_archE910ELNS1_3gpuE8ELNS1_3repE0EEENS1_52radix_sort_onesweep_histogram_config_static_selectorELNS0_4arch9wavefront6targetE0EEEvSL_.numbered_sgpr, 0
	.set _ZN7rocprim17ROCPRIM_400000_NS6detail17trampoline_kernelINS0_14default_configENS1_35radix_sort_onesweep_config_selectorIjN6thrust23THRUST_200600_302600_NS5tupleIffNS6_9null_typeES8_S8_S8_S8_S8_S8_S8_EEEEZNS1_34radix_sort_onesweep_global_offsetsIS3_Lb0ENS6_6detail15normal_iteratorINS6_10device_ptrIjEEEENSD_INSE_IS9_EEEEjNS0_19identity_decomposerEEE10hipError_tT1_T2_PT3_SN_jT4_jjP12ihipStream_tbEUlT_E_NS1_11comp_targetILNS1_3genE4ELNS1_11target_archE910ELNS1_3gpuE8ELNS1_3repE0EEENS1_52radix_sort_onesweep_histogram_config_static_selectorELNS0_4arch9wavefront6targetE0EEEvSL_.num_named_barrier, 0
	.set _ZN7rocprim17ROCPRIM_400000_NS6detail17trampoline_kernelINS0_14default_configENS1_35radix_sort_onesweep_config_selectorIjN6thrust23THRUST_200600_302600_NS5tupleIffNS6_9null_typeES8_S8_S8_S8_S8_S8_S8_EEEEZNS1_34radix_sort_onesweep_global_offsetsIS3_Lb0ENS6_6detail15normal_iteratorINS6_10device_ptrIjEEEENSD_INSE_IS9_EEEEjNS0_19identity_decomposerEEE10hipError_tT1_T2_PT3_SN_jT4_jjP12ihipStream_tbEUlT_E_NS1_11comp_targetILNS1_3genE4ELNS1_11target_archE910ELNS1_3gpuE8ELNS1_3repE0EEENS1_52radix_sort_onesweep_histogram_config_static_selectorELNS0_4arch9wavefront6targetE0EEEvSL_.private_seg_size, 0
	.set _ZN7rocprim17ROCPRIM_400000_NS6detail17trampoline_kernelINS0_14default_configENS1_35radix_sort_onesweep_config_selectorIjN6thrust23THRUST_200600_302600_NS5tupleIffNS6_9null_typeES8_S8_S8_S8_S8_S8_S8_EEEEZNS1_34radix_sort_onesweep_global_offsetsIS3_Lb0ENS6_6detail15normal_iteratorINS6_10device_ptrIjEEEENSD_INSE_IS9_EEEEjNS0_19identity_decomposerEEE10hipError_tT1_T2_PT3_SN_jT4_jjP12ihipStream_tbEUlT_E_NS1_11comp_targetILNS1_3genE4ELNS1_11target_archE910ELNS1_3gpuE8ELNS1_3repE0EEENS1_52radix_sort_onesweep_histogram_config_static_selectorELNS0_4arch9wavefront6targetE0EEEvSL_.uses_vcc, 0
	.set _ZN7rocprim17ROCPRIM_400000_NS6detail17trampoline_kernelINS0_14default_configENS1_35radix_sort_onesweep_config_selectorIjN6thrust23THRUST_200600_302600_NS5tupleIffNS6_9null_typeES8_S8_S8_S8_S8_S8_S8_EEEEZNS1_34radix_sort_onesweep_global_offsetsIS3_Lb0ENS6_6detail15normal_iteratorINS6_10device_ptrIjEEEENSD_INSE_IS9_EEEEjNS0_19identity_decomposerEEE10hipError_tT1_T2_PT3_SN_jT4_jjP12ihipStream_tbEUlT_E_NS1_11comp_targetILNS1_3genE4ELNS1_11target_archE910ELNS1_3gpuE8ELNS1_3repE0EEENS1_52radix_sort_onesweep_histogram_config_static_selectorELNS0_4arch9wavefront6targetE0EEEvSL_.uses_flat_scratch, 0
	.set _ZN7rocprim17ROCPRIM_400000_NS6detail17trampoline_kernelINS0_14default_configENS1_35radix_sort_onesweep_config_selectorIjN6thrust23THRUST_200600_302600_NS5tupleIffNS6_9null_typeES8_S8_S8_S8_S8_S8_S8_EEEEZNS1_34radix_sort_onesweep_global_offsetsIS3_Lb0ENS6_6detail15normal_iteratorINS6_10device_ptrIjEEEENSD_INSE_IS9_EEEEjNS0_19identity_decomposerEEE10hipError_tT1_T2_PT3_SN_jT4_jjP12ihipStream_tbEUlT_E_NS1_11comp_targetILNS1_3genE4ELNS1_11target_archE910ELNS1_3gpuE8ELNS1_3repE0EEENS1_52radix_sort_onesweep_histogram_config_static_selectorELNS0_4arch9wavefront6targetE0EEEvSL_.has_dyn_sized_stack, 0
	.set _ZN7rocprim17ROCPRIM_400000_NS6detail17trampoline_kernelINS0_14default_configENS1_35radix_sort_onesweep_config_selectorIjN6thrust23THRUST_200600_302600_NS5tupleIffNS6_9null_typeES8_S8_S8_S8_S8_S8_S8_EEEEZNS1_34radix_sort_onesweep_global_offsetsIS3_Lb0ENS6_6detail15normal_iteratorINS6_10device_ptrIjEEEENSD_INSE_IS9_EEEEjNS0_19identity_decomposerEEE10hipError_tT1_T2_PT3_SN_jT4_jjP12ihipStream_tbEUlT_E_NS1_11comp_targetILNS1_3genE4ELNS1_11target_archE910ELNS1_3gpuE8ELNS1_3repE0EEENS1_52radix_sort_onesweep_histogram_config_static_selectorELNS0_4arch9wavefront6targetE0EEEvSL_.has_recursion, 0
	.set _ZN7rocprim17ROCPRIM_400000_NS6detail17trampoline_kernelINS0_14default_configENS1_35radix_sort_onesweep_config_selectorIjN6thrust23THRUST_200600_302600_NS5tupleIffNS6_9null_typeES8_S8_S8_S8_S8_S8_S8_EEEEZNS1_34radix_sort_onesweep_global_offsetsIS3_Lb0ENS6_6detail15normal_iteratorINS6_10device_ptrIjEEEENSD_INSE_IS9_EEEEjNS0_19identity_decomposerEEE10hipError_tT1_T2_PT3_SN_jT4_jjP12ihipStream_tbEUlT_E_NS1_11comp_targetILNS1_3genE4ELNS1_11target_archE910ELNS1_3gpuE8ELNS1_3repE0EEENS1_52radix_sort_onesweep_histogram_config_static_selectorELNS0_4arch9wavefront6targetE0EEEvSL_.has_indirect_call, 0
	.section	.AMDGPU.csdata,"",@progbits
; Kernel info:
; codeLenInByte = 0
; TotalNumSgprs: 0
; NumVgprs: 0
; ScratchSize: 0
; MemoryBound: 0
; FloatMode: 240
; IeeeMode: 1
; LDSByteSize: 0 bytes/workgroup (compile time only)
; SGPRBlocks: 0
; VGPRBlocks: 0
; NumSGPRsForWavesPerEU: 1
; NumVGPRsForWavesPerEU: 1
; Occupancy: 16
; WaveLimiterHint : 0
; COMPUTE_PGM_RSRC2:SCRATCH_EN: 0
; COMPUTE_PGM_RSRC2:USER_SGPR: 6
; COMPUTE_PGM_RSRC2:TRAP_HANDLER: 0
; COMPUTE_PGM_RSRC2:TGID_X_EN: 1
; COMPUTE_PGM_RSRC2:TGID_Y_EN: 0
; COMPUTE_PGM_RSRC2:TGID_Z_EN: 0
; COMPUTE_PGM_RSRC2:TIDIG_COMP_CNT: 0
	.section	.text._ZN7rocprim17ROCPRIM_400000_NS6detail17trampoline_kernelINS0_14default_configENS1_35radix_sort_onesweep_config_selectorIjN6thrust23THRUST_200600_302600_NS5tupleIffNS6_9null_typeES8_S8_S8_S8_S8_S8_S8_EEEEZNS1_34radix_sort_onesweep_global_offsetsIS3_Lb0ENS6_6detail15normal_iteratorINS6_10device_ptrIjEEEENSD_INSE_IS9_EEEEjNS0_19identity_decomposerEEE10hipError_tT1_T2_PT3_SN_jT4_jjP12ihipStream_tbEUlT_E_NS1_11comp_targetILNS1_3genE3ELNS1_11target_archE908ELNS1_3gpuE7ELNS1_3repE0EEENS1_52radix_sort_onesweep_histogram_config_static_selectorELNS0_4arch9wavefront6targetE0EEEvSL_,"axG",@progbits,_ZN7rocprim17ROCPRIM_400000_NS6detail17trampoline_kernelINS0_14default_configENS1_35radix_sort_onesweep_config_selectorIjN6thrust23THRUST_200600_302600_NS5tupleIffNS6_9null_typeES8_S8_S8_S8_S8_S8_S8_EEEEZNS1_34radix_sort_onesweep_global_offsetsIS3_Lb0ENS6_6detail15normal_iteratorINS6_10device_ptrIjEEEENSD_INSE_IS9_EEEEjNS0_19identity_decomposerEEE10hipError_tT1_T2_PT3_SN_jT4_jjP12ihipStream_tbEUlT_E_NS1_11comp_targetILNS1_3genE3ELNS1_11target_archE908ELNS1_3gpuE7ELNS1_3repE0EEENS1_52radix_sort_onesweep_histogram_config_static_selectorELNS0_4arch9wavefront6targetE0EEEvSL_,comdat
	.protected	_ZN7rocprim17ROCPRIM_400000_NS6detail17trampoline_kernelINS0_14default_configENS1_35radix_sort_onesweep_config_selectorIjN6thrust23THRUST_200600_302600_NS5tupleIffNS6_9null_typeES8_S8_S8_S8_S8_S8_S8_EEEEZNS1_34radix_sort_onesweep_global_offsetsIS3_Lb0ENS6_6detail15normal_iteratorINS6_10device_ptrIjEEEENSD_INSE_IS9_EEEEjNS0_19identity_decomposerEEE10hipError_tT1_T2_PT3_SN_jT4_jjP12ihipStream_tbEUlT_E_NS1_11comp_targetILNS1_3genE3ELNS1_11target_archE908ELNS1_3gpuE7ELNS1_3repE0EEENS1_52radix_sort_onesweep_histogram_config_static_selectorELNS0_4arch9wavefront6targetE0EEEvSL_ ; -- Begin function _ZN7rocprim17ROCPRIM_400000_NS6detail17trampoline_kernelINS0_14default_configENS1_35radix_sort_onesweep_config_selectorIjN6thrust23THRUST_200600_302600_NS5tupleIffNS6_9null_typeES8_S8_S8_S8_S8_S8_S8_EEEEZNS1_34radix_sort_onesweep_global_offsetsIS3_Lb0ENS6_6detail15normal_iteratorINS6_10device_ptrIjEEEENSD_INSE_IS9_EEEEjNS0_19identity_decomposerEEE10hipError_tT1_T2_PT3_SN_jT4_jjP12ihipStream_tbEUlT_E_NS1_11comp_targetILNS1_3genE3ELNS1_11target_archE908ELNS1_3gpuE7ELNS1_3repE0EEENS1_52radix_sort_onesweep_histogram_config_static_selectorELNS0_4arch9wavefront6targetE0EEEvSL_
	.globl	_ZN7rocprim17ROCPRIM_400000_NS6detail17trampoline_kernelINS0_14default_configENS1_35radix_sort_onesweep_config_selectorIjN6thrust23THRUST_200600_302600_NS5tupleIffNS6_9null_typeES8_S8_S8_S8_S8_S8_S8_EEEEZNS1_34radix_sort_onesweep_global_offsetsIS3_Lb0ENS6_6detail15normal_iteratorINS6_10device_ptrIjEEEENSD_INSE_IS9_EEEEjNS0_19identity_decomposerEEE10hipError_tT1_T2_PT3_SN_jT4_jjP12ihipStream_tbEUlT_E_NS1_11comp_targetILNS1_3genE3ELNS1_11target_archE908ELNS1_3gpuE7ELNS1_3repE0EEENS1_52radix_sort_onesweep_histogram_config_static_selectorELNS0_4arch9wavefront6targetE0EEEvSL_
	.p2align	8
	.type	_ZN7rocprim17ROCPRIM_400000_NS6detail17trampoline_kernelINS0_14default_configENS1_35radix_sort_onesweep_config_selectorIjN6thrust23THRUST_200600_302600_NS5tupleIffNS6_9null_typeES8_S8_S8_S8_S8_S8_S8_EEEEZNS1_34radix_sort_onesweep_global_offsetsIS3_Lb0ENS6_6detail15normal_iteratorINS6_10device_ptrIjEEEENSD_INSE_IS9_EEEEjNS0_19identity_decomposerEEE10hipError_tT1_T2_PT3_SN_jT4_jjP12ihipStream_tbEUlT_E_NS1_11comp_targetILNS1_3genE3ELNS1_11target_archE908ELNS1_3gpuE7ELNS1_3repE0EEENS1_52radix_sort_onesweep_histogram_config_static_selectorELNS0_4arch9wavefront6targetE0EEEvSL_,@function
_ZN7rocprim17ROCPRIM_400000_NS6detail17trampoline_kernelINS0_14default_configENS1_35radix_sort_onesweep_config_selectorIjN6thrust23THRUST_200600_302600_NS5tupleIffNS6_9null_typeES8_S8_S8_S8_S8_S8_S8_EEEEZNS1_34radix_sort_onesweep_global_offsetsIS3_Lb0ENS6_6detail15normal_iteratorINS6_10device_ptrIjEEEENSD_INSE_IS9_EEEEjNS0_19identity_decomposerEEE10hipError_tT1_T2_PT3_SN_jT4_jjP12ihipStream_tbEUlT_E_NS1_11comp_targetILNS1_3genE3ELNS1_11target_archE908ELNS1_3gpuE7ELNS1_3repE0EEENS1_52radix_sort_onesweep_histogram_config_static_selectorELNS0_4arch9wavefront6targetE0EEEvSL_: ; @_ZN7rocprim17ROCPRIM_400000_NS6detail17trampoline_kernelINS0_14default_configENS1_35radix_sort_onesweep_config_selectorIjN6thrust23THRUST_200600_302600_NS5tupleIffNS6_9null_typeES8_S8_S8_S8_S8_S8_S8_EEEEZNS1_34radix_sort_onesweep_global_offsetsIS3_Lb0ENS6_6detail15normal_iteratorINS6_10device_ptrIjEEEENSD_INSE_IS9_EEEEjNS0_19identity_decomposerEEE10hipError_tT1_T2_PT3_SN_jT4_jjP12ihipStream_tbEUlT_E_NS1_11comp_targetILNS1_3genE3ELNS1_11target_archE908ELNS1_3gpuE7ELNS1_3repE0EEENS1_52radix_sort_onesweep_histogram_config_static_selectorELNS0_4arch9wavefront6targetE0EEEvSL_
; %bb.0:
	.section	.rodata,"a",@progbits
	.p2align	6, 0x0
	.amdhsa_kernel _ZN7rocprim17ROCPRIM_400000_NS6detail17trampoline_kernelINS0_14default_configENS1_35radix_sort_onesweep_config_selectorIjN6thrust23THRUST_200600_302600_NS5tupleIffNS6_9null_typeES8_S8_S8_S8_S8_S8_S8_EEEEZNS1_34radix_sort_onesweep_global_offsetsIS3_Lb0ENS6_6detail15normal_iteratorINS6_10device_ptrIjEEEENSD_INSE_IS9_EEEEjNS0_19identity_decomposerEEE10hipError_tT1_T2_PT3_SN_jT4_jjP12ihipStream_tbEUlT_E_NS1_11comp_targetILNS1_3genE3ELNS1_11target_archE908ELNS1_3gpuE7ELNS1_3repE0EEENS1_52radix_sort_onesweep_histogram_config_static_selectorELNS0_4arch9wavefront6targetE0EEEvSL_
		.amdhsa_group_segment_fixed_size 0
		.amdhsa_private_segment_fixed_size 0
		.amdhsa_kernarg_size 40
		.amdhsa_user_sgpr_count 6
		.amdhsa_user_sgpr_private_segment_buffer 1
		.amdhsa_user_sgpr_dispatch_ptr 0
		.amdhsa_user_sgpr_queue_ptr 0
		.amdhsa_user_sgpr_kernarg_segment_ptr 1
		.amdhsa_user_sgpr_dispatch_id 0
		.amdhsa_user_sgpr_flat_scratch_init 0
		.amdhsa_user_sgpr_private_segment_size 0
		.amdhsa_wavefront_size32 1
		.amdhsa_uses_dynamic_stack 0
		.amdhsa_system_sgpr_private_segment_wavefront_offset 0
		.amdhsa_system_sgpr_workgroup_id_x 1
		.amdhsa_system_sgpr_workgroup_id_y 0
		.amdhsa_system_sgpr_workgroup_id_z 0
		.amdhsa_system_sgpr_workgroup_info 0
		.amdhsa_system_vgpr_workitem_id 0
		.amdhsa_next_free_vgpr 1
		.amdhsa_next_free_sgpr 1
		.amdhsa_reserve_vcc 0
		.amdhsa_reserve_flat_scratch 0
		.amdhsa_float_round_mode_32 0
		.amdhsa_float_round_mode_16_64 0
		.amdhsa_float_denorm_mode_32 3
		.amdhsa_float_denorm_mode_16_64 3
		.amdhsa_dx10_clamp 1
		.amdhsa_ieee_mode 1
		.amdhsa_fp16_overflow 0
		.amdhsa_workgroup_processor_mode 1
		.amdhsa_memory_ordered 1
		.amdhsa_forward_progress 1
		.amdhsa_shared_vgpr_count 0
		.amdhsa_exception_fp_ieee_invalid_op 0
		.amdhsa_exception_fp_denorm_src 0
		.amdhsa_exception_fp_ieee_div_zero 0
		.amdhsa_exception_fp_ieee_overflow 0
		.amdhsa_exception_fp_ieee_underflow 0
		.amdhsa_exception_fp_ieee_inexact 0
		.amdhsa_exception_int_div_zero 0
	.end_amdhsa_kernel
	.section	.text._ZN7rocprim17ROCPRIM_400000_NS6detail17trampoline_kernelINS0_14default_configENS1_35radix_sort_onesweep_config_selectorIjN6thrust23THRUST_200600_302600_NS5tupleIffNS6_9null_typeES8_S8_S8_S8_S8_S8_S8_EEEEZNS1_34radix_sort_onesweep_global_offsetsIS3_Lb0ENS6_6detail15normal_iteratorINS6_10device_ptrIjEEEENSD_INSE_IS9_EEEEjNS0_19identity_decomposerEEE10hipError_tT1_T2_PT3_SN_jT4_jjP12ihipStream_tbEUlT_E_NS1_11comp_targetILNS1_3genE3ELNS1_11target_archE908ELNS1_3gpuE7ELNS1_3repE0EEENS1_52radix_sort_onesweep_histogram_config_static_selectorELNS0_4arch9wavefront6targetE0EEEvSL_,"axG",@progbits,_ZN7rocprim17ROCPRIM_400000_NS6detail17trampoline_kernelINS0_14default_configENS1_35radix_sort_onesweep_config_selectorIjN6thrust23THRUST_200600_302600_NS5tupleIffNS6_9null_typeES8_S8_S8_S8_S8_S8_S8_EEEEZNS1_34radix_sort_onesweep_global_offsetsIS3_Lb0ENS6_6detail15normal_iteratorINS6_10device_ptrIjEEEENSD_INSE_IS9_EEEEjNS0_19identity_decomposerEEE10hipError_tT1_T2_PT3_SN_jT4_jjP12ihipStream_tbEUlT_E_NS1_11comp_targetILNS1_3genE3ELNS1_11target_archE908ELNS1_3gpuE7ELNS1_3repE0EEENS1_52radix_sort_onesweep_histogram_config_static_selectorELNS0_4arch9wavefront6targetE0EEEvSL_,comdat
.Lfunc_end144:
	.size	_ZN7rocprim17ROCPRIM_400000_NS6detail17trampoline_kernelINS0_14default_configENS1_35radix_sort_onesweep_config_selectorIjN6thrust23THRUST_200600_302600_NS5tupleIffNS6_9null_typeES8_S8_S8_S8_S8_S8_S8_EEEEZNS1_34radix_sort_onesweep_global_offsetsIS3_Lb0ENS6_6detail15normal_iteratorINS6_10device_ptrIjEEEENSD_INSE_IS9_EEEEjNS0_19identity_decomposerEEE10hipError_tT1_T2_PT3_SN_jT4_jjP12ihipStream_tbEUlT_E_NS1_11comp_targetILNS1_3genE3ELNS1_11target_archE908ELNS1_3gpuE7ELNS1_3repE0EEENS1_52radix_sort_onesweep_histogram_config_static_selectorELNS0_4arch9wavefront6targetE0EEEvSL_, .Lfunc_end144-_ZN7rocprim17ROCPRIM_400000_NS6detail17trampoline_kernelINS0_14default_configENS1_35radix_sort_onesweep_config_selectorIjN6thrust23THRUST_200600_302600_NS5tupleIffNS6_9null_typeES8_S8_S8_S8_S8_S8_S8_EEEEZNS1_34radix_sort_onesweep_global_offsetsIS3_Lb0ENS6_6detail15normal_iteratorINS6_10device_ptrIjEEEENSD_INSE_IS9_EEEEjNS0_19identity_decomposerEEE10hipError_tT1_T2_PT3_SN_jT4_jjP12ihipStream_tbEUlT_E_NS1_11comp_targetILNS1_3genE3ELNS1_11target_archE908ELNS1_3gpuE7ELNS1_3repE0EEENS1_52radix_sort_onesweep_histogram_config_static_selectorELNS0_4arch9wavefront6targetE0EEEvSL_
                                        ; -- End function
	.set _ZN7rocprim17ROCPRIM_400000_NS6detail17trampoline_kernelINS0_14default_configENS1_35radix_sort_onesweep_config_selectorIjN6thrust23THRUST_200600_302600_NS5tupleIffNS6_9null_typeES8_S8_S8_S8_S8_S8_S8_EEEEZNS1_34radix_sort_onesweep_global_offsetsIS3_Lb0ENS6_6detail15normal_iteratorINS6_10device_ptrIjEEEENSD_INSE_IS9_EEEEjNS0_19identity_decomposerEEE10hipError_tT1_T2_PT3_SN_jT4_jjP12ihipStream_tbEUlT_E_NS1_11comp_targetILNS1_3genE3ELNS1_11target_archE908ELNS1_3gpuE7ELNS1_3repE0EEENS1_52radix_sort_onesweep_histogram_config_static_selectorELNS0_4arch9wavefront6targetE0EEEvSL_.num_vgpr, 0
	.set _ZN7rocprim17ROCPRIM_400000_NS6detail17trampoline_kernelINS0_14default_configENS1_35radix_sort_onesweep_config_selectorIjN6thrust23THRUST_200600_302600_NS5tupleIffNS6_9null_typeES8_S8_S8_S8_S8_S8_S8_EEEEZNS1_34radix_sort_onesweep_global_offsetsIS3_Lb0ENS6_6detail15normal_iteratorINS6_10device_ptrIjEEEENSD_INSE_IS9_EEEEjNS0_19identity_decomposerEEE10hipError_tT1_T2_PT3_SN_jT4_jjP12ihipStream_tbEUlT_E_NS1_11comp_targetILNS1_3genE3ELNS1_11target_archE908ELNS1_3gpuE7ELNS1_3repE0EEENS1_52radix_sort_onesweep_histogram_config_static_selectorELNS0_4arch9wavefront6targetE0EEEvSL_.num_agpr, 0
	.set _ZN7rocprim17ROCPRIM_400000_NS6detail17trampoline_kernelINS0_14default_configENS1_35radix_sort_onesweep_config_selectorIjN6thrust23THRUST_200600_302600_NS5tupleIffNS6_9null_typeES8_S8_S8_S8_S8_S8_S8_EEEEZNS1_34radix_sort_onesweep_global_offsetsIS3_Lb0ENS6_6detail15normal_iteratorINS6_10device_ptrIjEEEENSD_INSE_IS9_EEEEjNS0_19identity_decomposerEEE10hipError_tT1_T2_PT3_SN_jT4_jjP12ihipStream_tbEUlT_E_NS1_11comp_targetILNS1_3genE3ELNS1_11target_archE908ELNS1_3gpuE7ELNS1_3repE0EEENS1_52radix_sort_onesweep_histogram_config_static_selectorELNS0_4arch9wavefront6targetE0EEEvSL_.numbered_sgpr, 0
	.set _ZN7rocprim17ROCPRIM_400000_NS6detail17trampoline_kernelINS0_14default_configENS1_35radix_sort_onesweep_config_selectorIjN6thrust23THRUST_200600_302600_NS5tupleIffNS6_9null_typeES8_S8_S8_S8_S8_S8_S8_EEEEZNS1_34radix_sort_onesweep_global_offsetsIS3_Lb0ENS6_6detail15normal_iteratorINS6_10device_ptrIjEEEENSD_INSE_IS9_EEEEjNS0_19identity_decomposerEEE10hipError_tT1_T2_PT3_SN_jT4_jjP12ihipStream_tbEUlT_E_NS1_11comp_targetILNS1_3genE3ELNS1_11target_archE908ELNS1_3gpuE7ELNS1_3repE0EEENS1_52radix_sort_onesweep_histogram_config_static_selectorELNS0_4arch9wavefront6targetE0EEEvSL_.num_named_barrier, 0
	.set _ZN7rocprim17ROCPRIM_400000_NS6detail17trampoline_kernelINS0_14default_configENS1_35radix_sort_onesweep_config_selectorIjN6thrust23THRUST_200600_302600_NS5tupleIffNS6_9null_typeES8_S8_S8_S8_S8_S8_S8_EEEEZNS1_34radix_sort_onesweep_global_offsetsIS3_Lb0ENS6_6detail15normal_iteratorINS6_10device_ptrIjEEEENSD_INSE_IS9_EEEEjNS0_19identity_decomposerEEE10hipError_tT1_T2_PT3_SN_jT4_jjP12ihipStream_tbEUlT_E_NS1_11comp_targetILNS1_3genE3ELNS1_11target_archE908ELNS1_3gpuE7ELNS1_3repE0EEENS1_52radix_sort_onesweep_histogram_config_static_selectorELNS0_4arch9wavefront6targetE0EEEvSL_.private_seg_size, 0
	.set _ZN7rocprim17ROCPRIM_400000_NS6detail17trampoline_kernelINS0_14default_configENS1_35radix_sort_onesweep_config_selectorIjN6thrust23THRUST_200600_302600_NS5tupleIffNS6_9null_typeES8_S8_S8_S8_S8_S8_S8_EEEEZNS1_34radix_sort_onesweep_global_offsetsIS3_Lb0ENS6_6detail15normal_iteratorINS6_10device_ptrIjEEEENSD_INSE_IS9_EEEEjNS0_19identity_decomposerEEE10hipError_tT1_T2_PT3_SN_jT4_jjP12ihipStream_tbEUlT_E_NS1_11comp_targetILNS1_3genE3ELNS1_11target_archE908ELNS1_3gpuE7ELNS1_3repE0EEENS1_52radix_sort_onesweep_histogram_config_static_selectorELNS0_4arch9wavefront6targetE0EEEvSL_.uses_vcc, 0
	.set _ZN7rocprim17ROCPRIM_400000_NS6detail17trampoline_kernelINS0_14default_configENS1_35radix_sort_onesweep_config_selectorIjN6thrust23THRUST_200600_302600_NS5tupleIffNS6_9null_typeES8_S8_S8_S8_S8_S8_S8_EEEEZNS1_34radix_sort_onesweep_global_offsetsIS3_Lb0ENS6_6detail15normal_iteratorINS6_10device_ptrIjEEEENSD_INSE_IS9_EEEEjNS0_19identity_decomposerEEE10hipError_tT1_T2_PT3_SN_jT4_jjP12ihipStream_tbEUlT_E_NS1_11comp_targetILNS1_3genE3ELNS1_11target_archE908ELNS1_3gpuE7ELNS1_3repE0EEENS1_52radix_sort_onesweep_histogram_config_static_selectorELNS0_4arch9wavefront6targetE0EEEvSL_.uses_flat_scratch, 0
	.set _ZN7rocprim17ROCPRIM_400000_NS6detail17trampoline_kernelINS0_14default_configENS1_35radix_sort_onesweep_config_selectorIjN6thrust23THRUST_200600_302600_NS5tupleIffNS6_9null_typeES8_S8_S8_S8_S8_S8_S8_EEEEZNS1_34radix_sort_onesweep_global_offsetsIS3_Lb0ENS6_6detail15normal_iteratorINS6_10device_ptrIjEEEENSD_INSE_IS9_EEEEjNS0_19identity_decomposerEEE10hipError_tT1_T2_PT3_SN_jT4_jjP12ihipStream_tbEUlT_E_NS1_11comp_targetILNS1_3genE3ELNS1_11target_archE908ELNS1_3gpuE7ELNS1_3repE0EEENS1_52radix_sort_onesweep_histogram_config_static_selectorELNS0_4arch9wavefront6targetE0EEEvSL_.has_dyn_sized_stack, 0
	.set _ZN7rocprim17ROCPRIM_400000_NS6detail17trampoline_kernelINS0_14default_configENS1_35radix_sort_onesweep_config_selectorIjN6thrust23THRUST_200600_302600_NS5tupleIffNS6_9null_typeES8_S8_S8_S8_S8_S8_S8_EEEEZNS1_34radix_sort_onesweep_global_offsetsIS3_Lb0ENS6_6detail15normal_iteratorINS6_10device_ptrIjEEEENSD_INSE_IS9_EEEEjNS0_19identity_decomposerEEE10hipError_tT1_T2_PT3_SN_jT4_jjP12ihipStream_tbEUlT_E_NS1_11comp_targetILNS1_3genE3ELNS1_11target_archE908ELNS1_3gpuE7ELNS1_3repE0EEENS1_52radix_sort_onesweep_histogram_config_static_selectorELNS0_4arch9wavefront6targetE0EEEvSL_.has_recursion, 0
	.set _ZN7rocprim17ROCPRIM_400000_NS6detail17trampoline_kernelINS0_14default_configENS1_35radix_sort_onesweep_config_selectorIjN6thrust23THRUST_200600_302600_NS5tupleIffNS6_9null_typeES8_S8_S8_S8_S8_S8_S8_EEEEZNS1_34radix_sort_onesweep_global_offsetsIS3_Lb0ENS6_6detail15normal_iteratorINS6_10device_ptrIjEEEENSD_INSE_IS9_EEEEjNS0_19identity_decomposerEEE10hipError_tT1_T2_PT3_SN_jT4_jjP12ihipStream_tbEUlT_E_NS1_11comp_targetILNS1_3genE3ELNS1_11target_archE908ELNS1_3gpuE7ELNS1_3repE0EEENS1_52radix_sort_onesweep_histogram_config_static_selectorELNS0_4arch9wavefront6targetE0EEEvSL_.has_indirect_call, 0
	.section	.AMDGPU.csdata,"",@progbits
; Kernel info:
; codeLenInByte = 0
; TotalNumSgprs: 0
; NumVgprs: 0
; ScratchSize: 0
; MemoryBound: 0
; FloatMode: 240
; IeeeMode: 1
; LDSByteSize: 0 bytes/workgroup (compile time only)
; SGPRBlocks: 0
; VGPRBlocks: 0
; NumSGPRsForWavesPerEU: 1
; NumVGPRsForWavesPerEU: 1
; Occupancy: 16
; WaveLimiterHint : 0
; COMPUTE_PGM_RSRC2:SCRATCH_EN: 0
; COMPUTE_PGM_RSRC2:USER_SGPR: 6
; COMPUTE_PGM_RSRC2:TRAP_HANDLER: 0
; COMPUTE_PGM_RSRC2:TGID_X_EN: 1
; COMPUTE_PGM_RSRC2:TGID_Y_EN: 0
; COMPUTE_PGM_RSRC2:TGID_Z_EN: 0
; COMPUTE_PGM_RSRC2:TIDIG_COMP_CNT: 0
	.section	.text._ZN7rocprim17ROCPRIM_400000_NS6detail17trampoline_kernelINS0_14default_configENS1_35radix_sort_onesweep_config_selectorIjN6thrust23THRUST_200600_302600_NS5tupleIffNS6_9null_typeES8_S8_S8_S8_S8_S8_S8_EEEEZNS1_34radix_sort_onesweep_global_offsetsIS3_Lb0ENS6_6detail15normal_iteratorINS6_10device_ptrIjEEEENSD_INSE_IS9_EEEEjNS0_19identity_decomposerEEE10hipError_tT1_T2_PT3_SN_jT4_jjP12ihipStream_tbEUlT_E_NS1_11comp_targetILNS1_3genE10ELNS1_11target_archE1201ELNS1_3gpuE5ELNS1_3repE0EEENS1_52radix_sort_onesweep_histogram_config_static_selectorELNS0_4arch9wavefront6targetE0EEEvSL_,"axG",@progbits,_ZN7rocprim17ROCPRIM_400000_NS6detail17trampoline_kernelINS0_14default_configENS1_35radix_sort_onesweep_config_selectorIjN6thrust23THRUST_200600_302600_NS5tupleIffNS6_9null_typeES8_S8_S8_S8_S8_S8_S8_EEEEZNS1_34radix_sort_onesweep_global_offsetsIS3_Lb0ENS6_6detail15normal_iteratorINS6_10device_ptrIjEEEENSD_INSE_IS9_EEEEjNS0_19identity_decomposerEEE10hipError_tT1_T2_PT3_SN_jT4_jjP12ihipStream_tbEUlT_E_NS1_11comp_targetILNS1_3genE10ELNS1_11target_archE1201ELNS1_3gpuE5ELNS1_3repE0EEENS1_52radix_sort_onesweep_histogram_config_static_selectorELNS0_4arch9wavefront6targetE0EEEvSL_,comdat
	.protected	_ZN7rocprim17ROCPRIM_400000_NS6detail17trampoline_kernelINS0_14default_configENS1_35radix_sort_onesweep_config_selectorIjN6thrust23THRUST_200600_302600_NS5tupleIffNS6_9null_typeES8_S8_S8_S8_S8_S8_S8_EEEEZNS1_34radix_sort_onesweep_global_offsetsIS3_Lb0ENS6_6detail15normal_iteratorINS6_10device_ptrIjEEEENSD_INSE_IS9_EEEEjNS0_19identity_decomposerEEE10hipError_tT1_T2_PT3_SN_jT4_jjP12ihipStream_tbEUlT_E_NS1_11comp_targetILNS1_3genE10ELNS1_11target_archE1201ELNS1_3gpuE5ELNS1_3repE0EEENS1_52radix_sort_onesweep_histogram_config_static_selectorELNS0_4arch9wavefront6targetE0EEEvSL_ ; -- Begin function _ZN7rocprim17ROCPRIM_400000_NS6detail17trampoline_kernelINS0_14default_configENS1_35radix_sort_onesweep_config_selectorIjN6thrust23THRUST_200600_302600_NS5tupleIffNS6_9null_typeES8_S8_S8_S8_S8_S8_S8_EEEEZNS1_34radix_sort_onesweep_global_offsetsIS3_Lb0ENS6_6detail15normal_iteratorINS6_10device_ptrIjEEEENSD_INSE_IS9_EEEEjNS0_19identity_decomposerEEE10hipError_tT1_T2_PT3_SN_jT4_jjP12ihipStream_tbEUlT_E_NS1_11comp_targetILNS1_3genE10ELNS1_11target_archE1201ELNS1_3gpuE5ELNS1_3repE0EEENS1_52radix_sort_onesweep_histogram_config_static_selectorELNS0_4arch9wavefront6targetE0EEEvSL_
	.globl	_ZN7rocprim17ROCPRIM_400000_NS6detail17trampoline_kernelINS0_14default_configENS1_35radix_sort_onesweep_config_selectorIjN6thrust23THRUST_200600_302600_NS5tupleIffNS6_9null_typeES8_S8_S8_S8_S8_S8_S8_EEEEZNS1_34radix_sort_onesweep_global_offsetsIS3_Lb0ENS6_6detail15normal_iteratorINS6_10device_ptrIjEEEENSD_INSE_IS9_EEEEjNS0_19identity_decomposerEEE10hipError_tT1_T2_PT3_SN_jT4_jjP12ihipStream_tbEUlT_E_NS1_11comp_targetILNS1_3genE10ELNS1_11target_archE1201ELNS1_3gpuE5ELNS1_3repE0EEENS1_52radix_sort_onesweep_histogram_config_static_selectorELNS0_4arch9wavefront6targetE0EEEvSL_
	.p2align	8
	.type	_ZN7rocprim17ROCPRIM_400000_NS6detail17trampoline_kernelINS0_14default_configENS1_35radix_sort_onesweep_config_selectorIjN6thrust23THRUST_200600_302600_NS5tupleIffNS6_9null_typeES8_S8_S8_S8_S8_S8_S8_EEEEZNS1_34radix_sort_onesweep_global_offsetsIS3_Lb0ENS6_6detail15normal_iteratorINS6_10device_ptrIjEEEENSD_INSE_IS9_EEEEjNS0_19identity_decomposerEEE10hipError_tT1_T2_PT3_SN_jT4_jjP12ihipStream_tbEUlT_E_NS1_11comp_targetILNS1_3genE10ELNS1_11target_archE1201ELNS1_3gpuE5ELNS1_3repE0EEENS1_52radix_sort_onesweep_histogram_config_static_selectorELNS0_4arch9wavefront6targetE0EEEvSL_,@function
_ZN7rocprim17ROCPRIM_400000_NS6detail17trampoline_kernelINS0_14default_configENS1_35radix_sort_onesweep_config_selectorIjN6thrust23THRUST_200600_302600_NS5tupleIffNS6_9null_typeES8_S8_S8_S8_S8_S8_S8_EEEEZNS1_34radix_sort_onesweep_global_offsetsIS3_Lb0ENS6_6detail15normal_iteratorINS6_10device_ptrIjEEEENSD_INSE_IS9_EEEEjNS0_19identity_decomposerEEE10hipError_tT1_T2_PT3_SN_jT4_jjP12ihipStream_tbEUlT_E_NS1_11comp_targetILNS1_3genE10ELNS1_11target_archE1201ELNS1_3gpuE5ELNS1_3repE0EEENS1_52radix_sort_onesweep_histogram_config_static_selectorELNS0_4arch9wavefront6targetE0EEEvSL_: ; @_ZN7rocprim17ROCPRIM_400000_NS6detail17trampoline_kernelINS0_14default_configENS1_35radix_sort_onesweep_config_selectorIjN6thrust23THRUST_200600_302600_NS5tupleIffNS6_9null_typeES8_S8_S8_S8_S8_S8_S8_EEEEZNS1_34radix_sort_onesweep_global_offsetsIS3_Lb0ENS6_6detail15normal_iteratorINS6_10device_ptrIjEEEENSD_INSE_IS9_EEEEjNS0_19identity_decomposerEEE10hipError_tT1_T2_PT3_SN_jT4_jjP12ihipStream_tbEUlT_E_NS1_11comp_targetILNS1_3genE10ELNS1_11target_archE1201ELNS1_3gpuE5ELNS1_3repE0EEENS1_52radix_sort_onesweep_histogram_config_static_selectorELNS0_4arch9wavefront6targetE0EEEvSL_
; %bb.0:
	.section	.rodata,"a",@progbits
	.p2align	6, 0x0
	.amdhsa_kernel _ZN7rocprim17ROCPRIM_400000_NS6detail17trampoline_kernelINS0_14default_configENS1_35radix_sort_onesweep_config_selectorIjN6thrust23THRUST_200600_302600_NS5tupleIffNS6_9null_typeES8_S8_S8_S8_S8_S8_S8_EEEEZNS1_34radix_sort_onesweep_global_offsetsIS3_Lb0ENS6_6detail15normal_iteratorINS6_10device_ptrIjEEEENSD_INSE_IS9_EEEEjNS0_19identity_decomposerEEE10hipError_tT1_T2_PT3_SN_jT4_jjP12ihipStream_tbEUlT_E_NS1_11comp_targetILNS1_3genE10ELNS1_11target_archE1201ELNS1_3gpuE5ELNS1_3repE0EEENS1_52radix_sort_onesweep_histogram_config_static_selectorELNS0_4arch9wavefront6targetE0EEEvSL_
		.amdhsa_group_segment_fixed_size 0
		.amdhsa_private_segment_fixed_size 0
		.amdhsa_kernarg_size 40
		.amdhsa_user_sgpr_count 6
		.amdhsa_user_sgpr_private_segment_buffer 1
		.amdhsa_user_sgpr_dispatch_ptr 0
		.amdhsa_user_sgpr_queue_ptr 0
		.amdhsa_user_sgpr_kernarg_segment_ptr 1
		.amdhsa_user_sgpr_dispatch_id 0
		.amdhsa_user_sgpr_flat_scratch_init 0
		.amdhsa_user_sgpr_private_segment_size 0
		.amdhsa_wavefront_size32 1
		.amdhsa_uses_dynamic_stack 0
		.amdhsa_system_sgpr_private_segment_wavefront_offset 0
		.amdhsa_system_sgpr_workgroup_id_x 1
		.amdhsa_system_sgpr_workgroup_id_y 0
		.amdhsa_system_sgpr_workgroup_id_z 0
		.amdhsa_system_sgpr_workgroup_info 0
		.amdhsa_system_vgpr_workitem_id 0
		.amdhsa_next_free_vgpr 1
		.amdhsa_next_free_sgpr 1
		.amdhsa_reserve_vcc 0
		.amdhsa_reserve_flat_scratch 0
		.amdhsa_float_round_mode_32 0
		.amdhsa_float_round_mode_16_64 0
		.amdhsa_float_denorm_mode_32 3
		.amdhsa_float_denorm_mode_16_64 3
		.amdhsa_dx10_clamp 1
		.amdhsa_ieee_mode 1
		.amdhsa_fp16_overflow 0
		.amdhsa_workgroup_processor_mode 1
		.amdhsa_memory_ordered 1
		.amdhsa_forward_progress 1
		.amdhsa_shared_vgpr_count 0
		.amdhsa_exception_fp_ieee_invalid_op 0
		.amdhsa_exception_fp_denorm_src 0
		.amdhsa_exception_fp_ieee_div_zero 0
		.amdhsa_exception_fp_ieee_overflow 0
		.amdhsa_exception_fp_ieee_underflow 0
		.amdhsa_exception_fp_ieee_inexact 0
		.amdhsa_exception_int_div_zero 0
	.end_amdhsa_kernel
	.section	.text._ZN7rocprim17ROCPRIM_400000_NS6detail17trampoline_kernelINS0_14default_configENS1_35radix_sort_onesweep_config_selectorIjN6thrust23THRUST_200600_302600_NS5tupleIffNS6_9null_typeES8_S8_S8_S8_S8_S8_S8_EEEEZNS1_34radix_sort_onesweep_global_offsetsIS3_Lb0ENS6_6detail15normal_iteratorINS6_10device_ptrIjEEEENSD_INSE_IS9_EEEEjNS0_19identity_decomposerEEE10hipError_tT1_T2_PT3_SN_jT4_jjP12ihipStream_tbEUlT_E_NS1_11comp_targetILNS1_3genE10ELNS1_11target_archE1201ELNS1_3gpuE5ELNS1_3repE0EEENS1_52radix_sort_onesweep_histogram_config_static_selectorELNS0_4arch9wavefront6targetE0EEEvSL_,"axG",@progbits,_ZN7rocprim17ROCPRIM_400000_NS6detail17trampoline_kernelINS0_14default_configENS1_35radix_sort_onesweep_config_selectorIjN6thrust23THRUST_200600_302600_NS5tupleIffNS6_9null_typeES8_S8_S8_S8_S8_S8_S8_EEEEZNS1_34radix_sort_onesweep_global_offsetsIS3_Lb0ENS6_6detail15normal_iteratorINS6_10device_ptrIjEEEENSD_INSE_IS9_EEEEjNS0_19identity_decomposerEEE10hipError_tT1_T2_PT3_SN_jT4_jjP12ihipStream_tbEUlT_E_NS1_11comp_targetILNS1_3genE10ELNS1_11target_archE1201ELNS1_3gpuE5ELNS1_3repE0EEENS1_52radix_sort_onesweep_histogram_config_static_selectorELNS0_4arch9wavefront6targetE0EEEvSL_,comdat
.Lfunc_end145:
	.size	_ZN7rocprim17ROCPRIM_400000_NS6detail17trampoline_kernelINS0_14default_configENS1_35radix_sort_onesweep_config_selectorIjN6thrust23THRUST_200600_302600_NS5tupleIffNS6_9null_typeES8_S8_S8_S8_S8_S8_S8_EEEEZNS1_34radix_sort_onesweep_global_offsetsIS3_Lb0ENS6_6detail15normal_iteratorINS6_10device_ptrIjEEEENSD_INSE_IS9_EEEEjNS0_19identity_decomposerEEE10hipError_tT1_T2_PT3_SN_jT4_jjP12ihipStream_tbEUlT_E_NS1_11comp_targetILNS1_3genE10ELNS1_11target_archE1201ELNS1_3gpuE5ELNS1_3repE0EEENS1_52radix_sort_onesweep_histogram_config_static_selectorELNS0_4arch9wavefront6targetE0EEEvSL_, .Lfunc_end145-_ZN7rocprim17ROCPRIM_400000_NS6detail17trampoline_kernelINS0_14default_configENS1_35radix_sort_onesweep_config_selectorIjN6thrust23THRUST_200600_302600_NS5tupleIffNS6_9null_typeES8_S8_S8_S8_S8_S8_S8_EEEEZNS1_34radix_sort_onesweep_global_offsetsIS3_Lb0ENS6_6detail15normal_iteratorINS6_10device_ptrIjEEEENSD_INSE_IS9_EEEEjNS0_19identity_decomposerEEE10hipError_tT1_T2_PT3_SN_jT4_jjP12ihipStream_tbEUlT_E_NS1_11comp_targetILNS1_3genE10ELNS1_11target_archE1201ELNS1_3gpuE5ELNS1_3repE0EEENS1_52radix_sort_onesweep_histogram_config_static_selectorELNS0_4arch9wavefront6targetE0EEEvSL_
                                        ; -- End function
	.set _ZN7rocprim17ROCPRIM_400000_NS6detail17trampoline_kernelINS0_14default_configENS1_35radix_sort_onesweep_config_selectorIjN6thrust23THRUST_200600_302600_NS5tupleIffNS6_9null_typeES8_S8_S8_S8_S8_S8_S8_EEEEZNS1_34radix_sort_onesweep_global_offsetsIS3_Lb0ENS6_6detail15normal_iteratorINS6_10device_ptrIjEEEENSD_INSE_IS9_EEEEjNS0_19identity_decomposerEEE10hipError_tT1_T2_PT3_SN_jT4_jjP12ihipStream_tbEUlT_E_NS1_11comp_targetILNS1_3genE10ELNS1_11target_archE1201ELNS1_3gpuE5ELNS1_3repE0EEENS1_52radix_sort_onesweep_histogram_config_static_selectorELNS0_4arch9wavefront6targetE0EEEvSL_.num_vgpr, 0
	.set _ZN7rocprim17ROCPRIM_400000_NS6detail17trampoline_kernelINS0_14default_configENS1_35radix_sort_onesweep_config_selectorIjN6thrust23THRUST_200600_302600_NS5tupleIffNS6_9null_typeES8_S8_S8_S8_S8_S8_S8_EEEEZNS1_34radix_sort_onesweep_global_offsetsIS3_Lb0ENS6_6detail15normal_iteratorINS6_10device_ptrIjEEEENSD_INSE_IS9_EEEEjNS0_19identity_decomposerEEE10hipError_tT1_T2_PT3_SN_jT4_jjP12ihipStream_tbEUlT_E_NS1_11comp_targetILNS1_3genE10ELNS1_11target_archE1201ELNS1_3gpuE5ELNS1_3repE0EEENS1_52radix_sort_onesweep_histogram_config_static_selectorELNS0_4arch9wavefront6targetE0EEEvSL_.num_agpr, 0
	.set _ZN7rocprim17ROCPRIM_400000_NS6detail17trampoline_kernelINS0_14default_configENS1_35radix_sort_onesweep_config_selectorIjN6thrust23THRUST_200600_302600_NS5tupleIffNS6_9null_typeES8_S8_S8_S8_S8_S8_S8_EEEEZNS1_34radix_sort_onesweep_global_offsetsIS3_Lb0ENS6_6detail15normal_iteratorINS6_10device_ptrIjEEEENSD_INSE_IS9_EEEEjNS0_19identity_decomposerEEE10hipError_tT1_T2_PT3_SN_jT4_jjP12ihipStream_tbEUlT_E_NS1_11comp_targetILNS1_3genE10ELNS1_11target_archE1201ELNS1_3gpuE5ELNS1_3repE0EEENS1_52radix_sort_onesweep_histogram_config_static_selectorELNS0_4arch9wavefront6targetE0EEEvSL_.numbered_sgpr, 0
	.set _ZN7rocprim17ROCPRIM_400000_NS6detail17trampoline_kernelINS0_14default_configENS1_35radix_sort_onesweep_config_selectorIjN6thrust23THRUST_200600_302600_NS5tupleIffNS6_9null_typeES8_S8_S8_S8_S8_S8_S8_EEEEZNS1_34radix_sort_onesweep_global_offsetsIS3_Lb0ENS6_6detail15normal_iteratorINS6_10device_ptrIjEEEENSD_INSE_IS9_EEEEjNS0_19identity_decomposerEEE10hipError_tT1_T2_PT3_SN_jT4_jjP12ihipStream_tbEUlT_E_NS1_11comp_targetILNS1_3genE10ELNS1_11target_archE1201ELNS1_3gpuE5ELNS1_3repE0EEENS1_52radix_sort_onesweep_histogram_config_static_selectorELNS0_4arch9wavefront6targetE0EEEvSL_.num_named_barrier, 0
	.set _ZN7rocprim17ROCPRIM_400000_NS6detail17trampoline_kernelINS0_14default_configENS1_35radix_sort_onesweep_config_selectorIjN6thrust23THRUST_200600_302600_NS5tupleIffNS6_9null_typeES8_S8_S8_S8_S8_S8_S8_EEEEZNS1_34radix_sort_onesweep_global_offsetsIS3_Lb0ENS6_6detail15normal_iteratorINS6_10device_ptrIjEEEENSD_INSE_IS9_EEEEjNS0_19identity_decomposerEEE10hipError_tT1_T2_PT3_SN_jT4_jjP12ihipStream_tbEUlT_E_NS1_11comp_targetILNS1_3genE10ELNS1_11target_archE1201ELNS1_3gpuE5ELNS1_3repE0EEENS1_52radix_sort_onesweep_histogram_config_static_selectorELNS0_4arch9wavefront6targetE0EEEvSL_.private_seg_size, 0
	.set _ZN7rocprim17ROCPRIM_400000_NS6detail17trampoline_kernelINS0_14default_configENS1_35radix_sort_onesweep_config_selectorIjN6thrust23THRUST_200600_302600_NS5tupleIffNS6_9null_typeES8_S8_S8_S8_S8_S8_S8_EEEEZNS1_34radix_sort_onesweep_global_offsetsIS3_Lb0ENS6_6detail15normal_iteratorINS6_10device_ptrIjEEEENSD_INSE_IS9_EEEEjNS0_19identity_decomposerEEE10hipError_tT1_T2_PT3_SN_jT4_jjP12ihipStream_tbEUlT_E_NS1_11comp_targetILNS1_3genE10ELNS1_11target_archE1201ELNS1_3gpuE5ELNS1_3repE0EEENS1_52radix_sort_onesweep_histogram_config_static_selectorELNS0_4arch9wavefront6targetE0EEEvSL_.uses_vcc, 0
	.set _ZN7rocprim17ROCPRIM_400000_NS6detail17trampoline_kernelINS0_14default_configENS1_35radix_sort_onesweep_config_selectorIjN6thrust23THRUST_200600_302600_NS5tupleIffNS6_9null_typeES8_S8_S8_S8_S8_S8_S8_EEEEZNS1_34radix_sort_onesweep_global_offsetsIS3_Lb0ENS6_6detail15normal_iteratorINS6_10device_ptrIjEEEENSD_INSE_IS9_EEEEjNS0_19identity_decomposerEEE10hipError_tT1_T2_PT3_SN_jT4_jjP12ihipStream_tbEUlT_E_NS1_11comp_targetILNS1_3genE10ELNS1_11target_archE1201ELNS1_3gpuE5ELNS1_3repE0EEENS1_52radix_sort_onesweep_histogram_config_static_selectorELNS0_4arch9wavefront6targetE0EEEvSL_.uses_flat_scratch, 0
	.set _ZN7rocprim17ROCPRIM_400000_NS6detail17trampoline_kernelINS0_14default_configENS1_35radix_sort_onesweep_config_selectorIjN6thrust23THRUST_200600_302600_NS5tupleIffNS6_9null_typeES8_S8_S8_S8_S8_S8_S8_EEEEZNS1_34radix_sort_onesweep_global_offsetsIS3_Lb0ENS6_6detail15normal_iteratorINS6_10device_ptrIjEEEENSD_INSE_IS9_EEEEjNS0_19identity_decomposerEEE10hipError_tT1_T2_PT3_SN_jT4_jjP12ihipStream_tbEUlT_E_NS1_11comp_targetILNS1_3genE10ELNS1_11target_archE1201ELNS1_3gpuE5ELNS1_3repE0EEENS1_52radix_sort_onesweep_histogram_config_static_selectorELNS0_4arch9wavefront6targetE0EEEvSL_.has_dyn_sized_stack, 0
	.set _ZN7rocprim17ROCPRIM_400000_NS6detail17trampoline_kernelINS0_14default_configENS1_35radix_sort_onesweep_config_selectorIjN6thrust23THRUST_200600_302600_NS5tupleIffNS6_9null_typeES8_S8_S8_S8_S8_S8_S8_EEEEZNS1_34radix_sort_onesweep_global_offsetsIS3_Lb0ENS6_6detail15normal_iteratorINS6_10device_ptrIjEEEENSD_INSE_IS9_EEEEjNS0_19identity_decomposerEEE10hipError_tT1_T2_PT3_SN_jT4_jjP12ihipStream_tbEUlT_E_NS1_11comp_targetILNS1_3genE10ELNS1_11target_archE1201ELNS1_3gpuE5ELNS1_3repE0EEENS1_52radix_sort_onesweep_histogram_config_static_selectorELNS0_4arch9wavefront6targetE0EEEvSL_.has_recursion, 0
	.set _ZN7rocprim17ROCPRIM_400000_NS6detail17trampoline_kernelINS0_14default_configENS1_35radix_sort_onesweep_config_selectorIjN6thrust23THRUST_200600_302600_NS5tupleIffNS6_9null_typeES8_S8_S8_S8_S8_S8_S8_EEEEZNS1_34radix_sort_onesweep_global_offsetsIS3_Lb0ENS6_6detail15normal_iteratorINS6_10device_ptrIjEEEENSD_INSE_IS9_EEEEjNS0_19identity_decomposerEEE10hipError_tT1_T2_PT3_SN_jT4_jjP12ihipStream_tbEUlT_E_NS1_11comp_targetILNS1_3genE10ELNS1_11target_archE1201ELNS1_3gpuE5ELNS1_3repE0EEENS1_52radix_sort_onesweep_histogram_config_static_selectorELNS0_4arch9wavefront6targetE0EEEvSL_.has_indirect_call, 0
	.section	.AMDGPU.csdata,"",@progbits
; Kernel info:
; codeLenInByte = 0
; TotalNumSgprs: 0
; NumVgprs: 0
; ScratchSize: 0
; MemoryBound: 0
; FloatMode: 240
; IeeeMode: 1
; LDSByteSize: 0 bytes/workgroup (compile time only)
; SGPRBlocks: 0
; VGPRBlocks: 0
; NumSGPRsForWavesPerEU: 1
; NumVGPRsForWavesPerEU: 1
; Occupancy: 16
; WaveLimiterHint : 0
; COMPUTE_PGM_RSRC2:SCRATCH_EN: 0
; COMPUTE_PGM_RSRC2:USER_SGPR: 6
; COMPUTE_PGM_RSRC2:TRAP_HANDLER: 0
; COMPUTE_PGM_RSRC2:TGID_X_EN: 1
; COMPUTE_PGM_RSRC2:TGID_Y_EN: 0
; COMPUTE_PGM_RSRC2:TGID_Z_EN: 0
; COMPUTE_PGM_RSRC2:TIDIG_COMP_CNT: 0
	.section	.text._ZN7rocprim17ROCPRIM_400000_NS6detail17trampoline_kernelINS0_14default_configENS1_35radix_sort_onesweep_config_selectorIjN6thrust23THRUST_200600_302600_NS5tupleIffNS6_9null_typeES8_S8_S8_S8_S8_S8_S8_EEEEZNS1_34radix_sort_onesweep_global_offsetsIS3_Lb0ENS6_6detail15normal_iteratorINS6_10device_ptrIjEEEENSD_INSE_IS9_EEEEjNS0_19identity_decomposerEEE10hipError_tT1_T2_PT3_SN_jT4_jjP12ihipStream_tbEUlT_E_NS1_11comp_targetILNS1_3genE9ELNS1_11target_archE1100ELNS1_3gpuE3ELNS1_3repE0EEENS1_52radix_sort_onesweep_histogram_config_static_selectorELNS0_4arch9wavefront6targetE0EEEvSL_,"axG",@progbits,_ZN7rocprim17ROCPRIM_400000_NS6detail17trampoline_kernelINS0_14default_configENS1_35radix_sort_onesweep_config_selectorIjN6thrust23THRUST_200600_302600_NS5tupleIffNS6_9null_typeES8_S8_S8_S8_S8_S8_S8_EEEEZNS1_34radix_sort_onesweep_global_offsetsIS3_Lb0ENS6_6detail15normal_iteratorINS6_10device_ptrIjEEEENSD_INSE_IS9_EEEEjNS0_19identity_decomposerEEE10hipError_tT1_T2_PT3_SN_jT4_jjP12ihipStream_tbEUlT_E_NS1_11comp_targetILNS1_3genE9ELNS1_11target_archE1100ELNS1_3gpuE3ELNS1_3repE0EEENS1_52radix_sort_onesweep_histogram_config_static_selectorELNS0_4arch9wavefront6targetE0EEEvSL_,comdat
	.protected	_ZN7rocprim17ROCPRIM_400000_NS6detail17trampoline_kernelINS0_14default_configENS1_35radix_sort_onesweep_config_selectorIjN6thrust23THRUST_200600_302600_NS5tupleIffNS6_9null_typeES8_S8_S8_S8_S8_S8_S8_EEEEZNS1_34radix_sort_onesweep_global_offsetsIS3_Lb0ENS6_6detail15normal_iteratorINS6_10device_ptrIjEEEENSD_INSE_IS9_EEEEjNS0_19identity_decomposerEEE10hipError_tT1_T2_PT3_SN_jT4_jjP12ihipStream_tbEUlT_E_NS1_11comp_targetILNS1_3genE9ELNS1_11target_archE1100ELNS1_3gpuE3ELNS1_3repE0EEENS1_52radix_sort_onesweep_histogram_config_static_selectorELNS0_4arch9wavefront6targetE0EEEvSL_ ; -- Begin function _ZN7rocprim17ROCPRIM_400000_NS6detail17trampoline_kernelINS0_14default_configENS1_35radix_sort_onesweep_config_selectorIjN6thrust23THRUST_200600_302600_NS5tupleIffNS6_9null_typeES8_S8_S8_S8_S8_S8_S8_EEEEZNS1_34radix_sort_onesweep_global_offsetsIS3_Lb0ENS6_6detail15normal_iteratorINS6_10device_ptrIjEEEENSD_INSE_IS9_EEEEjNS0_19identity_decomposerEEE10hipError_tT1_T2_PT3_SN_jT4_jjP12ihipStream_tbEUlT_E_NS1_11comp_targetILNS1_3genE9ELNS1_11target_archE1100ELNS1_3gpuE3ELNS1_3repE0EEENS1_52radix_sort_onesweep_histogram_config_static_selectorELNS0_4arch9wavefront6targetE0EEEvSL_
	.globl	_ZN7rocprim17ROCPRIM_400000_NS6detail17trampoline_kernelINS0_14default_configENS1_35radix_sort_onesweep_config_selectorIjN6thrust23THRUST_200600_302600_NS5tupleIffNS6_9null_typeES8_S8_S8_S8_S8_S8_S8_EEEEZNS1_34radix_sort_onesweep_global_offsetsIS3_Lb0ENS6_6detail15normal_iteratorINS6_10device_ptrIjEEEENSD_INSE_IS9_EEEEjNS0_19identity_decomposerEEE10hipError_tT1_T2_PT3_SN_jT4_jjP12ihipStream_tbEUlT_E_NS1_11comp_targetILNS1_3genE9ELNS1_11target_archE1100ELNS1_3gpuE3ELNS1_3repE0EEENS1_52radix_sort_onesweep_histogram_config_static_selectorELNS0_4arch9wavefront6targetE0EEEvSL_
	.p2align	8
	.type	_ZN7rocprim17ROCPRIM_400000_NS6detail17trampoline_kernelINS0_14default_configENS1_35radix_sort_onesweep_config_selectorIjN6thrust23THRUST_200600_302600_NS5tupleIffNS6_9null_typeES8_S8_S8_S8_S8_S8_S8_EEEEZNS1_34radix_sort_onesweep_global_offsetsIS3_Lb0ENS6_6detail15normal_iteratorINS6_10device_ptrIjEEEENSD_INSE_IS9_EEEEjNS0_19identity_decomposerEEE10hipError_tT1_T2_PT3_SN_jT4_jjP12ihipStream_tbEUlT_E_NS1_11comp_targetILNS1_3genE9ELNS1_11target_archE1100ELNS1_3gpuE3ELNS1_3repE0EEENS1_52radix_sort_onesweep_histogram_config_static_selectorELNS0_4arch9wavefront6targetE0EEEvSL_,@function
_ZN7rocprim17ROCPRIM_400000_NS6detail17trampoline_kernelINS0_14default_configENS1_35radix_sort_onesweep_config_selectorIjN6thrust23THRUST_200600_302600_NS5tupleIffNS6_9null_typeES8_S8_S8_S8_S8_S8_S8_EEEEZNS1_34radix_sort_onesweep_global_offsetsIS3_Lb0ENS6_6detail15normal_iteratorINS6_10device_ptrIjEEEENSD_INSE_IS9_EEEEjNS0_19identity_decomposerEEE10hipError_tT1_T2_PT3_SN_jT4_jjP12ihipStream_tbEUlT_E_NS1_11comp_targetILNS1_3genE9ELNS1_11target_archE1100ELNS1_3gpuE3ELNS1_3repE0EEENS1_52radix_sort_onesweep_histogram_config_static_selectorELNS0_4arch9wavefront6targetE0EEEvSL_: ; @_ZN7rocprim17ROCPRIM_400000_NS6detail17trampoline_kernelINS0_14default_configENS1_35radix_sort_onesweep_config_selectorIjN6thrust23THRUST_200600_302600_NS5tupleIffNS6_9null_typeES8_S8_S8_S8_S8_S8_S8_EEEEZNS1_34radix_sort_onesweep_global_offsetsIS3_Lb0ENS6_6detail15normal_iteratorINS6_10device_ptrIjEEEENSD_INSE_IS9_EEEEjNS0_19identity_decomposerEEE10hipError_tT1_T2_PT3_SN_jT4_jjP12ihipStream_tbEUlT_E_NS1_11comp_targetILNS1_3genE9ELNS1_11target_archE1100ELNS1_3gpuE3ELNS1_3repE0EEENS1_52radix_sort_onesweep_histogram_config_static_selectorELNS0_4arch9wavefront6targetE0EEEvSL_
; %bb.0:
	.section	.rodata,"a",@progbits
	.p2align	6, 0x0
	.amdhsa_kernel _ZN7rocprim17ROCPRIM_400000_NS6detail17trampoline_kernelINS0_14default_configENS1_35radix_sort_onesweep_config_selectorIjN6thrust23THRUST_200600_302600_NS5tupleIffNS6_9null_typeES8_S8_S8_S8_S8_S8_S8_EEEEZNS1_34radix_sort_onesweep_global_offsetsIS3_Lb0ENS6_6detail15normal_iteratorINS6_10device_ptrIjEEEENSD_INSE_IS9_EEEEjNS0_19identity_decomposerEEE10hipError_tT1_T2_PT3_SN_jT4_jjP12ihipStream_tbEUlT_E_NS1_11comp_targetILNS1_3genE9ELNS1_11target_archE1100ELNS1_3gpuE3ELNS1_3repE0EEENS1_52radix_sort_onesweep_histogram_config_static_selectorELNS0_4arch9wavefront6targetE0EEEvSL_
		.amdhsa_group_segment_fixed_size 0
		.amdhsa_private_segment_fixed_size 0
		.amdhsa_kernarg_size 40
		.amdhsa_user_sgpr_count 6
		.amdhsa_user_sgpr_private_segment_buffer 1
		.amdhsa_user_sgpr_dispatch_ptr 0
		.amdhsa_user_sgpr_queue_ptr 0
		.amdhsa_user_sgpr_kernarg_segment_ptr 1
		.amdhsa_user_sgpr_dispatch_id 0
		.amdhsa_user_sgpr_flat_scratch_init 0
		.amdhsa_user_sgpr_private_segment_size 0
		.amdhsa_wavefront_size32 1
		.amdhsa_uses_dynamic_stack 0
		.amdhsa_system_sgpr_private_segment_wavefront_offset 0
		.amdhsa_system_sgpr_workgroup_id_x 1
		.amdhsa_system_sgpr_workgroup_id_y 0
		.amdhsa_system_sgpr_workgroup_id_z 0
		.amdhsa_system_sgpr_workgroup_info 0
		.amdhsa_system_vgpr_workitem_id 0
		.amdhsa_next_free_vgpr 1
		.amdhsa_next_free_sgpr 1
		.amdhsa_reserve_vcc 0
		.amdhsa_reserve_flat_scratch 0
		.amdhsa_float_round_mode_32 0
		.amdhsa_float_round_mode_16_64 0
		.amdhsa_float_denorm_mode_32 3
		.amdhsa_float_denorm_mode_16_64 3
		.amdhsa_dx10_clamp 1
		.amdhsa_ieee_mode 1
		.amdhsa_fp16_overflow 0
		.amdhsa_workgroup_processor_mode 1
		.amdhsa_memory_ordered 1
		.amdhsa_forward_progress 1
		.amdhsa_shared_vgpr_count 0
		.amdhsa_exception_fp_ieee_invalid_op 0
		.amdhsa_exception_fp_denorm_src 0
		.amdhsa_exception_fp_ieee_div_zero 0
		.amdhsa_exception_fp_ieee_overflow 0
		.amdhsa_exception_fp_ieee_underflow 0
		.amdhsa_exception_fp_ieee_inexact 0
		.amdhsa_exception_int_div_zero 0
	.end_amdhsa_kernel
	.section	.text._ZN7rocprim17ROCPRIM_400000_NS6detail17trampoline_kernelINS0_14default_configENS1_35radix_sort_onesweep_config_selectorIjN6thrust23THRUST_200600_302600_NS5tupleIffNS6_9null_typeES8_S8_S8_S8_S8_S8_S8_EEEEZNS1_34radix_sort_onesweep_global_offsetsIS3_Lb0ENS6_6detail15normal_iteratorINS6_10device_ptrIjEEEENSD_INSE_IS9_EEEEjNS0_19identity_decomposerEEE10hipError_tT1_T2_PT3_SN_jT4_jjP12ihipStream_tbEUlT_E_NS1_11comp_targetILNS1_3genE9ELNS1_11target_archE1100ELNS1_3gpuE3ELNS1_3repE0EEENS1_52radix_sort_onesweep_histogram_config_static_selectorELNS0_4arch9wavefront6targetE0EEEvSL_,"axG",@progbits,_ZN7rocprim17ROCPRIM_400000_NS6detail17trampoline_kernelINS0_14default_configENS1_35radix_sort_onesweep_config_selectorIjN6thrust23THRUST_200600_302600_NS5tupleIffNS6_9null_typeES8_S8_S8_S8_S8_S8_S8_EEEEZNS1_34radix_sort_onesweep_global_offsetsIS3_Lb0ENS6_6detail15normal_iteratorINS6_10device_ptrIjEEEENSD_INSE_IS9_EEEEjNS0_19identity_decomposerEEE10hipError_tT1_T2_PT3_SN_jT4_jjP12ihipStream_tbEUlT_E_NS1_11comp_targetILNS1_3genE9ELNS1_11target_archE1100ELNS1_3gpuE3ELNS1_3repE0EEENS1_52radix_sort_onesweep_histogram_config_static_selectorELNS0_4arch9wavefront6targetE0EEEvSL_,comdat
.Lfunc_end146:
	.size	_ZN7rocprim17ROCPRIM_400000_NS6detail17trampoline_kernelINS0_14default_configENS1_35radix_sort_onesweep_config_selectorIjN6thrust23THRUST_200600_302600_NS5tupleIffNS6_9null_typeES8_S8_S8_S8_S8_S8_S8_EEEEZNS1_34radix_sort_onesweep_global_offsetsIS3_Lb0ENS6_6detail15normal_iteratorINS6_10device_ptrIjEEEENSD_INSE_IS9_EEEEjNS0_19identity_decomposerEEE10hipError_tT1_T2_PT3_SN_jT4_jjP12ihipStream_tbEUlT_E_NS1_11comp_targetILNS1_3genE9ELNS1_11target_archE1100ELNS1_3gpuE3ELNS1_3repE0EEENS1_52radix_sort_onesweep_histogram_config_static_selectorELNS0_4arch9wavefront6targetE0EEEvSL_, .Lfunc_end146-_ZN7rocprim17ROCPRIM_400000_NS6detail17trampoline_kernelINS0_14default_configENS1_35radix_sort_onesweep_config_selectorIjN6thrust23THRUST_200600_302600_NS5tupleIffNS6_9null_typeES8_S8_S8_S8_S8_S8_S8_EEEEZNS1_34radix_sort_onesweep_global_offsetsIS3_Lb0ENS6_6detail15normal_iteratorINS6_10device_ptrIjEEEENSD_INSE_IS9_EEEEjNS0_19identity_decomposerEEE10hipError_tT1_T2_PT3_SN_jT4_jjP12ihipStream_tbEUlT_E_NS1_11comp_targetILNS1_3genE9ELNS1_11target_archE1100ELNS1_3gpuE3ELNS1_3repE0EEENS1_52radix_sort_onesweep_histogram_config_static_selectorELNS0_4arch9wavefront6targetE0EEEvSL_
                                        ; -- End function
	.set _ZN7rocprim17ROCPRIM_400000_NS6detail17trampoline_kernelINS0_14default_configENS1_35radix_sort_onesweep_config_selectorIjN6thrust23THRUST_200600_302600_NS5tupleIffNS6_9null_typeES8_S8_S8_S8_S8_S8_S8_EEEEZNS1_34radix_sort_onesweep_global_offsetsIS3_Lb0ENS6_6detail15normal_iteratorINS6_10device_ptrIjEEEENSD_INSE_IS9_EEEEjNS0_19identity_decomposerEEE10hipError_tT1_T2_PT3_SN_jT4_jjP12ihipStream_tbEUlT_E_NS1_11comp_targetILNS1_3genE9ELNS1_11target_archE1100ELNS1_3gpuE3ELNS1_3repE0EEENS1_52radix_sort_onesweep_histogram_config_static_selectorELNS0_4arch9wavefront6targetE0EEEvSL_.num_vgpr, 0
	.set _ZN7rocprim17ROCPRIM_400000_NS6detail17trampoline_kernelINS0_14default_configENS1_35radix_sort_onesweep_config_selectorIjN6thrust23THRUST_200600_302600_NS5tupleIffNS6_9null_typeES8_S8_S8_S8_S8_S8_S8_EEEEZNS1_34radix_sort_onesweep_global_offsetsIS3_Lb0ENS6_6detail15normal_iteratorINS6_10device_ptrIjEEEENSD_INSE_IS9_EEEEjNS0_19identity_decomposerEEE10hipError_tT1_T2_PT3_SN_jT4_jjP12ihipStream_tbEUlT_E_NS1_11comp_targetILNS1_3genE9ELNS1_11target_archE1100ELNS1_3gpuE3ELNS1_3repE0EEENS1_52radix_sort_onesweep_histogram_config_static_selectorELNS0_4arch9wavefront6targetE0EEEvSL_.num_agpr, 0
	.set _ZN7rocprim17ROCPRIM_400000_NS6detail17trampoline_kernelINS0_14default_configENS1_35radix_sort_onesweep_config_selectorIjN6thrust23THRUST_200600_302600_NS5tupleIffNS6_9null_typeES8_S8_S8_S8_S8_S8_S8_EEEEZNS1_34radix_sort_onesweep_global_offsetsIS3_Lb0ENS6_6detail15normal_iteratorINS6_10device_ptrIjEEEENSD_INSE_IS9_EEEEjNS0_19identity_decomposerEEE10hipError_tT1_T2_PT3_SN_jT4_jjP12ihipStream_tbEUlT_E_NS1_11comp_targetILNS1_3genE9ELNS1_11target_archE1100ELNS1_3gpuE3ELNS1_3repE0EEENS1_52radix_sort_onesweep_histogram_config_static_selectorELNS0_4arch9wavefront6targetE0EEEvSL_.numbered_sgpr, 0
	.set _ZN7rocprim17ROCPRIM_400000_NS6detail17trampoline_kernelINS0_14default_configENS1_35radix_sort_onesweep_config_selectorIjN6thrust23THRUST_200600_302600_NS5tupleIffNS6_9null_typeES8_S8_S8_S8_S8_S8_S8_EEEEZNS1_34radix_sort_onesweep_global_offsetsIS3_Lb0ENS6_6detail15normal_iteratorINS6_10device_ptrIjEEEENSD_INSE_IS9_EEEEjNS0_19identity_decomposerEEE10hipError_tT1_T2_PT3_SN_jT4_jjP12ihipStream_tbEUlT_E_NS1_11comp_targetILNS1_3genE9ELNS1_11target_archE1100ELNS1_3gpuE3ELNS1_3repE0EEENS1_52radix_sort_onesweep_histogram_config_static_selectorELNS0_4arch9wavefront6targetE0EEEvSL_.num_named_barrier, 0
	.set _ZN7rocprim17ROCPRIM_400000_NS6detail17trampoline_kernelINS0_14default_configENS1_35radix_sort_onesweep_config_selectorIjN6thrust23THRUST_200600_302600_NS5tupleIffNS6_9null_typeES8_S8_S8_S8_S8_S8_S8_EEEEZNS1_34radix_sort_onesweep_global_offsetsIS3_Lb0ENS6_6detail15normal_iteratorINS6_10device_ptrIjEEEENSD_INSE_IS9_EEEEjNS0_19identity_decomposerEEE10hipError_tT1_T2_PT3_SN_jT4_jjP12ihipStream_tbEUlT_E_NS1_11comp_targetILNS1_3genE9ELNS1_11target_archE1100ELNS1_3gpuE3ELNS1_3repE0EEENS1_52radix_sort_onesweep_histogram_config_static_selectorELNS0_4arch9wavefront6targetE0EEEvSL_.private_seg_size, 0
	.set _ZN7rocprim17ROCPRIM_400000_NS6detail17trampoline_kernelINS0_14default_configENS1_35radix_sort_onesweep_config_selectorIjN6thrust23THRUST_200600_302600_NS5tupleIffNS6_9null_typeES8_S8_S8_S8_S8_S8_S8_EEEEZNS1_34radix_sort_onesweep_global_offsetsIS3_Lb0ENS6_6detail15normal_iteratorINS6_10device_ptrIjEEEENSD_INSE_IS9_EEEEjNS0_19identity_decomposerEEE10hipError_tT1_T2_PT3_SN_jT4_jjP12ihipStream_tbEUlT_E_NS1_11comp_targetILNS1_3genE9ELNS1_11target_archE1100ELNS1_3gpuE3ELNS1_3repE0EEENS1_52radix_sort_onesweep_histogram_config_static_selectorELNS0_4arch9wavefront6targetE0EEEvSL_.uses_vcc, 0
	.set _ZN7rocprim17ROCPRIM_400000_NS6detail17trampoline_kernelINS0_14default_configENS1_35radix_sort_onesweep_config_selectorIjN6thrust23THRUST_200600_302600_NS5tupleIffNS6_9null_typeES8_S8_S8_S8_S8_S8_S8_EEEEZNS1_34radix_sort_onesweep_global_offsetsIS3_Lb0ENS6_6detail15normal_iteratorINS6_10device_ptrIjEEEENSD_INSE_IS9_EEEEjNS0_19identity_decomposerEEE10hipError_tT1_T2_PT3_SN_jT4_jjP12ihipStream_tbEUlT_E_NS1_11comp_targetILNS1_3genE9ELNS1_11target_archE1100ELNS1_3gpuE3ELNS1_3repE0EEENS1_52radix_sort_onesweep_histogram_config_static_selectorELNS0_4arch9wavefront6targetE0EEEvSL_.uses_flat_scratch, 0
	.set _ZN7rocprim17ROCPRIM_400000_NS6detail17trampoline_kernelINS0_14default_configENS1_35radix_sort_onesweep_config_selectorIjN6thrust23THRUST_200600_302600_NS5tupleIffNS6_9null_typeES8_S8_S8_S8_S8_S8_S8_EEEEZNS1_34radix_sort_onesweep_global_offsetsIS3_Lb0ENS6_6detail15normal_iteratorINS6_10device_ptrIjEEEENSD_INSE_IS9_EEEEjNS0_19identity_decomposerEEE10hipError_tT1_T2_PT3_SN_jT4_jjP12ihipStream_tbEUlT_E_NS1_11comp_targetILNS1_3genE9ELNS1_11target_archE1100ELNS1_3gpuE3ELNS1_3repE0EEENS1_52radix_sort_onesweep_histogram_config_static_selectorELNS0_4arch9wavefront6targetE0EEEvSL_.has_dyn_sized_stack, 0
	.set _ZN7rocprim17ROCPRIM_400000_NS6detail17trampoline_kernelINS0_14default_configENS1_35radix_sort_onesweep_config_selectorIjN6thrust23THRUST_200600_302600_NS5tupleIffNS6_9null_typeES8_S8_S8_S8_S8_S8_S8_EEEEZNS1_34radix_sort_onesweep_global_offsetsIS3_Lb0ENS6_6detail15normal_iteratorINS6_10device_ptrIjEEEENSD_INSE_IS9_EEEEjNS0_19identity_decomposerEEE10hipError_tT1_T2_PT3_SN_jT4_jjP12ihipStream_tbEUlT_E_NS1_11comp_targetILNS1_3genE9ELNS1_11target_archE1100ELNS1_3gpuE3ELNS1_3repE0EEENS1_52radix_sort_onesweep_histogram_config_static_selectorELNS0_4arch9wavefront6targetE0EEEvSL_.has_recursion, 0
	.set _ZN7rocprim17ROCPRIM_400000_NS6detail17trampoline_kernelINS0_14default_configENS1_35radix_sort_onesweep_config_selectorIjN6thrust23THRUST_200600_302600_NS5tupleIffNS6_9null_typeES8_S8_S8_S8_S8_S8_S8_EEEEZNS1_34radix_sort_onesweep_global_offsetsIS3_Lb0ENS6_6detail15normal_iteratorINS6_10device_ptrIjEEEENSD_INSE_IS9_EEEEjNS0_19identity_decomposerEEE10hipError_tT1_T2_PT3_SN_jT4_jjP12ihipStream_tbEUlT_E_NS1_11comp_targetILNS1_3genE9ELNS1_11target_archE1100ELNS1_3gpuE3ELNS1_3repE0EEENS1_52radix_sort_onesweep_histogram_config_static_selectorELNS0_4arch9wavefront6targetE0EEEvSL_.has_indirect_call, 0
	.section	.AMDGPU.csdata,"",@progbits
; Kernel info:
; codeLenInByte = 0
; TotalNumSgprs: 0
; NumVgprs: 0
; ScratchSize: 0
; MemoryBound: 0
; FloatMode: 240
; IeeeMode: 1
; LDSByteSize: 0 bytes/workgroup (compile time only)
; SGPRBlocks: 0
; VGPRBlocks: 0
; NumSGPRsForWavesPerEU: 1
; NumVGPRsForWavesPerEU: 1
; Occupancy: 16
; WaveLimiterHint : 0
; COMPUTE_PGM_RSRC2:SCRATCH_EN: 0
; COMPUTE_PGM_RSRC2:USER_SGPR: 6
; COMPUTE_PGM_RSRC2:TRAP_HANDLER: 0
; COMPUTE_PGM_RSRC2:TGID_X_EN: 1
; COMPUTE_PGM_RSRC2:TGID_Y_EN: 0
; COMPUTE_PGM_RSRC2:TGID_Z_EN: 0
; COMPUTE_PGM_RSRC2:TIDIG_COMP_CNT: 0
	.section	.text._ZN7rocprim17ROCPRIM_400000_NS6detail17trampoline_kernelINS0_14default_configENS1_35radix_sort_onesweep_config_selectorIjN6thrust23THRUST_200600_302600_NS5tupleIffNS6_9null_typeES8_S8_S8_S8_S8_S8_S8_EEEEZNS1_34radix_sort_onesweep_global_offsetsIS3_Lb0ENS6_6detail15normal_iteratorINS6_10device_ptrIjEEEENSD_INSE_IS9_EEEEjNS0_19identity_decomposerEEE10hipError_tT1_T2_PT3_SN_jT4_jjP12ihipStream_tbEUlT_E_NS1_11comp_targetILNS1_3genE8ELNS1_11target_archE1030ELNS1_3gpuE2ELNS1_3repE0EEENS1_52radix_sort_onesweep_histogram_config_static_selectorELNS0_4arch9wavefront6targetE0EEEvSL_,"axG",@progbits,_ZN7rocprim17ROCPRIM_400000_NS6detail17trampoline_kernelINS0_14default_configENS1_35radix_sort_onesweep_config_selectorIjN6thrust23THRUST_200600_302600_NS5tupleIffNS6_9null_typeES8_S8_S8_S8_S8_S8_S8_EEEEZNS1_34radix_sort_onesweep_global_offsetsIS3_Lb0ENS6_6detail15normal_iteratorINS6_10device_ptrIjEEEENSD_INSE_IS9_EEEEjNS0_19identity_decomposerEEE10hipError_tT1_T2_PT3_SN_jT4_jjP12ihipStream_tbEUlT_E_NS1_11comp_targetILNS1_3genE8ELNS1_11target_archE1030ELNS1_3gpuE2ELNS1_3repE0EEENS1_52radix_sort_onesweep_histogram_config_static_selectorELNS0_4arch9wavefront6targetE0EEEvSL_,comdat
	.protected	_ZN7rocprim17ROCPRIM_400000_NS6detail17trampoline_kernelINS0_14default_configENS1_35radix_sort_onesweep_config_selectorIjN6thrust23THRUST_200600_302600_NS5tupleIffNS6_9null_typeES8_S8_S8_S8_S8_S8_S8_EEEEZNS1_34radix_sort_onesweep_global_offsetsIS3_Lb0ENS6_6detail15normal_iteratorINS6_10device_ptrIjEEEENSD_INSE_IS9_EEEEjNS0_19identity_decomposerEEE10hipError_tT1_T2_PT3_SN_jT4_jjP12ihipStream_tbEUlT_E_NS1_11comp_targetILNS1_3genE8ELNS1_11target_archE1030ELNS1_3gpuE2ELNS1_3repE0EEENS1_52radix_sort_onesweep_histogram_config_static_selectorELNS0_4arch9wavefront6targetE0EEEvSL_ ; -- Begin function _ZN7rocprim17ROCPRIM_400000_NS6detail17trampoline_kernelINS0_14default_configENS1_35radix_sort_onesweep_config_selectorIjN6thrust23THRUST_200600_302600_NS5tupleIffNS6_9null_typeES8_S8_S8_S8_S8_S8_S8_EEEEZNS1_34radix_sort_onesweep_global_offsetsIS3_Lb0ENS6_6detail15normal_iteratorINS6_10device_ptrIjEEEENSD_INSE_IS9_EEEEjNS0_19identity_decomposerEEE10hipError_tT1_T2_PT3_SN_jT4_jjP12ihipStream_tbEUlT_E_NS1_11comp_targetILNS1_3genE8ELNS1_11target_archE1030ELNS1_3gpuE2ELNS1_3repE0EEENS1_52radix_sort_onesweep_histogram_config_static_selectorELNS0_4arch9wavefront6targetE0EEEvSL_
	.globl	_ZN7rocprim17ROCPRIM_400000_NS6detail17trampoline_kernelINS0_14default_configENS1_35radix_sort_onesweep_config_selectorIjN6thrust23THRUST_200600_302600_NS5tupleIffNS6_9null_typeES8_S8_S8_S8_S8_S8_S8_EEEEZNS1_34radix_sort_onesweep_global_offsetsIS3_Lb0ENS6_6detail15normal_iteratorINS6_10device_ptrIjEEEENSD_INSE_IS9_EEEEjNS0_19identity_decomposerEEE10hipError_tT1_T2_PT3_SN_jT4_jjP12ihipStream_tbEUlT_E_NS1_11comp_targetILNS1_3genE8ELNS1_11target_archE1030ELNS1_3gpuE2ELNS1_3repE0EEENS1_52radix_sort_onesweep_histogram_config_static_selectorELNS0_4arch9wavefront6targetE0EEEvSL_
	.p2align	8
	.type	_ZN7rocprim17ROCPRIM_400000_NS6detail17trampoline_kernelINS0_14default_configENS1_35radix_sort_onesweep_config_selectorIjN6thrust23THRUST_200600_302600_NS5tupleIffNS6_9null_typeES8_S8_S8_S8_S8_S8_S8_EEEEZNS1_34radix_sort_onesweep_global_offsetsIS3_Lb0ENS6_6detail15normal_iteratorINS6_10device_ptrIjEEEENSD_INSE_IS9_EEEEjNS0_19identity_decomposerEEE10hipError_tT1_T2_PT3_SN_jT4_jjP12ihipStream_tbEUlT_E_NS1_11comp_targetILNS1_3genE8ELNS1_11target_archE1030ELNS1_3gpuE2ELNS1_3repE0EEENS1_52radix_sort_onesweep_histogram_config_static_selectorELNS0_4arch9wavefront6targetE0EEEvSL_,@function
_ZN7rocprim17ROCPRIM_400000_NS6detail17trampoline_kernelINS0_14default_configENS1_35radix_sort_onesweep_config_selectorIjN6thrust23THRUST_200600_302600_NS5tupleIffNS6_9null_typeES8_S8_S8_S8_S8_S8_S8_EEEEZNS1_34radix_sort_onesweep_global_offsetsIS3_Lb0ENS6_6detail15normal_iteratorINS6_10device_ptrIjEEEENSD_INSE_IS9_EEEEjNS0_19identity_decomposerEEE10hipError_tT1_T2_PT3_SN_jT4_jjP12ihipStream_tbEUlT_E_NS1_11comp_targetILNS1_3genE8ELNS1_11target_archE1030ELNS1_3gpuE2ELNS1_3repE0EEENS1_52radix_sort_onesweep_histogram_config_static_selectorELNS0_4arch9wavefront6targetE0EEEvSL_: ; @_ZN7rocprim17ROCPRIM_400000_NS6detail17trampoline_kernelINS0_14default_configENS1_35radix_sort_onesweep_config_selectorIjN6thrust23THRUST_200600_302600_NS5tupleIffNS6_9null_typeES8_S8_S8_S8_S8_S8_S8_EEEEZNS1_34radix_sort_onesweep_global_offsetsIS3_Lb0ENS6_6detail15normal_iteratorINS6_10device_ptrIjEEEENSD_INSE_IS9_EEEEjNS0_19identity_decomposerEEE10hipError_tT1_T2_PT3_SN_jT4_jjP12ihipStream_tbEUlT_E_NS1_11comp_targetILNS1_3genE8ELNS1_11target_archE1030ELNS1_3gpuE2ELNS1_3repE0EEENS1_52radix_sort_onesweep_histogram_config_static_selectorELNS0_4arch9wavefront6targetE0EEEvSL_
; %bb.0:
	s_clause 0x2
	s_load_dword s0, s[4:5], 0x14
	s_load_dwordx4 s[8:11], s[4:5], 0x0
	s_load_dwordx2 s[2:3], s[4:5], 0x1c
	s_lshl_b32 s12, s6, 12
	s_mov_b32 s1, -1
	s_waitcnt lgkmcnt(0)
	s_cmp_ge_u32 s6, s0
	s_cbranch_scc0 .LBB147_85
; %bb.1:
	s_load_dword s1, s[4:5], 0x10
	s_lshl_b32 s0, s0, 12
	s_mov_b32 s13, 0
	s_mov_b32 s5, exec_lo
                                        ; implicit-def: $vgpr8
	s_waitcnt lgkmcnt(0)
	s_sub_i32 s4, s1, s0
	s_lshl_b64 s[0:1], s[12:13], 2
	s_add_u32 s0, s8, s0
	s_addc_u32 s1, s9, s1
	v_cmpx_gt_u32_e64 s4, v0
	s_cbranch_execz .LBB147_3
; %bb.2:
	v_lshlrev_b32_e32 v1, 2, v0
	global_load_dword v8, v1, s[0:1]
.LBB147_3:
	s_or_b32 exec_lo, exec_lo, s5
	v_or_b32_e32 v7, 0x400, v0
	s_mov_b32 s5, exec_lo
                                        ; implicit-def: $vgpr6
	v_cmpx_gt_u32_e64 s4, v7
	s_cbranch_execz .LBB147_5
; %bb.4:
	v_lshlrev_b32_e32 v1, 2, v7
	global_load_dword v6, v1, s[0:1]
.LBB147_5:
	s_or_b32 exec_lo, exec_lo, s5
	v_or_b32_e32 v5, 0x800, v0
	s_mov_b32 s5, exec_lo
                                        ; implicit-def: $vgpr4
	v_cmpx_gt_u32_e64 s4, v5
	s_cbranch_execz .LBB147_7
; %bb.6:
	v_lshlrev_b32_e32 v1, 2, v5
	global_load_dword v4, v1, s[0:1]
.LBB147_7:
	s_or_b32 exec_lo, exec_lo, s5
	v_or_b32_e32 v3, 0xc00, v0
	s_mov_b32 s5, exec_lo
                                        ; implicit-def: $vgpr1
	v_cmpx_gt_u32_e64 s4, v3
	s_cbranch_execz .LBB147_9
; %bb.8:
	v_lshlrev_b32_e32 v1, 2, v3
	global_load_dword v1, v1, s[0:1]
.LBB147_9:
	s_or_b32 exec_lo, exec_lo, s5
	v_or_b32_e32 v2, 0xfffffc00, v0
	v_lshlrev_b32_e32 v9, 2, v0
	v_mov_b32_e32 v10, 0
	s_mov_b32 s0, 0
.LBB147_10:                             ; =>This Inner Loop Header: Depth=1
	v_add_nc_u32_e32 v2, 0x400, v2
	ds_write_b32 v9, v10
	v_add_nc_u32_e32 v9, 0x1000, v9
	v_cmp_lt_u32_e32 vcc_lo, 0xbff, v2
	s_or_b32 s0, vcc_lo, s0
	s_andn2_b32 exec_lo, exec_lo, s0
	s_cbranch_execnz .LBB147_10
; %bb.11:
	s_or_b32 exec_lo, exec_lo, s0
	s_cmp_le_u32 s3, s2
	v_cmp_le_u32_e32 vcc_lo, s4, v0
	s_cselect_b32 s1, -1, 0
	v_and_b32_e32 v2, 3, v0
	s_and_b32 s0, s1, exec_lo
	s_cselect_b32 s5, 8, 10
	s_nor_b32 s6, s1, vcc_lo
	v_mov_b32_e32 v9, s5
	s_waitcnt vmcnt(0) lgkmcnt(0)
	s_barrier
	buffer_gl0_inv
	s_and_saveexec_b32 s0, s6
	s_cbranch_execz .LBB147_13
; %bb.12:
	v_lshrrev_b32_e32 v9, s2, v8
	s_sub_i32 s6, s3, s2
	v_lshlrev_b32_e32 v10, 2, v2
	s_min_u32 s6, s6, 8
	v_bfe_u32 v9, v9, 0, s6
	v_lshl_or_b32 v9, v9, 4, v10
	v_mov_b32_e32 v10, 1
	ds_add_u32 v9, v10
	v_mov_b32_e32 v9, 0
.LBB147_13:
	s_or_b32 exec_lo, exec_lo, s0
	s_mov_b32 s7, -1
	s_mov_b32 s6, exec_lo
	v_cmpx_gt_i32_e32 10, v9
; %bb.14:
	v_cmp_eq_u32_e64 s0, 0, v9
	s_orn2_b32 s7, s0, exec_lo
; %bb.15:
	s_or_b32 exec_lo, exec_lo, s6
	s_and_saveexec_b32 s6, s7
	s_cbranch_execz .LBB147_28
; %bb.16:
	s_add_i32 s7, s2, 8
	s_cmp_le_u32 s3, s7
	s_cselect_b32 s0, -1, 0
	s_and_b32 s13, s0, exec_lo
	s_cselect_b32 s13, 8, 10
	v_mov_b32_e32 v9, s13
	s_nor_b32 s13, s0, vcc_lo
	s_and_saveexec_b32 s0, s13
	s_cbranch_execz .LBB147_18
; %bb.17:
	v_lshrrev_b32_e32 v9, s7, v8
	s_sub_i32 s7, s3, s7
	v_lshlrev_b32_e32 v10, 2, v2
	s_min_u32 s7, s7, 8
	v_bfe_u32 v9, v9, 0, s7
	v_lshl_or_b32 v9, v9, 4, v10
	v_mov_b32_e32 v10, 1
	ds_add_u32 v9, v10 offset:4096
	v_mov_b32_e32 v9, 0
.LBB147_18:
	s_or_b32 exec_lo, exec_lo, s0
	s_mov_b32 s7, -1
	s_mov_b32 s13, exec_lo
	v_cmpx_gt_i32_e32 10, v9
; %bb.19:
	v_cmp_eq_u32_e64 s0, 0, v9
	s_orn2_b32 s7, s0, exec_lo
; %bb.20:
	s_or_b32 exec_lo, exec_lo, s13
	s_and_b32 exec_lo, exec_lo, s7
	s_cbranch_execz .LBB147_28
; %bb.21:
	s_add_i32 s7, s2, 16
	s_cmp_le_u32 s3, s7
	s_cselect_b32 s0, -1, 0
	s_and_b32 s13, s0, exec_lo
	s_cselect_b32 s13, 8, 10
	v_mov_b32_e32 v9, s13
	s_nor_b32 s13, s0, vcc_lo
	s_and_saveexec_b32 s0, s13
	s_cbranch_execz .LBB147_23
; %bb.22:
	v_lshrrev_b32_e32 v9, s7, v8
	s_sub_i32 s7, s3, s7
	v_lshlrev_b32_e32 v10, 2, v2
	s_min_u32 s7, s7, 8
	v_bfe_u32 v9, v9, 0, s7
	v_lshl_or_b32 v9, v9, 4, v10
	v_mov_b32_e32 v10, 1
	ds_add_u32 v9, v10 offset:8192
	v_mov_b32_e32 v9, 0
.LBB147_23:
	s_or_b32 exec_lo, exec_lo, s0
	s_mov_b32 s7, -1
	s_mov_b32 s13, exec_lo
	v_cmpx_gt_i32_e32 10, v9
; %bb.24:
	v_cmp_eq_u32_e64 s0, 0, v9
	s_orn2_b32 s7, s0, exec_lo
; %bb.25:
	s_or_b32 exec_lo, exec_lo, s13
	s_and_b32 exec_lo, exec_lo, s7
	s_cbranch_execz .LBB147_28
; %bb.26:
	s_add_i32 s0, s2, 24
	s_cmp_gt_u32 s3, s0
	s_cselect_b32 s7, -1, 0
	s_xor_b32 s13, vcc_lo, -1
	s_and_b32 s7, s7, s13
	s_and_b32 exec_lo, exec_lo, s7
	s_cbranch_execz .LBB147_28
; %bb.27:
	v_lshrrev_b32_e32 v8, s0, v8
	s_sub_i32 s0, s3, s0
	v_lshlrev_b32_e32 v9, 2, v2
	s_min_u32 s0, s0, 8
	v_bfe_u32 v8, v8, 0, s0
	v_lshl_or_b32 v8, v8, 4, v9
	v_mov_b32_e32 v9, 1
	ds_add_u32 v8, v9 offset:12288
.LBB147_28:
	s_or_b32 exec_lo, exec_lo, s6
	v_cmp_le_u32_e32 vcc_lo, s4, v7
	v_mov_b32_e32 v7, s5
	s_nor_b32 s6, s1, vcc_lo
	s_and_saveexec_b32 s0, s6
	s_cbranch_execz .LBB147_30
; %bb.29:
	v_lshrrev_b32_e32 v7, s2, v6
	s_sub_i32 s6, s3, s2
	v_lshlrev_b32_e32 v8, 2, v2
	s_min_u32 s6, s6, 8
	v_bfe_u32 v7, v7, 0, s6
	v_lshl_or_b32 v7, v7, 4, v8
	v_mov_b32_e32 v8, 1
	ds_add_u32 v7, v8
	v_mov_b32_e32 v7, 0
.LBB147_30:
	s_or_b32 exec_lo, exec_lo, s0
	s_mov_b32 s7, -1
	s_mov_b32 s6, exec_lo
	v_cmpx_gt_i32_e32 10, v7
; %bb.31:
	v_cmp_eq_u32_e64 s0, 0, v7
	s_orn2_b32 s7, s0, exec_lo
; %bb.32:
	s_or_b32 exec_lo, exec_lo, s6
	s_and_saveexec_b32 s6, s7
	s_cbranch_execz .LBB147_45
; %bb.33:
	s_add_i32 s7, s2, 8
	s_cmp_le_u32 s3, s7
	s_cselect_b32 s0, -1, 0
	s_and_b32 s13, s0, exec_lo
	s_cselect_b32 s13, 8, 10
	v_mov_b32_e32 v7, s13
	s_nor_b32 s13, s0, vcc_lo
	s_and_saveexec_b32 s0, s13
	s_cbranch_execz .LBB147_35
; %bb.34:
	v_lshrrev_b32_e32 v7, s7, v6
	s_sub_i32 s7, s3, s7
	v_lshlrev_b32_e32 v8, 2, v2
	s_min_u32 s7, s7, 8
	v_bfe_u32 v7, v7, 0, s7
	v_lshl_or_b32 v7, v7, 4, v8
	v_mov_b32_e32 v8, 1
	ds_add_u32 v7, v8 offset:4096
	v_mov_b32_e32 v7, 0
.LBB147_35:
	s_or_b32 exec_lo, exec_lo, s0
	s_mov_b32 s7, -1
	s_mov_b32 s13, exec_lo
	v_cmpx_gt_i32_e32 10, v7
; %bb.36:
	v_cmp_eq_u32_e64 s0, 0, v7
	s_orn2_b32 s7, s0, exec_lo
; %bb.37:
	s_or_b32 exec_lo, exec_lo, s13
	s_and_b32 exec_lo, exec_lo, s7
	s_cbranch_execz .LBB147_45
; %bb.38:
	s_add_i32 s7, s2, 16
	s_cmp_le_u32 s3, s7
	s_cselect_b32 s0, -1, 0
	s_and_b32 s13, s0, exec_lo
	s_cselect_b32 s13, 8, 10
	v_mov_b32_e32 v7, s13
	s_nor_b32 s13, s0, vcc_lo
	s_and_saveexec_b32 s0, s13
	s_cbranch_execz .LBB147_40
; %bb.39:
	v_lshrrev_b32_e32 v7, s7, v6
	s_sub_i32 s7, s3, s7
	v_lshlrev_b32_e32 v8, 2, v2
	s_min_u32 s7, s7, 8
	v_bfe_u32 v7, v7, 0, s7
	v_lshl_or_b32 v7, v7, 4, v8
	v_mov_b32_e32 v8, 1
	ds_add_u32 v7, v8 offset:8192
	v_mov_b32_e32 v7, 0
.LBB147_40:
	s_or_b32 exec_lo, exec_lo, s0
	s_mov_b32 s7, -1
	s_mov_b32 s13, exec_lo
	v_cmpx_gt_i32_e32 10, v7
; %bb.41:
	v_cmp_eq_u32_e64 s0, 0, v7
	s_orn2_b32 s7, s0, exec_lo
; %bb.42:
	s_or_b32 exec_lo, exec_lo, s13
	s_and_b32 exec_lo, exec_lo, s7
	s_cbranch_execz .LBB147_45
; %bb.43:
	s_add_i32 s0, s2, 24
	s_cmp_gt_u32 s3, s0
	s_cselect_b32 s7, -1, 0
	s_xor_b32 s13, vcc_lo, -1
	s_and_b32 s7, s7, s13
	s_and_b32 exec_lo, exec_lo, s7
	s_cbranch_execz .LBB147_45
; %bb.44:
	v_lshrrev_b32_e32 v6, s0, v6
	s_sub_i32 s0, s3, s0
	v_lshlrev_b32_e32 v7, 2, v2
	s_min_u32 s0, s0, 8
	v_bfe_u32 v6, v6, 0, s0
	v_lshl_or_b32 v6, v6, 4, v7
	v_mov_b32_e32 v7, 1
	ds_add_u32 v6, v7 offset:12288
.LBB147_45:
	s_or_b32 exec_lo, exec_lo, s6
	v_cmp_le_u32_e32 vcc_lo, s4, v5
	v_mov_b32_e32 v5, s5
	s_nor_b32 s6, s1, vcc_lo
	s_and_saveexec_b32 s0, s6
	s_cbranch_execz .LBB147_47
; %bb.46:
	v_lshrrev_b32_e32 v5, s2, v4
	s_sub_i32 s6, s3, s2
	v_lshlrev_b32_e32 v6, 2, v2
	s_min_u32 s6, s6, 8
	v_bfe_u32 v5, v5, 0, s6
	v_lshl_or_b32 v5, v5, 4, v6
	v_mov_b32_e32 v6, 1
	ds_add_u32 v5, v6
	v_mov_b32_e32 v5, 0
.LBB147_47:
	s_or_b32 exec_lo, exec_lo, s0
	s_mov_b32 s7, -1
	s_mov_b32 s6, exec_lo
	v_cmpx_gt_i32_e32 10, v5
; %bb.48:
	v_cmp_eq_u32_e64 s0, 0, v5
	s_orn2_b32 s7, s0, exec_lo
; %bb.49:
	s_or_b32 exec_lo, exec_lo, s6
	s_and_saveexec_b32 s6, s7
	s_cbranch_execz .LBB147_62
; %bb.50:
	s_add_i32 s7, s2, 8
	s_cmp_le_u32 s3, s7
	s_cselect_b32 s0, -1, 0
	s_and_b32 s13, s0, exec_lo
	s_cselect_b32 s13, 8, 10
	v_mov_b32_e32 v5, s13
	s_nor_b32 s13, s0, vcc_lo
	s_and_saveexec_b32 s0, s13
	s_cbranch_execz .LBB147_52
; %bb.51:
	v_lshrrev_b32_e32 v5, s7, v4
	s_sub_i32 s7, s3, s7
	v_lshlrev_b32_e32 v6, 2, v2
	s_min_u32 s7, s7, 8
	v_bfe_u32 v5, v5, 0, s7
	v_lshl_or_b32 v5, v5, 4, v6
	v_mov_b32_e32 v6, 1
	ds_add_u32 v5, v6 offset:4096
	v_mov_b32_e32 v5, 0
.LBB147_52:
	s_or_b32 exec_lo, exec_lo, s0
	s_mov_b32 s7, -1
	s_mov_b32 s13, exec_lo
	v_cmpx_gt_i32_e32 10, v5
; %bb.53:
	v_cmp_eq_u32_e64 s0, 0, v5
	s_orn2_b32 s7, s0, exec_lo
; %bb.54:
	s_or_b32 exec_lo, exec_lo, s13
	s_and_b32 exec_lo, exec_lo, s7
	s_cbranch_execz .LBB147_62
; %bb.55:
	s_add_i32 s7, s2, 16
	s_cmp_le_u32 s3, s7
	s_cselect_b32 s0, -1, 0
	s_and_b32 s13, s0, exec_lo
	s_cselect_b32 s13, 8, 10
	v_mov_b32_e32 v5, s13
	s_nor_b32 s13, s0, vcc_lo
	s_and_saveexec_b32 s0, s13
	s_cbranch_execz .LBB147_57
; %bb.56:
	v_lshrrev_b32_e32 v5, s7, v4
	s_sub_i32 s7, s3, s7
	v_lshlrev_b32_e32 v6, 2, v2
	s_min_u32 s7, s7, 8
	v_bfe_u32 v5, v5, 0, s7
	v_lshl_or_b32 v5, v5, 4, v6
	v_mov_b32_e32 v6, 1
	ds_add_u32 v5, v6 offset:8192
	v_mov_b32_e32 v5, 0
.LBB147_57:
	s_or_b32 exec_lo, exec_lo, s0
	s_mov_b32 s7, -1
	s_mov_b32 s13, exec_lo
	v_cmpx_gt_i32_e32 10, v5
; %bb.58:
	v_cmp_eq_u32_e64 s0, 0, v5
	s_orn2_b32 s7, s0, exec_lo
; %bb.59:
	s_or_b32 exec_lo, exec_lo, s13
	s_and_b32 exec_lo, exec_lo, s7
	s_cbranch_execz .LBB147_62
; %bb.60:
	s_add_i32 s0, s2, 24
	s_cmp_gt_u32 s3, s0
	s_cselect_b32 s7, -1, 0
	s_xor_b32 s13, vcc_lo, -1
	s_and_b32 s7, s7, s13
	s_and_b32 exec_lo, exec_lo, s7
	s_cbranch_execz .LBB147_62
; %bb.61:
	v_lshrrev_b32_e32 v4, s0, v4
	s_sub_i32 s0, s3, s0
	v_lshlrev_b32_e32 v5, 2, v2
	s_min_u32 s0, s0, 8
	v_bfe_u32 v4, v4, 0, s0
	v_lshl_or_b32 v4, v4, 4, v5
	v_mov_b32_e32 v5, 1
	ds_add_u32 v4, v5 offset:12288
.LBB147_62:
	s_or_b32 exec_lo, exec_lo, s6
	v_cmp_le_u32_e32 vcc_lo, s4, v3
	v_mov_b32_e32 v3, s5
	s_nor_b32 s1, s1, vcc_lo
	s_and_saveexec_b32 s0, s1
	s_cbranch_execz .LBB147_64
; %bb.63:
	v_lshrrev_b32_e32 v3, s2, v1
	s_sub_i32 s1, s3, s2
	v_lshlrev_b32_e32 v4, 2, v2
	s_min_u32 s1, s1, 8
	v_bfe_u32 v3, v3, 0, s1
	v_lshl_or_b32 v3, v3, 4, v4
	v_mov_b32_e32 v4, 1
	ds_add_u32 v3, v4
	v_mov_b32_e32 v3, 0
.LBB147_64:
	s_or_b32 exec_lo, exec_lo, s0
	s_mov_b32 s4, -1
	s_mov_b32 s1, exec_lo
	v_cmpx_gt_i32_e32 10, v3
; %bb.65:
	v_cmp_eq_u32_e64 s0, 0, v3
	s_orn2_b32 s4, s0, exec_lo
; %bb.66:
	s_or_b32 exec_lo, exec_lo, s1
	s_and_saveexec_b32 s1, s4
	s_cbranch_execz .LBB147_79
; %bb.67:
	s_add_i32 s4, s2, 8
	s_cmp_le_u32 s3, s4
	s_cselect_b32 s0, -1, 0
	s_and_b32 s5, s0, exec_lo
	s_cselect_b32 s5, 8, 10
	v_mov_b32_e32 v3, s5
	s_nor_b32 s5, s0, vcc_lo
	s_and_saveexec_b32 s0, s5
	s_cbranch_execz .LBB147_69
; %bb.68:
	v_lshrrev_b32_e32 v3, s4, v1
	s_sub_i32 s4, s3, s4
	v_lshlrev_b32_e32 v4, 2, v2
	s_min_u32 s4, s4, 8
	v_bfe_u32 v3, v3, 0, s4
	v_lshl_or_b32 v3, v3, 4, v4
	v_mov_b32_e32 v4, 1
	ds_add_u32 v3, v4 offset:4096
	v_mov_b32_e32 v3, 0
.LBB147_69:
	s_or_b32 exec_lo, exec_lo, s0
	s_mov_b32 s4, -1
	s_mov_b32 s5, exec_lo
	v_cmpx_gt_i32_e32 10, v3
; %bb.70:
	v_cmp_eq_u32_e64 s0, 0, v3
	s_orn2_b32 s4, s0, exec_lo
; %bb.71:
	s_or_b32 exec_lo, exec_lo, s5
	s_and_b32 exec_lo, exec_lo, s4
	s_cbranch_execz .LBB147_79
; %bb.72:
	s_add_i32 s4, s2, 16
	s_cmp_le_u32 s3, s4
	s_cselect_b32 s0, -1, 0
	s_and_b32 s5, s0, exec_lo
	s_cselect_b32 s5, 8, 10
	v_mov_b32_e32 v3, s5
	s_nor_b32 s5, s0, vcc_lo
	s_and_saveexec_b32 s0, s5
	s_cbranch_execz .LBB147_74
; %bb.73:
	v_lshrrev_b32_e32 v3, s4, v1
	s_sub_i32 s4, s3, s4
	v_lshlrev_b32_e32 v4, 2, v2
	s_min_u32 s4, s4, 8
	v_bfe_u32 v3, v3, 0, s4
	v_lshl_or_b32 v3, v3, 4, v4
	v_mov_b32_e32 v4, 1
	ds_add_u32 v3, v4 offset:8192
	v_mov_b32_e32 v3, 0
.LBB147_74:
	s_or_b32 exec_lo, exec_lo, s0
	s_mov_b32 s4, -1
	s_mov_b32 s5, exec_lo
	v_cmpx_gt_i32_e32 10, v3
; %bb.75:
	v_cmp_eq_u32_e64 s0, 0, v3
	s_orn2_b32 s4, s0, exec_lo
; %bb.76:
	s_or_b32 exec_lo, exec_lo, s5
	s_and_b32 exec_lo, exec_lo, s4
	s_cbranch_execz .LBB147_79
; %bb.77:
	s_add_i32 s0, s2, 24
	s_cmp_gt_u32 s3, s0
	s_cselect_b32 s4, -1, 0
	s_xor_b32 s5, vcc_lo, -1
	s_and_b32 s4, s4, s5
	s_and_b32 exec_lo, exec_lo, s4
	s_cbranch_execz .LBB147_79
; %bb.78:
	v_lshrrev_b32_e32 v1, s0, v1
	s_sub_i32 s0, s3, s0
	v_lshlrev_b32_e32 v2, 2, v2
	s_min_u32 s0, s0, 8
	v_bfe_u32 v1, v1, 0, s0
	v_lshl_or_b32 v1, v1, 4, v2
	v_mov_b32_e32 v2, 1
	ds_add_u32 v1, v2 offset:12288
.LBB147_79:
	s_or_b32 exec_lo, exec_lo, s1
	s_cmp_gt_u32 s3, s2
	s_waitcnt lgkmcnt(0)
	s_barrier
	buffer_gl0_inv
	s_cbranch_scc0 .LBB147_84
; %bb.80:
	v_lshlrev_b32_e32 v3, 4, v0
	v_mov_b32_e32 v2, 0
	v_mov_b32_e32 v1, v0
	s_mov_b32 s1, s2
	v_cmp_gt_u32_e32 vcc_lo, 0x100, v0
	s_inst_prefetch 0x1
	s_branch .LBB147_82
	.p2align	6
.LBB147_81:                             ;   in Loop: Header=BB147_82 Depth=1
	s_or_b32 exec_lo, exec_lo, s4
	v_add_nc_u32_e32 v1, 0x100, v1
	v_add_nc_u32_e32 v3, 0x1000, v3
	s_add_i32 s1, s1, 8
	s_cmp_lt_u32 s1, s3
	s_cbranch_scc0 .LBB147_84
.LBB147_82:                             ; =>This Inner Loop Header: Depth=1
	s_and_saveexec_b32 s4, vcc_lo
	s_cbranch_execz .LBB147_81
; %bb.83:                               ;   in Loop: Header=BB147_82 Depth=1
	ds_read2_b32 v[4:5], v3 offset1:1
	ds_read2_b32 v[6:7], v3 offset0:2 offset1:3
	s_waitcnt lgkmcnt(1)
	v_add_nc_u32_e32 v8, v5, v4
	v_lshlrev_b64 v[4:5], 2, v[1:2]
	s_waitcnt lgkmcnt(0)
	v_add3_u32 v6, v8, v6, v7
	v_add_co_u32 v4, s0, s10, v4
	v_add_co_ci_u32_e64 v5, null, s11, v5, s0
	global_atomic_add v[4:5], v6, off
	s_branch .LBB147_81
.LBB147_84:
	s_inst_prefetch 0x2
	s_mov_b32 s1, 0
.LBB147_85:
	s_and_b32 vcc_lo, exec_lo, s1
	s_cbranch_vccz .LBB147_125
; %bb.86:
	s_cmp_eq_u32 s2, 0
	s_mov_b32 s13, 0
	s_cselect_b32 s4, -1, 0
	s_cmp_eq_u32 s3, 32
	v_lshlrev_b32_e32 v1, 2, v0
	s_cselect_b32 s5, -1, 0
	s_lshl_b64 s[0:1], s[12:13], 2
	s_and_b32 s4, s4, s5
	s_add_u32 s0, s8, s0
	s_addc_u32 s1, s9, s1
	v_add_co_u32 v4, s5, s0, v1
	v_add_co_ci_u32_e64 v5, null, s1, 0, s5
	v_add_co_u32 v2, vcc_lo, 0x1000, v4
	v_add_co_ci_u32_e64 v3, null, 0, v5, vcc_lo
	v_add_co_u32 v7, vcc_lo, 0x2000, v4
	v_add_co_ci_u32_e64 v8, null, 0, v5, vcc_lo
	;; [unrolled: 2-line block ×3, first 2 shown]
	s_clause 0x3
	global_load_dword v6, v1, s[0:1]
	global_load_dword v5, v[2:3], off
	global_load_dword v4, v[7:8], off
	;; [unrolled: 1-line block ×3, first 2 shown]
	v_mov_b32_e32 v2, 0
	v_or_b32_e32 v7, 0xfffffc00, v0
	s_and_b32 vcc_lo, exec_lo, s4
	s_mov_b32 s0, -1
	s_cbranch_vccnz .LBB147_120
; %bb.87:
	v_or_b32_e32 v8, 0xfffffc00, v0
.LBB147_88:                             ; =>This Inner Loop Header: Depth=1
	v_add_nc_u32_e32 v8, 0x400, v8
	ds_write_b32 v1, v2
	v_add_nc_u32_e32 v1, 0x1000, v1
	v_cmp_lt_u32_e32 vcc_lo, 0xbff, v8
	s_or_b32 s13, vcc_lo, s13
	s_andn2_b32 exec_lo, exec_lo, s13
	s_cbranch_execnz .LBB147_88
; %bb.89:
	s_or_b32 exec_lo, exec_lo, s13
	s_cmp_gt_u32 s3, s2
	s_waitcnt vmcnt(0) lgkmcnt(0)
	s_waitcnt_vscnt null, 0x0
	s_cselect_b32 s0, -1, 0
	s_barrier
	s_and_b32 vcc_lo, exec_lo, s0
	buffer_gl0_inv
	s_cbranch_vccz .LBB147_114
; %bb.90:
	s_sub_i32 s1, s3, s2
	v_and_b32_e32 v1, 3, v0
	s_min_u32 s1, s1, 8
	v_lshrrev_b32_e32 v8, s2, v6
	s_lshl_b32 s1, -1, s1
	v_mov_b32_e32 v9, 1
	s_not_b32 s4, s1
	v_lshlrev_b32_e32 v2, 2, v1
	v_and_b32_e32 v8, s4, v8
	s_add_i32 s1, s2, 8
	s_mov_b32 s7, -1
	s_cmp_le_u32 s3, s1
	s_cselect_b32 s5, -1, 0
	v_lshl_or_b32 v8, v8, 4, v2
	s_and_b32 vcc_lo, exec_lo, s5
	ds_add_u32 v8, v9
	v_lshrrev_b32_e32 v8, s2, v5
	v_and_b32_e32 v8, s4, v8
	s_cbranch_vccz .LBB147_92
; %bb.91:
	v_lshlrev_b32_e32 v9, 4, v8
	s_mov_b32 s6, -1
	s_cbranch_execz .LBB147_93
	s_branch .LBB147_100
.LBB147_92:
	s_mov_b32 s6, 0
                                        ; implicit-def: $vgpr9
	s_andn2_b32 vcc_lo, exec_lo, s7
	s_cbranch_vccnz .LBB147_100
.LBB147_93:
	s_sub_i32 s7, s3, s1
	v_lshrrev_b32_e32 v9, s1, v6
	s_min_u32 s7, s7, 8
	s_lshl_b32 s7, -1, s7
	s_not_b32 s8, s7
	s_add_i32 s7, s2, 16
	v_and_b32_e32 v9, s8, v9
	s_cmp_gt_u32 s3, s7
	s_cselect_b32 s9, -1, 0
	s_cmp_le_u32 s3, s7
	v_lshl_or_b32 v10, v9, 4, v2
	v_mov_b32_e32 v9, 1
	ds_add_u32 v10, v9 offset:4096
	s_cbranch_scc1 .LBB147_96
; %bb.94:
	v_lshrrev_b32_e32 v10, s7, v6
	s_sub_i32 s12, s3, s7
	s_min_u32 s12, s12, 8
	v_bfe_u32 v10, v10, 0, s12
	s_add_i32 s12, s2, 24
	s_cmp_le_u32 s3, s12
	v_lshl_or_b32 v10, v10, 4, v2
	ds_add_u32 v10, v9 offset:8192
	s_cbranch_scc1 .LBB147_96
; %bb.95:
	v_lshrrev_b32_e32 v10, s12, v6
	s_sub_i32 s12, s3, s12
	v_mov_b32_e32 v11, 1
	s_min_u32 s12, s12, 8
	v_bfe_u32 v10, v10, 0, s12
	v_lshl_or_b32 v10, v10, 4, v2
	ds_add_u32 v10, v11 offset:12288
.LBB147_96:
	v_lshrrev_b32_e32 v10, s1, v5
	v_lshl_or_b32 v8, v8, 4, v2
	s_andn2_b32 vcc_lo, exec_lo, s9
	v_and_b32_e32 v10, s8, v10
	v_lshl_or_b32 v10, v10, 4, v2
	ds_add_u32 v8, v9
	ds_add_u32 v10, v9 offset:4096
	s_cbranch_vccnz .LBB147_99
; %bb.97:
	v_lshrrev_b32_e32 v8, s7, v5
	s_sub_i32 s7, s3, s7
	v_mov_b32_e32 v9, 1
	s_min_u32 s7, s7, 8
	v_bfe_u32 v8, v8, 0, s7
	s_add_i32 s7, s2, 24
	s_cmp_gt_u32 s3, s7
	v_lshl_or_b32 v8, v8, 4, v2
	ds_add_u32 v8, v9 offset:8192
                                        ; implicit-def: $vgpr9
	s_cbranch_scc0 .LBB147_100
; %bb.98:
	v_lshrrev_b32_e32 v8, s7, v5
	s_sub_i32 s6, s3, s7
	s_min_u32 s6, s6, 8
	v_bfe_u32 v8, v8, 0, s6
	s_mov_b32 s6, -1
	v_lshl_add_u32 v9, v8, 4, 0x3000
	s_branch .LBB147_100
.LBB147_99:
                                        ; implicit-def: $vgpr9
.LBB147_100:
	s_and_b32 vcc_lo, exec_lo, s6
	s_cbranch_vccz .LBB147_102
; %bb.101:
	v_lshl_add_u32 v8, v1, 2, v9
	v_mov_b32_e32 v9, 1
	ds_add_u32 v8, v9
.LBB147_102:
	v_lshrrev_b32_e32 v8, s2, v4
	v_mov_b32_e32 v9, 1
	s_and_b32 vcc_lo, exec_lo, s5
	v_and_b32_e32 v8, s4, v8
	v_lshl_or_b32 v8, v8, 4, v2
	ds_add_u32 v8, v9
	v_lshrrev_b32_e32 v8, s2, v3
	v_and_b32_e32 v8, s4, v8
	s_cbranch_vccz .LBB147_104
; %bb.103:
	v_lshlrev_b32_e32 v9, 4, v8
	s_mov_b32 s4, -1
	s_cbranch_execz .LBB147_105
	s_branch .LBB147_112
.LBB147_104:
	s_mov_b32 s4, 0
                                        ; implicit-def: $vgpr9
.LBB147_105:
	s_sub_i32 s5, s3, s1
	v_lshrrev_b32_e32 v9, s1, v4
	s_min_u32 s5, s5, 8
	s_lshl_b32 s5, -1, s5
	s_not_b32 s6, s5
	s_add_i32 s5, s2, 16
	v_and_b32_e32 v9, s6, v9
	s_cmp_gt_u32 s3, s5
	s_cselect_b32 s7, -1, 0
	s_cmp_le_u32 s3, s5
	v_lshl_or_b32 v10, v9, 4, v2
	v_mov_b32_e32 v9, 1
	ds_add_u32 v10, v9 offset:4096
	s_cbranch_scc1 .LBB147_108
; %bb.106:
	v_lshrrev_b32_e32 v10, s5, v4
	s_sub_i32 s8, s3, s5
	s_min_u32 s8, s8, 8
	v_bfe_u32 v10, v10, 0, s8
	s_add_i32 s8, s2, 24
	s_cmp_le_u32 s3, s8
	v_lshl_or_b32 v10, v10, 4, v2
	ds_add_u32 v10, v9 offset:8192
	s_cbranch_scc1 .LBB147_108
; %bb.107:
	v_lshrrev_b32_e32 v10, s8, v4
	s_sub_i32 s8, s3, s8
	v_mov_b32_e32 v11, 1
	s_min_u32 s8, s8, 8
	v_bfe_u32 v10, v10, 0, s8
	v_lshl_or_b32 v10, v10, 4, v2
	ds_add_u32 v10, v11 offset:12288
.LBB147_108:
	v_lshrrev_b32_e32 v10, s1, v3
	v_lshl_or_b32 v8, v8, 4, v2
	s_andn2_b32 vcc_lo, exec_lo, s7
	v_and_b32_e32 v10, s6, v10
	v_lshl_or_b32 v10, v10, 4, v2
	ds_add_u32 v8, v9
	ds_add_u32 v10, v9 offset:4096
	s_cbranch_vccnz .LBB147_111
; %bb.109:
	v_lshrrev_b32_e32 v8, s5, v3
	s_sub_i32 s1, s3, s5
                                        ; implicit-def: $vgpr9
	s_min_u32 s1, s1, 8
	v_bfe_u32 v8, v8, 0, s1
	s_add_i32 s1, s2, 24
	s_cmp_gt_u32 s3, s1
	v_lshl_or_b32 v2, v8, 4, v2
	v_mov_b32_e32 v8, 1
	ds_add_u32 v2, v8 offset:8192
	s_cbranch_scc0 .LBB147_112
; %bb.110:
	v_lshrrev_b32_e32 v2, s1, v3
	s_sub_i32 s1, s3, s1
	s_mov_b32 s4, -1
	s_min_u32 s1, s1, 8
	v_bfe_u32 v2, v2, 0, s1
	v_lshl_add_u32 v9, v2, 4, 0x3000
	s_branch .LBB147_112
.LBB147_111:
                                        ; implicit-def: $vgpr9
.LBB147_112:
	s_and_b32 vcc_lo, exec_lo, s4
	s_cbranch_vccz .LBB147_114
; %bb.113:
	v_lshl_add_u32 v1, v1, 2, v9
	v_mov_b32_e32 v2, 1
	ds_add_u32 v1, v2
.LBB147_114:
	s_and_b32 vcc_lo, exec_lo, s0
	s_waitcnt lgkmcnt(0)
	s_barrier
	buffer_gl0_inv
	s_cbranch_vccz .LBB147_119
; %bb.115:
	v_lshlrev_b32_e32 v8, 4, v0
	v_mov_b32_e32 v2, 0
	v_mov_b32_e32 v1, v0
	v_cmp_gt_u32_e32 vcc_lo, 0x100, v0
	s_inst_prefetch 0x1
	s_branch .LBB147_117
	.p2align	6
.LBB147_116:                            ;   in Loop: Header=BB147_117 Depth=1
	s_or_b32 exec_lo, exec_lo, s1
	v_add_nc_u32_e32 v1, 0x100, v1
	v_add_nc_u32_e32 v8, 0x1000, v8
	s_add_i32 s2, s2, 8
	s_cmp_ge_u32 s2, s3
	s_cbranch_scc1 .LBB147_119
.LBB147_117:                            ; =>This Inner Loop Header: Depth=1
	s_and_saveexec_b32 s1, vcc_lo
	s_cbranch_execz .LBB147_116
; %bb.118:                              ;   in Loop: Header=BB147_117 Depth=1
	ds_read2_b32 v[9:10], v8 offset1:1
	ds_read2_b32 v[11:12], v8 offset0:2 offset1:3
	s_waitcnt lgkmcnt(1)
	v_add_nc_u32_e32 v13, v10, v9
	v_lshlrev_b64 v[9:10], 2, v[1:2]
	s_waitcnt lgkmcnt(0)
	v_add3_u32 v11, v13, v11, v12
	v_add_co_u32 v9, s0, s10, v9
	v_add_co_ci_u32_e64 v10, null, s11, v10, s0
	global_atomic_add v[9:10], v11, off
	s_branch .LBB147_116
.LBB147_119:
	s_inst_prefetch 0x2
	s_mov_b32 s0, 0
.LBB147_120:
	s_and_b32 vcc_lo, exec_lo, s0
	s_cbranch_vccz .LBB147_125
; %bb.121:
	v_lshlrev_b32_e32 v1, 2, v0
	v_mov_b32_e32 v2, 0
	s_mov_b32 s0, 0
.LBB147_122:                            ; =>This Inner Loop Header: Depth=1
	v_add_nc_u32_e32 v7, 0x400, v7
	ds_write_b32 v1, v2
	v_add_nc_u32_e32 v1, 0x1000, v1
	v_cmp_lt_u32_e32 vcc_lo, 0xbff, v7
	s_or_b32 s0, vcc_lo, s0
	s_andn2_b32 exec_lo, exec_lo, s0
	s_cbranch_execnz .LBB147_122
; %bb.123:
	s_or_b32 exec_lo, exec_lo, s0
	v_and_b32_e32 v1, 3, v0
	s_waitcnt vmcnt(3)
	v_lshlrev_b32_e32 v2, 4, v6
	v_bfe_u32 v8, v6, 8, 8
	v_bfe_u32 v9, v6, 16, 8
	v_mov_b32_e32 v7, 1
	v_lshlrev_b32_e32 v1, 2, v1
	v_lshrrev_b32_e32 v6, 24, v6
	s_waitcnt vmcnt(2)
	v_lshlrev_b32_e32 v10, 4, v5
	v_bfe_u32 v11, v5, 8, 8
	s_waitcnt vmcnt(0) lgkmcnt(0)
	s_waitcnt_vscnt null, 0x0
	v_and_or_b32 v2, 0xff0, v2, v1
	v_lshl_or_b32 v8, v8, 4, v1
	v_lshl_or_b32 v9, v9, 4, v1
	s_barrier
	buffer_gl0_inv
	ds_add_u32 v2, v7
	v_lshl_or_b32 v2, v6, 4, v1
	v_and_or_b32 v6, 0xff0, v10, v1
	v_lshl_or_b32 v10, v11, 4, v1
	ds_add_u32 v8, v7 offset:4096
	ds_add_u32 v9, v7 offset:8192
	;; [unrolled: 1-line block ×3, first 2 shown]
	ds_add_u32 v6, v7
	ds_add_u32 v10, v7 offset:4096
	v_bfe_u32 v2, v5, 16, 8
	v_lshrrev_b32_e32 v5, 24, v5
	v_lshlrev_b32_e32 v6, 4, v4
	v_bfe_u32 v8, v4, 8, 8
	v_bfe_u32 v9, v4, 16, 8
	v_lshl_or_b32 v2, v2, 4, v1
	v_lshl_or_b32 v5, v5, 4, v1
	v_and_or_b32 v6, 0xff0, v6, v1
	v_lshl_or_b32 v8, v8, 4, v1
	v_lshl_or_b32 v9, v9, 4, v1
	ds_add_u32 v2, v7 offset:8192
	ds_add_u32 v5, v7 offset:12288
	ds_add_u32 v6, v7
	ds_add_u32 v8, v7 offset:4096
	ds_add_u32 v9, v7 offset:8192
	v_lshrrev_b32_e32 v2, 24, v4
	v_lshlrev_b32_e32 v4, 4, v3
	v_bfe_u32 v5, v3, 8, 8
	v_bfe_u32 v6, v3, 16, 8
	v_lshrrev_b32_e32 v3, 24, v3
	v_lshl_or_b32 v2, v2, 4, v1
	v_and_or_b32 v4, 0xff0, v4, v1
	v_lshl_or_b32 v5, v5, 4, v1
	v_lshl_or_b32 v6, v6, 4, v1
	;; [unrolled: 1-line block ×3, first 2 shown]
	ds_add_u32 v2, v7 offset:12288
	ds_add_u32 v4, v7
	ds_add_u32 v5, v7 offset:4096
	ds_add_u32 v6, v7 offset:8192
	;; [unrolled: 1-line block ×3, first 2 shown]
	s_waitcnt lgkmcnt(0)
	s_barrier
	buffer_gl0_inv
	s_mov_b32 s0, exec_lo
	v_cmpx_gt_u32_e32 0x100, v0
	s_cbranch_execz .LBB147_125
; %bb.124:
	v_lshlrev_b32_e32 v5, 4, v0
	v_lshlrev_b32_e32 v6, 2, v0
	ds_read2_b32 v[1:2], v5 offset1:1
	ds_read2_b32 v[3:4], v5 offset0:2 offset1:3
	s_waitcnt lgkmcnt(1)
	v_add_nc_u32_e32 v1, v2, v1
	v_add_nc_u32_e32 v2, 0x1008, v5
	s_waitcnt lgkmcnt(0)
	v_add3_u32 v0, v1, v3, v4
	v_add_nc_u32_e32 v1, 0x1000, v5
	v_add_co_u32 v4, s0, s10, v6
	global_atomic_add v6, v0, s[10:11]
	ds_read2_b32 v[0:1], v1 offset1:1
	ds_read2_b32 v[2:3], v2 offset1:1
	s_waitcnt lgkmcnt(1)
	v_add_nc_u32_e32 v0, v1, v0
	v_add_nc_u32_e32 v1, 0x2000, v5
	s_waitcnt lgkmcnt(0)
	v_add3_u32 v0, v0, v2, v3
	v_add_nc_u32_e32 v2, 0x2008, v5
	global_atomic_add v6, v0, s[10:11] offset:1024
	ds_read2_b32 v[0:1], v1 offset1:1
	ds_read2_b32 v[2:3], v2 offset1:1
	v_add_co_ci_u32_e64 v6, null, s11, 0, s0
	s_waitcnt lgkmcnt(1)
	v_add_nc_u32_e32 v7, v1, v0
	v_add_co_u32 v0, vcc_lo, 0x800, v4
	v_add_co_ci_u32_e64 v1, null, 0, v6, vcc_lo
	s_waitcnt lgkmcnt(0)
	v_add3_u32 v2, v7, v2, v3
	v_add_nc_u32_e32 v3, 0x3000, v5
	v_add_nc_u32_e32 v4, 0x3008, v5
	global_atomic_add v[0:1], v2, off
	ds_read2_b32 v[2:3], v3 offset1:1
	ds_read2_b32 v[4:5], v4 offset1:1
	s_waitcnt lgkmcnt(1)
	v_add_nc_u32_e32 v2, v3, v2
	s_waitcnt lgkmcnt(0)
	v_add3_u32 v2, v2, v4, v5
	global_atomic_add v[0:1], v2, off offset:1024
.LBB147_125:
	s_endpgm
	.section	.rodata,"a",@progbits
	.p2align	6, 0x0
	.amdhsa_kernel _ZN7rocprim17ROCPRIM_400000_NS6detail17trampoline_kernelINS0_14default_configENS1_35radix_sort_onesweep_config_selectorIjN6thrust23THRUST_200600_302600_NS5tupleIffNS6_9null_typeES8_S8_S8_S8_S8_S8_S8_EEEEZNS1_34radix_sort_onesweep_global_offsetsIS3_Lb0ENS6_6detail15normal_iteratorINS6_10device_ptrIjEEEENSD_INSE_IS9_EEEEjNS0_19identity_decomposerEEE10hipError_tT1_T2_PT3_SN_jT4_jjP12ihipStream_tbEUlT_E_NS1_11comp_targetILNS1_3genE8ELNS1_11target_archE1030ELNS1_3gpuE2ELNS1_3repE0EEENS1_52radix_sort_onesweep_histogram_config_static_selectorELNS0_4arch9wavefront6targetE0EEEvSL_
		.amdhsa_group_segment_fixed_size 16384
		.amdhsa_private_segment_fixed_size 0
		.amdhsa_kernarg_size 40
		.amdhsa_user_sgpr_count 6
		.amdhsa_user_sgpr_private_segment_buffer 1
		.amdhsa_user_sgpr_dispatch_ptr 0
		.amdhsa_user_sgpr_queue_ptr 0
		.amdhsa_user_sgpr_kernarg_segment_ptr 1
		.amdhsa_user_sgpr_dispatch_id 0
		.amdhsa_user_sgpr_flat_scratch_init 0
		.amdhsa_user_sgpr_private_segment_size 0
		.amdhsa_wavefront_size32 1
		.amdhsa_uses_dynamic_stack 0
		.amdhsa_system_sgpr_private_segment_wavefront_offset 0
		.amdhsa_system_sgpr_workgroup_id_x 1
		.amdhsa_system_sgpr_workgroup_id_y 0
		.amdhsa_system_sgpr_workgroup_id_z 0
		.amdhsa_system_sgpr_workgroup_info 0
		.amdhsa_system_vgpr_workitem_id 0
		.amdhsa_next_free_vgpr 14
		.amdhsa_next_free_sgpr 14
		.amdhsa_reserve_vcc 1
		.amdhsa_reserve_flat_scratch 0
		.amdhsa_float_round_mode_32 0
		.amdhsa_float_round_mode_16_64 0
		.amdhsa_float_denorm_mode_32 3
		.amdhsa_float_denorm_mode_16_64 3
		.amdhsa_dx10_clamp 1
		.amdhsa_ieee_mode 1
		.amdhsa_fp16_overflow 0
		.amdhsa_workgroup_processor_mode 1
		.amdhsa_memory_ordered 1
		.amdhsa_forward_progress 1
		.amdhsa_shared_vgpr_count 0
		.amdhsa_exception_fp_ieee_invalid_op 0
		.amdhsa_exception_fp_denorm_src 0
		.amdhsa_exception_fp_ieee_div_zero 0
		.amdhsa_exception_fp_ieee_overflow 0
		.amdhsa_exception_fp_ieee_underflow 0
		.amdhsa_exception_fp_ieee_inexact 0
		.amdhsa_exception_int_div_zero 0
	.end_amdhsa_kernel
	.section	.text._ZN7rocprim17ROCPRIM_400000_NS6detail17trampoline_kernelINS0_14default_configENS1_35radix_sort_onesweep_config_selectorIjN6thrust23THRUST_200600_302600_NS5tupleIffNS6_9null_typeES8_S8_S8_S8_S8_S8_S8_EEEEZNS1_34radix_sort_onesweep_global_offsetsIS3_Lb0ENS6_6detail15normal_iteratorINS6_10device_ptrIjEEEENSD_INSE_IS9_EEEEjNS0_19identity_decomposerEEE10hipError_tT1_T2_PT3_SN_jT4_jjP12ihipStream_tbEUlT_E_NS1_11comp_targetILNS1_3genE8ELNS1_11target_archE1030ELNS1_3gpuE2ELNS1_3repE0EEENS1_52radix_sort_onesweep_histogram_config_static_selectorELNS0_4arch9wavefront6targetE0EEEvSL_,"axG",@progbits,_ZN7rocprim17ROCPRIM_400000_NS6detail17trampoline_kernelINS0_14default_configENS1_35radix_sort_onesweep_config_selectorIjN6thrust23THRUST_200600_302600_NS5tupleIffNS6_9null_typeES8_S8_S8_S8_S8_S8_S8_EEEEZNS1_34radix_sort_onesweep_global_offsetsIS3_Lb0ENS6_6detail15normal_iteratorINS6_10device_ptrIjEEEENSD_INSE_IS9_EEEEjNS0_19identity_decomposerEEE10hipError_tT1_T2_PT3_SN_jT4_jjP12ihipStream_tbEUlT_E_NS1_11comp_targetILNS1_3genE8ELNS1_11target_archE1030ELNS1_3gpuE2ELNS1_3repE0EEENS1_52radix_sort_onesweep_histogram_config_static_selectorELNS0_4arch9wavefront6targetE0EEEvSL_,comdat
.Lfunc_end147:
	.size	_ZN7rocprim17ROCPRIM_400000_NS6detail17trampoline_kernelINS0_14default_configENS1_35radix_sort_onesweep_config_selectorIjN6thrust23THRUST_200600_302600_NS5tupleIffNS6_9null_typeES8_S8_S8_S8_S8_S8_S8_EEEEZNS1_34radix_sort_onesweep_global_offsetsIS3_Lb0ENS6_6detail15normal_iteratorINS6_10device_ptrIjEEEENSD_INSE_IS9_EEEEjNS0_19identity_decomposerEEE10hipError_tT1_T2_PT3_SN_jT4_jjP12ihipStream_tbEUlT_E_NS1_11comp_targetILNS1_3genE8ELNS1_11target_archE1030ELNS1_3gpuE2ELNS1_3repE0EEENS1_52radix_sort_onesweep_histogram_config_static_selectorELNS0_4arch9wavefront6targetE0EEEvSL_, .Lfunc_end147-_ZN7rocprim17ROCPRIM_400000_NS6detail17trampoline_kernelINS0_14default_configENS1_35radix_sort_onesweep_config_selectorIjN6thrust23THRUST_200600_302600_NS5tupleIffNS6_9null_typeES8_S8_S8_S8_S8_S8_S8_EEEEZNS1_34radix_sort_onesweep_global_offsetsIS3_Lb0ENS6_6detail15normal_iteratorINS6_10device_ptrIjEEEENSD_INSE_IS9_EEEEjNS0_19identity_decomposerEEE10hipError_tT1_T2_PT3_SN_jT4_jjP12ihipStream_tbEUlT_E_NS1_11comp_targetILNS1_3genE8ELNS1_11target_archE1030ELNS1_3gpuE2ELNS1_3repE0EEENS1_52radix_sort_onesweep_histogram_config_static_selectorELNS0_4arch9wavefront6targetE0EEEvSL_
                                        ; -- End function
	.set _ZN7rocprim17ROCPRIM_400000_NS6detail17trampoline_kernelINS0_14default_configENS1_35radix_sort_onesweep_config_selectorIjN6thrust23THRUST_200600_302600_NS5tupleIffNS6_9null_typeES8_S8_S8_S8_S8_S8_S8_EEEEZNS1_34radix_sort_onesweep_global_offsetsIS3_Lb0ENS6_6detail15normal_iteratorINS6_10device_ptrIjEEEENSD_INSE_IS9_EEEEjNS0_19identity_decomposerEEE10hipError_tT1_T2_PT3_SN_jT4_jjP12ihipStream_tbEUlT_E_NS1_11comp_targetILNS1_3genE8ELNS1_11target_archE1030ELNS1_3gpuE2ELNS1_3repE0EEENS1_52radix_sort_onesweep_histogram_config_static_selectorELNS0_4arch9wavefront6targetE0EEEvSL_.num_vgpr, 14
	.set _ZN7rocprim17ROCPRIM_400000_NS6detail17trampoline_kernelINS0_14default_configENS1_35radix_sort_onesweep_config_selectorIjN6thrust23THRUST_200600_302600_NS5tupleIffNS6_9null_typeES8_S8_S8_S8_S8_S8_S8_EEEEZNS1_34radix_sort_onesweep_global_offsetsIS3_Lb0ENS6_6detail15normal_iteratorINS6_10device_ptrIjEEEENSD_INSE_IS9_EEEEjNS0_19identity_decomposerEEE10hipError_tT1_T2_PT3_SN_jT4_jjP12ihipStream_tbEUlT_E_NS1_11comp_targetILNS1_3genE8ELNS1_11target_archE1030ELNS1_3gpuE2ELNS1_3repE0EEENS1_52radix_sort_onesweep_histogram_config_static_selectorELNS0_4arch9wavefront6targetE0EEEvSL_.num_agpr, 0
	.set _ZN7rocprim17ROCPRIM_400000_NS6detail17trampoline_kernelINS0_14default_configENS1_35radix_sort_onesweep_config_selectorIjN6thrust23THRUST_200600_302600_NS5tupleIffNS6_9null_typeES8_S8_S8_S8_S8_S8_S8_EEEEZNS1_34radix_sort_onesweep_global_offsetsIS3_Lb0ENS6_6detail15normal_iteratorINS6_10device_ptrIjEEEENSD_INSE_IS9_EEEEjNS0_19identity_decomposerEEE10hipError_tT1_T2_PT3_SN_jT4_jjP12ihipStream_tbEUlT_E_NS1_11comp_targetILNS1_3genE8ELNS1_11target_archE1030ELNS1_3gpuE2ELNS1_3repE0EEENS1_52radix_sort_onesweep_histogram_config_static_selectorELNS0_4arch9wavefront6targetE0EEEvSL_.numbered_sgpr, 14
	.set _ZN7rocprim17ROCPRIM_400000_NS6detail17trampoline_kernelINS0_14default_configENS1_35radix_sort_onesweep_config_selectorIjN6thrust23THRUST_200600_302600_NS5tupleIffNS6_9null_typeES8_S8_S8_S8_S8_S8_S8_EEEEZNS1_34radix_sort_onesweep_global_offsetsIS3_Lb0ENS6_6detail15normal_iteratorINS6_10device_ptrIjEEEENSD_INSE_IS9_EEEEjNS0_19identity_decomposerEEE10hipError_tT1_T2_PT3_SN_jT4_jjP12ihipStream_tbEUlT_E_NS1_11comp_targetILNS1_3genE8ELNS1_11target_archE1030ELNS1_3gpuE2ELNS1_3repE0EEENS1_52radix_sort_onesweep_histogram_config_static_selectorELNS0_4arch9wavefront6targetE0EEEvSL_.num_named_barrier, 0
	.set _ZN7rocprim17ROCPRIM_400000_NS6detail17trampoline_kernelINS0_14default_configENS1_35radix_sort_onesweep_config_selectorIjN6thrust23THRUST_200600_302600_NS5tupleIffNS6_9null_typeES8_S8_S8_S8_S8_S8_S8_EEEEZNS1_34radix_sort_onesweep_global_offsetsIS3_Lb0ENS6_6detail15normal_iteratorINS6_10device_ptrIjEEEENSD_INSE_IS9_EEEEjNS0_19identity_decomposerEEE10hipError_tT1_T2_PT3_SN_jT4_jjP12ihipStream_tbEUlT_E_NS1_11comp_targetILNS1_3genE8ELNS1_11target_archE1030ELNS1_3gpuE2ELNS1_3repE0EEENS1_52radix_sort_onesweep_histogram_config_static_selectorELNS0_4arch9wavefront6targetE0EEEvSL_.private_seg_size, 0
	.set _ZN7rocprim17ROCPRIM_400000_NS6detail17trampoline_kernelINS0_14default_configENS1_35radix_sort_onesweep_config_selectorIjN6thrust23THRUST_200600_302600_NS5tupleIffNS6_9null_typeES8_S8_S8_S8_S8_S8_S8_EEEEZNS1_34radix_sort_onesweep_global_offsetsIS3_Lb0ENS6_6detail15normal_iteratorINS6_10device_ptrIjEEEENSD_INSE_IS9_EEEEjNS0_19identity_decomposerEEE10hipError_tT1_T2_PT3_SN_jT4_jjP12ihipStream_tbEUlT_E_NS1_11comp_targetILNS1_3genE8ELNS1_11target_archE1030ELNS1_3gpuE2ELNS1_3repE0EEENS1_52radix_sort_onesweep_histogram_config_static_selectorELNS0_4arch9wavefront6targetE0EEEvSL_.uses_vcc, 1
	.set _ZN7rocprim17ROCPRIM_400000_NS6detail17trampoline_kernelINS0_14default_configENS1_35radix_sort_onesweep_config_selectorIjN6thrust23THRUST_200600_302600_NS5tupleIffNS6_9null_typeES8_S8_S8_S8_S8_S8_S8_EEEEZNS1_34radix_sort_onesweep_global_offsetsIS3_Lb0ENS6_6detail15normal_iteratorINS6_10device_ptrIjEEEENSD_INSE_IS9_EEEEjNS0_19identity_decomposerEEE10hipError_tT1_T2_PT3_SN_jT4_jjP12ihipStream_tbEUlT_E_NS1_11comp_targetILNS1_3genE8ELNS1_11target_archE1030ELNS1_3gpuE2ELNS1_3repE0EEENS1_52radix_sort_onesweep_histogram_config_static_selectorELNS0_4arch9wavefront6targetE0EEEvSL_.uses_flat_scratch, 0
	.set _ZN7rocprim17ROCPRIM_400000_NS6detail17trampoline_kernelINS0_14default_configENS1_35radix_sort_onesweep_config_selectorIjN6thrust23THRUST_200600_302600_NS5tupleIffNS6_9null_typeES8_S8_S8_S8_S8_S8_S8_EEEEZNS1_34radix_sort_onesweep_global_offsetsIS3_Lb0ENS6_6detail15normal_iteratorINS6_10device_ptrIjEEEENSD_INSE_IS9_EEEEjNS0_19identity_decomposerEEE10hipError_tT1_T2_PT3_SN_jT4_jjP12ihipStream_tbEUlT_E_NS1_11comp_targetILNS1_3genE8ELNS1_11target_archE1030ELNS1_3gpuE2ELNS1_3repE0EEENS1_52radix_sort_onesweep_histogram_config_static_selectorELNS0_4arch9wavefront6targetE0EEEvSL_.has_dyn_sized_stack, 0
	.set _ZN7rocprim17ROCPRIM_400000_NS6detail17trampoline_kernelINS0_14default_configENS1_35radix_sort_onesweep_config_selectorIjN6thrust23THRUST_200600_302600_NS5tupleIffNS6_9null_typeES8_S8_S8_S8_S8_S8_S8_EEEEZNS1_34radix_sort_onesweep_global_offsetsIS3_Lb0ENS6_6detail15normal_iteratorINS6_10device_ptrIjEEEENSD_INSE_IS9_EEEEjNS0_19identity_decomposerEEE10hipError_tT1_T2_PT3_SN_jT4_jjP12ihipStream_tbEUlT_E_NS1_11comp_targetILNS1_3genE8ELNS1_11target_archE1030ELNS1_3gpuE2ELNS1_3repE0EEENS1_52radix_sort_onesweep_histogram_config_static_selectorELNS0_4arch9wavefront6targetE0EEEvSL_.has_recursion, 0
	.set _ZN7rocprim17ROCPRIM_400000_NS6detail17trampoline_kernelINS0_14default_configENS1_35radix_sort_onesweep_config_selectorIjN6thrust23THRUST_200600_302600_NS5tupleIffNS6_9null_typeES8_S8_S8_S8_S8_S8_S8_EEEEZNS1_34radix_sort_onesweep_global_offsetsIS3_Lb0ENS6_6detail15normal_iteratorINS6_10device_ptrIjEEEENSD_INSE_IS9_EEEEjNS0_19identity_decomposerEEE10hipError_tT1_T2_PT3_SN_jT4_jjP12ihipStream_tbEUlT_E_NS1_11comp_targetILNS1_3genE8ELNS1_11target_archE1030ELNS1_3gpuE2ELNS1_3repE0EEENS1_52radix_sort_onesweep_histogram_config_static_selectorELNS0_4arch9wavefront6targetE0EEEvSL_.has_indirect_call, 0
	.section	.AMDGPU.csdata,"",@progbits
; Kernel info:
; codeLenInByte = 4356
; TotalNumSgprs: 16
; NumVgprs: 14
; ScratchSize: 0
; MemoryBound: 0
; FloatMode: 240
; IeeeMode: 1
; LDSByteSize: 16384 bytes/workgroup (compile time only)
; SGPRBlocks: 0
; VGPRBlocks: 1
; NumSGPRsForWavesPerEU: 16
; NumVGPRsForWavesPerEU: 14
; Occupancy: 16
; WaveLimiterHint : 1
; COMPUTE_PGM_RSRC2:SCRATCH_EN: 0
; COMPUTE_PGM_RSRC2:USER_SGPR: 6
; COMPUTE_PGM_RSRC2:TRAP_HANDLER: 0
; COMPUTE_PGM_RSRC2:TGID_X_EN: 1
; COMPUTE_PGM_RSRC2:TGID_Y_EN: 0
; COMPUTE_PGM_RSRC2:TGID_Z_EN: 0
; COMPUTE_PGM_RSRC2:TIDIG_COMP_CNT: 0
	.section	.text._ZN7rocprim17ROCPRIM_400000_NS6detail17trampoline_kernelINS0_14default_configENS1_35radix_sort_onesweep_config_selectorIjN6thrust23THRUST_200600_302600_NS5tupleIffNS6_9null_typeES8_S8_S8_S8_S8_S8_S8_EEEEZNS1_34radix_sort_onesweep_global_offsetsIS3_Lb0ENS6_6detail15normal_iteratorINS6_10device_ptrIjEEEENSD_INSE_IS9_EEEEjNS0_19identity_decomposerEEE10hipError_tT1_T2_PT3_SN_jT4_jjP12ihipStream_tbEUlT_E0_NS1_11comp_targetILNS1_3genE0ELNS1_11target_archE4294967295ELNS1_3gpuE0ELNS1_3repE0EEENS1_52radix_sort_onesweep_histogram_config_static_selectorELNS0_4arch9wavefront6targetE0EEEvSL_,"axG",@progbits,_ZN7rocprim17ROCPRIM_400000_NS6detail17trampoline_kernelINS0_14default_configENS1_35radix_sort_onesweep_config_selectorIjN6thrust23THRUST_200600_302600_NS5tupleIffNS6_9null_typeES8_S8_S8_S8_S8_S8_S8_EEEEZNS1_34radix_sort_onesweep_global_offsetsIS3_Lb0ENS6_6detail15normal_iteratorINS6_10device_ptrIjEEEENSD_INSE_IS9_EEEEjNS0_19identity_decomposerEEE10hipError_tT1_T2_PT3_SN_jT4_jjP12ihipStream_tbEUlT_E0_NS1_11comp_targetILNS1_3genE0ELNS1_11target_archE4294967295ELNS1_3gpuE0ELNS1_3repE0EEENS1_52radix_sort_onesweep_histogram_config_static_selectorELNS0_4arch9wavefront6targetE0EEEvSL_,comdat
	.protected	_ZN7rocprim17ROCPRIM_400000_NS6detail17trampoline_kernelINS0_14default_configENS1_35radix_sort_onesweep_config_selectorIjN6thrust23THRUST_200600_302600_NS5tupleIffNS6_9null_typeES8_S8_S8_S8_S8_S8_S8_EEEEZNS1_34radix_sort_onesweep_global_offsetsIS3_Lb0ENS6_6detail15normal_iteratorINS6_10device_ptrIjEEEENSD_INSE_IS9_EEEEjNS0_19identity_decomposerEEE10hipError_tT1_T2_PT3_SN_jT4_jjP12ihipStream_tbEUlT_E0_NS1_11comp_targetILNS1_3genE0ELNS1_11target_archE4294967295ELNS1_3gpuE0ELNS1_3repE0EEENS1_52radix_sort_onesweep_histogram_config_static_selectorELNS0_4arch9wavefront6targetE0EEEvSL_ ; -- Begin function _ZN7rocprim17ROCPRIM_400000_NS6detail17trampoline_kernelINS0_14default_configENS1_35radix_sort_onesweep_config_selectorIjN6thrust23THRUST_200600_302600_NS5tupleIffNS6_9null_typeES8_S8_S8_S8_S8_S8_S8_EEEEZNS1_34radix_sort_onesweep_global_offsetsIS3_Lb0ENS6_6detail15normal_iteratorINS6_10device_ptrIjEEEENSD_INSE_IS9_EEEEjNS0_19identity_decomposerEEE10hipError_tT1_T2_PT3_SN_jT4_jjP12ihipStream_tbEUlT_E0_NS1_11comp_targetILNS1_3genE0ELNS1_11target_archE4294967295ELNS1_3gpuE0ELNS1_3repE0EEENS1_52radix_sort_onesweep_histogram_config_static_selectorELNS0_4arch9wavefront6targetE0EEEvSL_
	.globl	_ZN7rocprim17ROCPRIM_400000_NS6detail17trampoline_kernelINS0_14default_configENS1_35radix_sort_onesweep_config_selectorIjN6thrust23THRUST_200600_302600_NS5tupleIffNS6_9null_typeES8_S8_S8_S8_S8_S8_S8_EEEEZNS1_34radix_sort_onesweep_global_offsetsIS3_Lb0ENS6_6detail15normal_iteratorINS6_10device_ptrIjEEEENSD_INSE_IS9_EEEEjNS0_19identity_decomposerEEE10hipError_tT1_T2_PT3_SN_jT4_jjP12ihipStream_tbEUlT_E0_NS1_11comp_targetILNS1_3genE0ELNS1_11target_archE4294967295ELNS1_3gpuE0ELNS1_3repE0EEENS1_52radix_sort_onesweep_histogram_config_static_selectorELNS0_4arch9wavefront6targetE0EEEvSL_
	.p2align	8
	.type	_ZN7rocprim17ROCPRIM_400000_NS6detail17trampoline_kernelINS0_14default_configENS1_35radix_sort_onesweep_config_selectorIjN6thrust23THRUST_200600_302600_NS5tupleIffNS6_9null_typeES8_S8_S8_S8_S8_S8_S8_EEEEZNS1_34radix_sort_onesweep_global_offsetsIS3_Lb0ENS6_6detail15normal_iteratorINS6_10device_ptrIjEEEENSD_INSE_IS9_EEEEjNS0_19identity_decomposerEEE10hipError_tT1_T2_PT3_SN_jT4_jjP12ihipStream_tbEUlT_E0_NS1_11comp_targetILNS1_3genE0ELNS1_11target_archE4294967295ELNS1_3gpuE0ELNS1_3repE0EEENS1_52radix_sort_onesweep_histogram_config_static_selectorELNS0_4arch9wavefront6targetE0EEEvSL_,@function
_ZN7rocprim17ROCPRIM_400000_NS6detail17trampoline_kernelINS0_14default_configENS1_35radix_sort_onesweep_config_selectorIjN6thrust23THRUST_200600_302600_NS5tupleIffNS6_9null_typeES8_S8_S8_S8_S8_S8_S8_EEEEZNS1_34radix_sort_onesweep_global_offsetsIS3_Lb0ENS6_6detail15normal_iteratorINS6_10device_ptrIjEEEENSD_INSE_IS9_EEEEjNS0_19identity_decomposerEEE10hipError_tT1_T2_PT3_SN_jT4_jjP12ihipStream_tbEUlT_E0_NS1_11comp_targetILNS1_3genE0ELNS1_11target_archE4294967295ELNS1_3gpuE0ELNS1_3repE0EEENS1_52radix_sort_onesweep_histogram_config_static_selectorELNS0_4arch9wavefront6targetE0EEEvSL_: ; @_ZN7rocprim17ROCPRIM_400000_NS6detail17trampoline_kernelINS0_14default_configENS1_35radix_sort_onesweep_config_selectorIjN6thrust23THRUST_200600_302600_NS5tupleIffNS6_9null_typeES8_S8_S8_S8_S8_S8_S8_EEEEZNS1_34radix_sort_onesweep_global_offsetsIS3_Lb0ENS6_6detail15normal_iteratorINS6_10device_ptrIjEEEENSD_INSE_IS9_EEEEjNS0_19identity_decomposerEEE10hipError_tT1_T2_PT3_SN_jT4_jjP12ihipStream_tbEUlT_E0_NS1_11comp_targetILNS1_3genE0ELNS1_11target_archE4294967295ELNS1_3gpuE0ELNS1_3repE0EEENS1_52radix_sort_onesweep_histogram_config_static_selectorELNS0_4arch9wavefront6targetE0EEEvSL_
; %bb.0:
	.section	.rodata,"a",@progbits
	.p2align	6, 0x0
	.amdhsa_kernel _ZN7rocprim17ROCPRIM_400000_NS6detail17trampoline_kernelINS0_14default_configENS1_35radix_sort_onesweep_config_selectorIjN6thrust23THRUST_200600_302600_NS5tupleIffNS6_9null_typeES8_S8_S8_S8_S8_S8_S8_EEEEZNS1_34radix_sort_onesweep_global_offsetsIS3_Lb0ENS6_6detail15normal_iteratorINS6_10device_ptrIjEEEENSD_INSE_IS9_EEEEjNS0_19identity_decomposerEEE10hipError_tT1_T2_PT3_SN_jT4_jjP12ihipStream_tbEUlT_E0_NS1_11comp_targetILNS1_3genE0ELNS1_11target_archE4294967295ELNS1_3gpuE0ELNS1_3repE0EEENS1_52radix_sort_onesweep_histogram_config_static_selectorELNS0_4arch9wavefront6targetE0EEEvSL_
		.amdhsa_group_segment_fixed_size 0
		.amdhsa_private_segment_fixed_size 0
		.amdhsa_kernarg_size 8
		.amdhsa_user_sgpr_count 6
		.amdhsa_user_sgpr_private_segment_buffer 1
		.amdhsa_user_sgpr_dispatch_ptr 0
		.amdhsa_user_sgpr_queue_ptr 0
		.amdhsa_user_sgpr_kernarg_segment_ptr 1
		.amdhsa_user_sgpr_dispatch_id 0
		.amdhsa_user_sgpr_flat_scratch_init 0
		.amdhsa_user_sgpr_private_segment_size 0
		.amdhsa_wavefront_size32 1
		.amdhsa_uses_dynamic_stack 0
		.amdhsa_system_sgpr_private_segment_wavefront_offset 0
		.amdhsa_system_sgpr_workgroup_id_x 1
		.amdhsa_system_sgpr_workgroup_id_y 0
		.amdhsa_system_sgpr_workgroup_id_z 0
		.amdhsa_system_sgpr_workgroup_info 0
		.amdhsa_system_vgpr_workitem_id 0
		.amdhsa_next_free_vgpr 1
		.amdhsa_next_free_sgpr 1
		.amdhsa_reserve_vcc 0
		.amdhsa_reserve_flat_scratch 0
		.amdhsa_float_round_mode_32 0
		.amdhsa_float_round_mode_16_64 0
		.amdhsa_float_denorm_mode_32 3
		.amdhsa_float_denorm_mode_16_64 3
		.amdhsa_dx10_clamp 1
		.amdhsa_ieee_mode 1
		.amdhsa_fp16_overflow 0
		.amdhsa_workgroup_processor_mode 1
		.amdhsa_memory_ordered 1
		.amdhsa_forward_progress 1
		.amdhsa_shared_vgpr_count 0
		.amdhsa_exception_fp_ieee_invalid_op 0
		.amdhsa_exception_fp_denorm_src 0
		.amdhsa_exception_fp_ieee_div_zero 0
		.amdhsa_exception_fp_ieee_overflow 0
		.amdhsa_exception_fp_ieee_underflow 0
		.amdhsa_exception_fp_ieee_inexact 0
		.amdhsa_exception_int_div_zero 0
	.end_amdhsa_kernel
	.section	.text._ZN7rocprim17ROCPRIM_400000_NS6detail17trampoline_kernelINS0_14default_configENS1_35radix_sort_onesweep_config_selectorIjN6thrust23THRUST_200600_302600_NS5tupleIffNS6_9null_typeES8_S8_S8_S8_S8_S8_S8_EEEEZNS1_34radix_sort_onesweep_global_offsetsIS3_Lb0ENS6_6detail15normal_iteratorINS6_10device_ptrIjEEEENSD_INSE_IS9_EEEEjNS0_19identity_decomposerEEE10hipError_tT1_T2_PT3_SN_jT4_jjP12ihipStream_tbEUlT_E0_NS1_11comp_targetILNS1_3genE0ELNS1_11target_archE4294967295ELNS1_3gpuE0ELNS1_3repE0EEENS1_52radix_sort_onesweep_histogram_config_static_selectorELNS0_4arch9wavefront6targetE0EEEvSL_,"axG",@progbits,_ZN7rocprim17ROCPRIM_400000_NS6detail17trampoline_kernelINS0_14default_configENS1_35radix_sort_onesweep_config_selectorIjN6thrust23THRUST_200600_302600_NS5tupleIffNS6_9null_typeES8_S8_S8_S8_S8_S8_S8_EEEEZNS1_34radix_sort_onesweep_global_offsetsIS3_Lb0ENS6_6detail15normal_iteratorINS6_10device_ptrIjEEEENSD_INSE_IS9_EEEEjNS0_19identity_decomposerEEE10hipError_tT1_T2_PT3_SN_jT4_jjP12ihipStream_tbEUlT_E0_NS1_11comp_targetILNS1_3genE0ELNS1_11target_archE4294967295ELNS1_3gpuE0ELNS1_3repE0EEENS1_52radix_sort_onesweep_histogram_config_static_selectorELNS0_4arch9wavefront6targetE0EEEvSL_,comdat
.Lfunc_end148:
	.size	_ZN7rocprim17ROCPRIM_400000_NS6detail17trampoline_kernelINS0_14default_configENS1_35radix_sort_onesweep_config_selectorIjN6thrust23THRUST_200600_302600_NS5tupleIffNS6_9null_typeES8_S8_S8_S8_S8_S8_S8_EEEEZNS1_34radix_sort_onesweep_global_offsetsIS3_Lb0ENS6_6detail15normal_iteratorINS6_10device_ptrIjEEEENSD_INSE_IS9_EEEEjNS0_19identity_decomposerEEE10hipError_tT1_T2_PT3_SN_jT4_jjP12ihipStream_tbEUlT_E0_NS1_11comp_targetILNS1_3genE0ELNS1_11target_archE4294967295ELNS1_3gpuE0ELNS1_3repE0EEENS1_52radix_sort_onesweep_histogram_config_static_selectorELNS0_4arch9wavefront6targetE0EEEvSL_, .Lfunc_end148-_ZN7rocprim17ROCPRIM_400000_NS6detail17trampoline_kernelINS0_14default_configENS1_35radix_sort_onesweep_config_selectorIjN6thrust23THRUST_200600_302600_NS5tupleIffNS6_9null_typeES8_S8_S8_S8_S8_S8_S8_EEEEZNS1_34radix_sort_onesweep_global_offsetsIS3_Lb0ENS6_6detail15normal_iteratorINS6_10device_ptrIjEEEENSD_INSE_IS9_EEEEjNS0_19identity_decomposerEEE10hipError_tT1_T2_PT3_SN_jT4_jjP12ihipStream_tbEUlT_E0_NS1_11comp_targetILNS1_3genE0ELNS1_11target_archE4294967295ELNS1_3gpuE0ELNS1_3repE0EEENS1_52radix_sort_onesweep_histogram_config_static_selectorELNS0_4arch9wavefront6targetE0EEEvSL_
                                        ; -- End function
	.set _ZN7rocprim17ROCPRIM_400000_NS6detail17trampoline_kernelINS0_14default_configENS1_35radix_sort_onesweep_config_selectorIjN6thrust23THRUST_200600_302600_NS5tupleIffNS6_9null_typeES8_S8_S8_S8_S8_S8_S8_EEEEZNS1_34radix_sort_onesweep_global_offsetsIS3_Lb0ENS6_6detail15normal_iteratorINS6_10device_ptrIjEEEENSD_INSE_IS9_EEEEjNS0_19identity_decomposerEEE10hipError_tT1_T2_PT3_SN_jT4_jjP12ihipStream_tbEUlT_E0_NS1_11comp_targetILNS1_3genE0ELNS1_11target_archE4294967295ELNS1_3gpuE0ELNS1_3repE0EEENS1_52radix_sort_onesweep_histogram_config_static_selectorELNS0_4arch9wavefront6targetE0EEEvSL_.num_vgpr, 0
	.set _ZN7rocprim17ROCPRIM_400000_NS6detail17trampoline_kernelINS0_14default_configENS1_35radix_sort_onesweep_config_selectorIjN6thrust23THRUST_200600_302600_NS5tupleIffNS6_9null_typeES8_S8_S8_S8_S8_S8_S8_EEEEZNS1_34radix_sort_onesweep_global_offsetsIS3_Lb0ENS6_6detail15normal_iteratorINS6_10device_ptrIjEEEENSD_INSE_IS9_EEEEjNS0_19identity_decomposerEEE10hipError_tT1_T2_PT3_SN_jT4_jjP12ihipStream_tbEUlT_E0_NS1_11comp_targetILNS1_3genE0ELNS1_11target_archE4294967295ELNS1_3gpuE0ELNS1_3repE0EEENS1_52radix_sort_onesweep_histogram_config_static_selectorELNS0_4arch9wavefront6targetE0EEEvSL_.num_agpr, 0
	.set _ZN7rocprim17ROCPRIM_400000_NS6detail17trampoline_kernelINS0_14default_configENS1_35radix_sort_onesweep_config_selectorIjN6thrust23THRUST_200600_302600_NS5tupleIffNS6_9null_typeES8_S8_S8_S8_S8_S8_S8_EEEEZNS1_34radix_sort_onesweep_global_offsetsIS3_Lb0ENS6_6detail15normal_iteratorINS6_10device_ptrIjEEEENSD_INSE_IS9_EEEEjNS0_19identity_decomposerEEE10hipError_tT1_T2_PT3_SN_jT4_jjP12ihipStream_tbEUlT_E0_NS1_11comp_targetILNS1_3genE0ELNS1_11target_archE4294967295ELNS1_3gpuE0ELNS1_3repE0EEENS1_52radix_sort_onesweep_histogram_config_static_selectorELNS0_4arch9wavefront6targetE0EEEvSL_.numbered_sgpr, 0
	.set _ZN7rocprim17ROCPRIM_400000_NS6detail17trampoline_kernelINS0_14default_configENS1_35radix_sort_onesweep_config_selectorIjN6thrust23THRUST_200600_302600_NS5tupleIffNS6_9null_typeES8_S8_S8_S8_S8_S8_S8_EEEEZNS1_34radix_sort_onesweep_global_offsetsIS3_Lb0ENS6_6detail15normal_iteratorINS6_10device_ptrIjEEEENSD_INSE_IS9_EEEEjNS0_19identity_decomposerEEE10hipError_tT1_T2_PT3_SN_jT4_jjP12ihipStream_tbEUlT_E0_NS1_11comp_targetILNS1_3genE0ELNS1_11target_archE4294967295ELNS1_3gpuE0ELNS1_3repE0EEENS1_52radix_sort_onesweep_histogram_config_static_selectorELNS0_4arch9wavefront6targetE0EEEvSL_.num_named_barrier, 0
	.set _ZN7rocprim17ROCPRIM_400000_NS6detail17trampoline_kernelINS0_14default_configENS1_35radix_sort_onesweep_config_selectorIjN6thrust23THRUST_200600_302600_NS5tupleIffNS6_9null_typeES8_S8_S8_S8_S8_S8_S8_EEEEZNS1_34radix_sort_onesweep_global_offsetsIS3_Lb0ENS6_6detail15normal_iteratorINS6_10device_ptrIjEEEENSD_INSE_IS9_EEEEjNS0_19identity_decomposerEEE10hipError_tT1_T2_PT3_SN_jT4_jjP12ihipStream_tbEUlT_E0_NS1_11comp_targetILNS1_3genE0ELNS1_11target_archE4294967295ELNS1_3gpuE0ELNS1_3repE0EEENS1_52radix_sort_onesweep_histogram_config_static_selectorELNS0_4arch9wavefront6targetE0EEEvSL_.private_seg_size, 0
	.set _ZN7rocprim17ROCPRIM_400000_NS6detail17trampoline_kernelINS0_14default_configENS1_35radix_sort_onesweep_config_selectorIjN6thrust23THRUST_200600_302600_NS5tupleIffNS6_9null_typeES8_S8_S8_S8_S8_S8_S8_EEEEZNS1_34radix_sort_onesweep_global_offsetsIS3_Lb0ENS6_6detail15normal_iteratorINS6_10device_ptrIjEEEENSD_INSE_IS9_EEEEjNS0_19identity_decomposerEEE10hipError_tT1_T2_PT3_SN_jT4_jjP12ihipStream_tbEUlT_E0_NS1_11comp_targetILNS1_3genE0ELNS1_11target_archE4294967295ELNS1_3gpuE0ELNS1_3repE0EEENS1_52radix_sort_onesweep_histogram_config_static_selectorELNS0_4arch9wavefront6targetE0EEEvSL_.uses_vcc, 0
	.set _ZN7rocprim17ROCPRIM_400000_NS6detail17trampoline_kernelINS0_14default_configENS1_35radix_sort_onesweep_config_selectorIjN6thrust23THRUST_200600_302600_NS5tupleIffNS6_9null_typeES8_S8_S8_S8_S8_S8_S8_EEEEZNS1_34radix_sort_onesweep_global_offsetsIS3_Lb0ENS6_6detail15normal_iteratorINS6_10device_ptrIjEEEENSD_INSE_IS9_EEEEjNS0_19identity_decomposerEEE10hipError_tT1_T2_PT3_SN_jT4_jjP12ihipStream_tbEUlT_E0_NS1_11comp_targetILNS1_3genE0ELNS1_11target_archE4294967295ELNS1_3gpuE0ELNS1_3repE0EEENS1_52radix_sort_onesweep_histogram_config_static_selectorELNS0_4arch9wavefront6targetE0EEEvSL_.uses_flat_scratch, 0
	.set _ZN7rocprim17ROCPRIM_400000_NS6detail17trampoline_kernelINS0_14default_configENS1_35radix_sort_onesweep_config_selectorIjN6thrust23THRUST_200600_302600_NS5tupleIffNS6_9null_typeES8_S8_S8_S8_S8_S8_S8_EEEEZNS1_34radix_sort_onesweep_global_offsetsIS3_Lb0ENS6_6detail15normal_iteratorINS6_10device_ptrIjEEEENSD_INSE_IS9_EEEEjNS0_19identity_decomposerEEE10hipError_tT1_T2_PT3_SN_jT4_jjP12ihipStream_tbEUlT_E0_NS1_11comp_targetILNS1_3genE0ELNS1_11target_archE4294967295ELNS1_3gpuE0ELNS1_3repE0EEENS1_52radix_sort_onesweep_histogram_config_static_selectorELNS0_4arch9wavefront6targetE0EEEvSL_.has_dyn_sized_stack, 0
	.set _ZN7rocprim17ROCPRIM_400000_NS6detail17trampoline_kernelINS0_14default_configENS1_35radix_sort_onesweep_config_selectorIjN6thrust23THRUST_200600_302600_NS5tupleIffNS6_9null_typeES8_S8_S8_S8_S8_S8_S8_EEEEZNS1_34radix_sort_onesweep_global_offsetsIS3_Lb0ENS6_6detail15normal_iteratorINS6_10device_ptrIjEEEENSD_INSE_IS9_EEEEjNS0_19identity_decomposerEEE10hipError_tT1_T2_PT3_SN_jT4_jjP12ihipStream_tbEUlT_E0_NS1_11comp_targetILNS1_3genE0ELNS1_11target_archE4294967295ELNS1_3gpuE0ELNS1_3repE0EEENS1_52radix_sort_onesweep_histogram_config_static_selectorELNS0_4arch9wavefront6targetE0EEEvSL_.has_recursion, 0
	.set _ZN7rocprim17ROCPRIM_400000_NS6detail17trampoline_kernelINS0_14default_configENS1_35radix_sort_onesweep_config_selectorIjN6thrust23THRUST_200600_302600_NS5tupleIffNS6_9null_typeES8_S8_S8_S8_S8_S8_S8_EEEEZNS1_34radix_sort_onesweep_global_offsetsIS3_Lb0ENS6_6detail15normal_iteratorINS6_10device_ptrIjEEEENSD_INSE_IS9_EEEEjNS0_19identity_decomposerEEE10hipError_tT1_T2_PT3_SN_jT4_jjP12ihipStream_tbEUlT_E0_NS1_11comp_targetILNS1_3genE0ELNS1_11target_archE4294967295ELNS1_3gpuE0ELNS1_3repE0EEENS1_52radix_sort_onesweep_histogram_config_static_selectorELNS0_4arch9wavefront6targetE0EEEvSL_.has_indirect_call, 0
	.section	.AMDGPU.csdata,"",@progbits
; Kernel info:
; codeLenInByte = 0
; TotalNumSgprs: 0
; NumVgprs: 0
; ScratchSize: 0
; MemoryBound: 0
; FloatMode: 240
; IeeeMode: 1
; LDSByteSize: 0 bytes/workgroup (compile time only)
; SGPRBlocks: 0
; VGPRBlocks: 0
; NumSGPRsForWavesPerEU: 1
; NumVGPRsForWavesPerEU: 1
; Occupancy: 16
; WaveLimiterHint : 0
; COMPUTE_PGM_RSRC2:SCRATCH_EN: 0
; COMPUTE_PGM_RSRC2:USER_SGPR: 6
; COMPUTE_PGM_RSRC2:TRAP_HANDLER: 0
; COMPUTE_PGM_RSRC2:TGID_X_EN: 1
; COMPUTE_PGM_RSRC2:TGID_Y_EN: 0
; COMPUTE_PGM_RSRC2:TGID_Z_EN: 0
; COMPUTE_PGM_RSRC2:TIDIG_COMP_CNT: 0
	.section	.text._ZN7rocprim17ROCPRIM_400000_NS6detail17trampoline_kernelINS0_14default_configENS1_35radix_sort_onesweep_config_selectorIjN6thrust23THRUST_200600_302600_NS5tupleIffNS6_9null_typeES8_S8_S8_S8_S8_S8_S8_EEEEZNS1_34radix_sort_onesweep_global_offsetsIS3_Lb0ENS6_6detail15normal_iteratorINS6_10device_ptrIjEEEENSD_INSE_IS9_EEEEjNS0_19identity_decomposerEEE10hipError_tT1_T2_PT3_SN_jT4_jjP12ihipStream_tbEUlT_E0_NS1_11comp_targetILNS1_3genE6ELNS1_11target_archE950ELNS1_3gpuE13ELNS1_3repE0EEENS1_52radix_sort_onesweep_histogram_config_static_selectorELNS0_4arch9wavefront6targetE0EEEvSL_,"axG",@progbits,_ZN7rocprim17ROCPRIM_400000_NS6detail17trampoline_kernelINS0_14default_configENS1_35radix_sort_onesweep_config_selectorIjN6thrust23THRUST_200600_302600_NS5tupleIffNS6_9null_typeES8_S8_S8_S8_S8_S8_S8_EEEEZNS1_34radix_sort_onesweep_global_offsetsIS3_Lb0ENS6_6detail15normal_iteratorINS6_10device_ptrIjEEEENSD_INSE_IS9_EEEEjNS0_19identity_decomposerEEE10hipError_tT1_T2_PT3_SN_jT4_jjP12ihipStream_tbEUlT_E0_NS1_11comp_targetILNS1_3genE6ELNS1_11target_archE950ELNS1_3gpuE13ELNS1_3repE0EEENS1_52radix_sort_onesweep_histogram_config_static_selectorELNS0_4arch9wavefront6targetE0EEEvSL_,comdat
	.protected	_ZN7rocprim17ROCPRIM_400000_NS6detail17trampoline_kernelINS0_14default_configENS1_35radix_sort_onesweep_config_selectorIjN6thrust23THRUST_200600_302600_NS5tupleIffNS6_9null_typeES8_S8_S8_S8_S8_S8_S8_EEEEZNS1_34radix_sort_onesweep_global_offsetsIS3_Lb0ENS6_6detail15normal_iteratorINS6_10device_ptrIjEEEENSD_INSE_IS9_EEEEjNS0_19identity_decomposerEEE10hipError_tT1_T2_PT3_SN_jT4_jjP12ihipStream_tbEUlT_E0_NS1_11comp_targetILNS1_3genE6ELNS1_11target_archE950ELNS1_3gpuE13ELNS1_3repE0EEENS1_52radix_sort_onesweep_histogram_config_static_selectorELNS0_4arch9wavefront6targetE0EEEvSL_ ; -- Begin function _ZN7rocprim17ROCPRIM_400000_NS6detail17trampoline_kernelINS0_14default_configENS1_35radix_sort_onesweep_config_selectorIjN6thrust23THRUST_200600_302600_NS5tupleIffNS6_9null_typeES8_S8_S8_S8_S8_S8_S8_EEEEZNS1_34radix_sort_onesweep_global_offsetsIS3_Lb0ENS6_6detail15normal_iteratorINS6_10device_ptrIjEEEENSD_INSE_IS9_EEEEjNS0_19identity_decomposerEEE10hipError_tT1_T2_PT3_SN_jT4_jjP12ihipStream_tbEUlT_E0_NS1_11comp_targetILNS1_3genE6ELNS1_11target_archE950ELNS1_3gpuE13ELNS1_3repE0EEENS1_52radix_sort_onesweep_histogram_config_static_selectorELNS0_4arch9wavefront6targetE0EEEvSL_
	.globl	_ZN7rocprim17ROCPRIM_400000_NS6detail17trampoline_kernelINS0_14default_configENS1_35radix_sort_onesweep_config_selectorIjN6thrust23THRUST_200600_302600_NS5tupleIffNS6_9null_typeES8_S8_S8_S8_S8_S8_S8_EEEEZNS1_34radix_sort_onesweep_global_offsetsIS3_Lb0ENS6_6detail15normal_iteratorINS6_10device_ptrIjEEEENSD_INSE_IS9_EEEEjNS0_19identity_decomposerEEE10hipError_tT1_T2_PT3_SN_jT4_jjP12ihipStream_tbEUlT_E0_NS1_11comp_targetILNS1_3genE6ELNS1_11target_archE950ELNS1_3gpuE13ELNS1_3repE0EEENS1_52radix_sort_onesweep_histogram_config_static_selectorELNS0_4arch9wavefront6targetE0EEEvSL_
	.p2align	8
	.type	_ZN7rocprim17ROCPRIM_400000_NS6detail17trampoline_kernelINS0_14default_configENS1_35radix_sort_onesweep_config_selectorIjN6thrust23THRUST_200600_302600_NS5tupleIffNS6_9null_typeES8_S8_S8_S8_S8_S8_S8_EEEEZNS1_34radix_sort_onesweep_global_offsetsIS3_Lb0ENS6_6detail15normal_iteratorINS6_10device_ptrIjEEEENSD_INSE_IS9_EEEEjNS0_19identity_decomposerEEE10hipError_tT1_T2_PT3_SN_jT4_jjP12ihipStream_tbEUlT_E0_NS1_11comp_targetILNS1_3genE6ELNS1_11target_archE950ELNS1_3gpuE13ELNS1_3repE0EEENS1_52radix_sort_onesweep_histogram_config_static_selectorELNS0_4arch9wavefront6targetE0EEEvSL_,@function
_ZN7rocprim17ROCPRIM_400000_NS6detail17trampoline_kernelINS0_14default_configENS1_35radix_sort_onesweep_config_selectorIjN6thrust23THRUST_200600_302600_NS5tupleIffNS6_9null_typeES8_S8_S8_S8_S8_S8_S8_EEEEZNS1_34radix_sort_onesweep_global_offsetsIS3_Lb0ENS6_6detail15normal_iteratorINS6_10device_ptrIjEEEENSD_INSE_IS9_EEEEjNS0_19identity_decomposerEEE10hipError_tT1_T2_PT3_SN_jT4_jjP12ihipStream_tbEUlT_E0_NS1_11comp_targetILNS1_3genE6ELNS1_11target_archE950ELNS1_3gpuE13ELNS1_3repE0EEENS1_52radix_sort_onesweep_histogram_config_static_selectorELNS0_4arch9wavefront6targetE0EEEvSL_: ; @_ZN7rocprim17ROCPRIM_400000_NS6detail17trampoline_kernelINS0_14default_configENS1_35radix_sort_onesweep_config_selectorIjN6thrust23THRUST_200600_302600_NS5tupleIffNS6_9null_typeES8_S8_S8_S8_S8_S8_S8_EEEEZNS1_34radix_sort_onesweep_global_offsetsIS3_Lb0ENS6_6detail15normal_iteratorINS6_10device_ptrIjEEEENSD_INSE_IS9_EEEEjNS0_19identity_decomposerEEE10hipError_tT1_T2_PT3_SN_jT4_jjP12ihipStream_tbEUlT_E0_NS1_11comp_targetILNS1_3genE6ELNS1_11target_archE950ELNS1_3gpuE13ELNS1_3repE0EEENS1_52radix_sort_onesweep_histogram_config_static_selectorELNS0_4arch9wavefront6targetE0EEEvSL_
; %bb.0:
	.section	.rodata,"a",@progbits
	.p2align	6, 0x0
	.amdhsa_kernel _ZN7rocprim17ROCPRIM_400000_NS6detail17trampoline_kernelINS0_14default_configENS1_35radix_sort_onesweep_config_selectorIjN6thrust23THRUST_200600_302600_NS5tupleIffNS6_9null_typeES8_S8_S8_S8_S8_S8_S8_EEEEZNS1_34radix_sort_onesweep_global_offsetsIS3_Lb0ENS6_6detail15normal_iteratorINS6_10device_ptrIjEEEENSD_INSE_IS9_EEEEjNS0_19identity_decomposerEEE10hipError_tT1_T2_PT3_SN_jT4_jjP12ihipStream_tbEUlT_E0_NS1_11comp_targetILNS1_3genE6ELNS1_11target_archE950ELNS1_3gpuE13ELNS1_3repE0EEENS1_52radix_sort_onesweep_histogram_config_static_selectorELNS0_4arch9wavefront6targetE0EEEvSL_
		.amdhsa_group_segment_fixed_size 0
		.amdhsa_private_segment_fixed_size 0
		.amdhsa_kernarg_size 8
		.amdhsa_user_sgpr_count 6
		.amdhsa_user_sgpr_private_segment_buffer 1
		.amdhsa_user_sgpr_dispatch_ptr 0
		.amdhsa_user_sgpr_queue_ptr 0
		.amdhsa_user_sgpr_kernarg_segment_ptr 1
		.amdhsa_user_sgpr_dispatch_id 0
		.amdhsa_user_sgpr_flat_scratch_init 0
		.amdhsa_user_sgpr_private_segment_size 0
		.amdhsa_wavefront_size32 1
		.amdhsa_uses_dynamic_stack 0
		.amdhsa_system_sgpr_private_segment_wavefront_offset 0
		.amdhsa_system_sgpr_workgroup_id_x 1
		.amdhsa_system_sgpr_workgroup_id_y 0
		.amdhsa_system_sgpr_workgroup_id_z 0
		.amdhsa_system_sgpr_workgroup_info 0
		.amdhsa_system_vgpr_workitem_id 0
		.amdhsa_next_free_vgpr 1
		.amdhsa_next_free_sgpr 1
		.amdhsa_reserve_vcc 0
		.amdhsa_reserve_flat_scratch 0
		.amdhsa_float_round_mode_32 0
		.amdhsa_float_round_mode_16_64 0
		.amdhsa_float_denorm_mode_32 3
		.amdhsa_float_denorm_mode_16_64 3
		.amdhsa_dx10_clamp 1
		.amdhsa_ieee_mode 1
		.amdhsa_fp16_overflow 0
		.amdhsa_workgroup_processor_mode 1
		.amdhsa_memory_ordered 1
		.amdhsa_forward_progress 1
		.amdhsa_shared_vgpr_count 0
		.amdhsa_exception_fp_ieee_invalid_op 0
		.amdhsa_exception_fp_denorm_src 0
		.amdhsa_exception_fp_ieee_div_zero 0
		.amdhsa_exception_fp_ieee_overflow 0
		.amdhsa_exception_fp_ieee_underflow 0
		.amdhsa_exception_fp_ieee_inexact 0
		.amdhsa_exception_int_div_zero 0
	.end_amdhsa_kernel
	.section	.text._ZN7rocprim17ROCPRIM_400000_NS6detail17trampoline_kernelINS0_14default_configENS1_35radix_sort_onesweep_config_selectorIjN6thrust23THRUST_200600_302600_NS5tupleIffNS6_9null_typeES8_S8_S8_S8_S8_S8_S8_EEEEZNS1_34radix_sort_onesweep_global_offsetsIS3_Lb0ENS6_6detail15normal_iteratorINS6_10device_ptrIjEEEENSD_INSE_IS9_EEEEjNS0_19identity_decomposerEEE10hipError_tT1_T2_PT3_SN_jT4_jjP12ihipStream_tbEUlT_E0_NS1_11comp_targetILNS1_3genE6ELNS1_11target_archE950ELNS1_3gpuE13ELNS1_3repE0EEENS1_52radix_sort_onesweep_histogram_config_static_selectorELNS0_4arch9wavefront6targetE0EEEvSL_,"axG",@progbits,_ZN7rocprim17ROCPRIM_400000_NS6detail17trampoline_kernelINS0_14default_configENS1_35radix_sort_onesweep_config_selectorIjN6thrust23THRUST_200600_302600_NS5tupleIffNS6_9null_typeES8_S8_S8_S8_S8_S8_S8_EEEEZNS1_34radix_sort_onesweep_global_offsetsIS3_Lb0ENS6_6detail15normal_iteratorINS6_10device_ptrIjEEEENSD_INSE_IS9_EEEEjNS0_19identity_decomposerEEE10hipError_tT1_T2_PT3_SN_jT4_jjP12ihipStream_tbEUlT_E0_NS1_11comp_targetILNS1_3genE6ELNS1_11target_archE950ELNS1_3gpuE13ELNS1_3repE0EEENS1_52radix_sort_onesweep_histogram_config_static_selectorELNS0_4arch9wavefront6targetE0EEEvSL_,comdat
.Lfunc_end149:
	.size	_ZN7rocprim17ROCPRIM_400000_NS6detail17trampoline_kernelINS0_14default_configENS1_35radix_sort_onesweep_config_selectorIjN6thrust23THRUST_200600_302600_NS5tupleIffNS6_9null_typeES8_S8_S8_S8_S8_S8_S8_EEEEZNS1_34radix_sort_onesweep_global_offsetsIS3_Lb0ENS6_6detail15normal_iteratorINS6_10device_ptrIjEEEENSD_INSE_IS9_EEEEjNS0_19identity_decomposerEEE10hipError_tT1_T2_PT3_SN_jT4_jjP12ihipStream_tbEUlT_E0_NS1_11comp_targetILNS1_3genE6ELNS1_11target_archE950ELNS1_3gpuE13ELNS1_3repE0EEENS1_52radix_sort_onesweep_histogram_config_static_selectorELNS0_4arch9wavefront6targetE0EEEvSL_, .Lfunc_end149-_ZN7rocprim17ROCPRIM_400000_NS6detail17trampoline_kernelINS0_14default_configENS1_35radix_sort_onesweep_config_selectorIjN6thrust23THRUST_200600_302600_NS5tupleIffNS6_9null_typeES8_S8_S8_S8_S8_S8_S8_EEEEZNS1_34radix_sort_onesweep_global_offsetsIS3_Lb0ENS6_6detail15normal_iteratorINS6_10device_ptrIjEEEENSD_INSE_IS9_EEEEjNS0_19identity_decomposerEEE10hipError_tT1_T2_PT3_SN_jT4_jjP12ihipStream_tbEUlT_E0_NS1_11comp_targetILNS1_3genE6ELNS1_11target_archE950ELNS1_3gpuE13ELNS1_3repE0EEENS1_52radix_sort_onesweep_histogram_config_static_selectorELNS0_4arch9wavefront6targetE0EEEvSL_
                                        ; -- End function
	.set _ZN7rocprim17ROCPRIM_400000_NS6detail17trampoline_kernelINS0_14default_configENS1_35radix_sort_onesweep_config_selectorIjN6thrust23THRUST_200600_302600_NS5tupleIffNS6_9null_typeES8_S8_S8_S8_S8_S8_S8_EEEEZNS1_34radix_sort_onesweep_global_offsetsIS3_Lb0ENS6_6detail15normal_iteratorINS6_10device_ptrIjEEEENSD_INSE_IS9_EEEEjNS0_19identity_decomposerEEE10hipError_tT1_T2_PT3_SN_jT4_jjP12ihipStream_tbEUlT_E0_NS1_11comp_targetILNS1_3genE6ELNS1_11target_archE950ELNS1_3gpuE13ELNS1_3repE0EEENS1_52radix_sort_onesweep_histogram_config_static_selectorELNS0_4arch9wavefront6targetE0EEEvSL_.num_vgpr, 0
	.set _ZN7rocprim17ROCPRIM_400000_NS6detail17trampoline_kernelINS0_14default_configENS1_35radix_sort_onesweep_config_selectorIjN6thrust23THRUST_200600_302600_NS5tupleIffNS6_9null_typeES8_S8_S8_S8_S8_S8_S8_EEEEZNS1_34radix_sort_onesweep_global_offsetsIS3_Lb0ENS6_6detail15normal_iteratorINS6_10device_ptrIjEEEENSD_INSE_IS9_EEEEjNS0_19identity_decomposerEEE10hipError_tT1_T2_PT3_SN_jT4_jjP12ihipStream_tbEUlT_E0_NS1_11comp_targetILNS1_3genE6ELNS1_11target_archE950ELNS1_3gpuE13ELNS1_3repE0EEENS1_52radix_sort_onesweep_histogram_config_static_selectorELNS0_4arch9wavefront6targetE0EEEvSL_.num_agpr, 0
	.set _ZN7rocprim17ROCPRIM_400000_NS6detail17trampoline_kernelINS0_14default_configENS1_35radix_sort_onesweep_config_selectorIjN6thrust23THRUST_200600_302600_NS5tupleIffNS6_9null_typeES8_S8_S8_S8_S8_S8_S8_EEEEZNS1_34radix_sort_onesweep_global_offsetsIS3_Lb0ENS6_6detail15normal_iteratorINS6_10device_ptrIjEEEENSD_INSE_IS9_EEEEjNS0_19identity_decomposerEEE10hipError_tT1_T2_PT3_SN_jT4_jjP12ihipStream_tbEUlT_E0_NS1_11comp_targetILNS1_3genE6ELNS1_11target_archE950ELNS1_3gpuE13ELNS1_3repE0EEENS1_52radix_sort_onesweep_histogram_config_static_selectorELNS0_4arch9wavefront6targetE0EEEvSL_.numbered_sgpr, 0
	.set _ZN7rocprim17ROCPRIM_400000_NS6detail17trampoline_kernelINS0_14default_configENS1_35radix_sort_onesweep_config_selectorIjN6thrust23THRUST_200600_302600_NS5tupleIffNS6_9null_typeES8_S8_S8_S8_S8_S8_S8_EEEEZNS1_34radix_sort_onesweep_global_offsetsIS3_Lb0ENS6_6detail15normal_iteratorINS6_10device_ptrIjEEEENSD_INSE_IS9_EEEEjNS0_19identity_decomposerEEE10hipError_tT1_T2_PT3_SN_jT4_jjP12ihipStream_tbEUlT_E0_NS1_11comp_targetILNS1_3genE6ELNS1_11target_archE950ELNS1_3gpuE13ELNS1_3repE0EEENS1_52radix_sort_onesweep_histogram_config_static_selectorELNS0_4arch9wavefront6targetE0EEEvSL_.num_named_barrier, 0
	.set _ZN7rocprim17ROCPRIM_400000_NS6detail17trampoline_kernelINS0_14default_configENS1_35radix_sort_onesweep_config_selectorIjN6thrust23THRUST_200600_302600_NS5tupleIffNS6_9null_typeES8_S8_S8_S8_S8_S8_S8_EEEEZNS1_34radix_sort_onesweep_global_offsetsIS3_Lb0ENS6_6detail15normal_iteratorINS6_10device_ptrIjEEEENSD_INSE_IS9_EEEEjNS0_19identity_decomposerEEE10hipError_tT1_T2_PT3_SN_jT4_jjP12ihipStream_tbEUlT_E0_NS1_11comp_targetILNS1_3genE6ELNS1_11target_archE950ELNS1_3gpuE13ELNS1_3repE0EEENS1_52radix_sort_onesweep_histogram_config_static_selectorELNS0_4arch9wavefront6targetE0EEEvSL_.private_seg_size, 0
	.set _ZN7rocprim17ROCPRIM_400000_NS6detail17trampoline_kernelINS0_14default_configENS1_35radix_sort_onesweep_config_selectorIjN6thrust23THRUST_200600_302600_NS5tupleIffNS6_9null_typeES8_S8_S8_S8_S8_S8_S8_EEEEZNS1_34radix_sort_onesweep_global_offsetsIS3_Lb0ENS6_6detail15normal_iteratorINS6_10device_ptrIjEEEENSD_INSE_IS9_EEEEjNS0_19identity_decomposerEEE10hipError_tT1_T2_PT3_SN_jT4_jjP12ihipStream_tbEUlT_E0_NS1_11comp_targetILNS1_3genE6ELNS1_11target_archE950ELNS1_3gpuE13ELNS1_3repE0EEENS1_52radix_sort_onesweep_histogram_config_static_selectorELNS0_4arch9wavefront6targetE0EEEvSL_.uses_vcc, 0
	.set _ZN7rocprim17ROCPRIM_400000_NS6detail17trampoline_kernelINS0_14default_configENS1_35radix_sort_onesweep_config_selectorIjN6thrust23THRUST_200600_302600_NS5tupleIffNS6_9null_typeES8_S8_S8_S8_S8_S8_S8_EEEEZNS1_34radix_sort_onesweep_global_offsetsIS3_Lb0ENS6_6detail15normal_iteratorINS6_10device_ptrIjEEEENSD_INSE_IS9_EEEEjNS0_19identity_decomposerEEE10hipError_tT1_T2_PT3_SN_jT4_jjP12ihipStream_tbEUlT_E0_NS1_11comp_targetILNS1_3genE6ELNS1_11target_archE950ELNS1_3gpuE13ELNS1_3repE0EEENS1_52radix_sort_onesweep_histogram_config_static_selectorELNS0_4arch9wavefront6targetE0EEEvSL_.uses_flat_scratch, 0
	.set _ZN7rocprim17ROCPRIM_400000_NS6detail17trampoline_kernelINS0_14default_configENS1_35radix_sort_onesweep_config_selectorIjN6thrust23THRUST_200600_302600_NS5tupleIffNS6_9null_typeES8_S8_S8_S8_S8_S8_S8_EEEEZNS1_34radix_sort_onesweep_global_offsetsIS3_Lb0ENS6_6detail15normal_iteratorINS6_10device_ptrIjEEEENSD_INSE_IS9_EEEEjNS0_19identity_decomposerEEE10hipError_tT1_T2_PT3_SN_jT4_jjP12ihipStream_tbEUlT_E0_NS1_11comp_targetILNS1_3genE6ELNS1_11target_archE950ELNS1_3gpuE13ELNS1_3repE0EEENS1_52radix_sort_onesweep_histogram_config_static_selectorELNS0_4arch9wavefront6targetE0EEEvSL_.has_dyn_sized_stack, 0
	.set _ZN7rocprim17ROCPRIM_400000_NS6detail17trampoline_kernelINS0_14default_configENS1_35radix_sort_onesweep_config_selectorIjN6thrust23THRUST_200600_302600_NS5tupleIffNS6_9null_typeES8_S8_S8_S8_S8_S8_S8_EEEEZNS1_34radix_sort_onesweep_global_offsetsIS3_Lb0ENS6_6detail15normal_iteratorINS6_10device_ptrIjEEEENSD_INSE_IS9_EEEEjNS0_19identity_decomposerEEE10hipError_tT1_T2_PT3_SN_jT4_jjP12ihipStream_tbEUlT_E0_NS1_11comp_targetILNS1_3genE6ELNS1_11target_archE950ELNS1_3gpuE13ELNS1_3repE0EEENS1_52radix_sort_onesweep_histogram_config_static_selectorELNS0_4arch9wavefront6targetE0EEEvSL_.has_recursion, 0
	.set _ZN7rocprim17ROCPRIM_400000_NS6detail17trampoline_kernelINS0_14default_configENS1_35radix_sort_onesweep_config_selectorIjN6thrust23THRUST_200600_302600_NS5tupleIffNS6_9null_typeES8_S8_S8_S8_S8_S8_S8_EEEEZNS1_34radix_sort_onesweep_global_offsetsIS3_Lb0ENS6_6detail15normal_iteratorINS6_10device_ptrIjEEEENSD_INSE_IS9_EEEEjNS0_19identity_decomposerEEE10hipError_tT1_T2_PT3_SN_jT4_jjP12ihipStream_tbEUlT_E0_NS1_11comp_targetILNS1_3genE6ELNS1_11target_archE950ELNS1_3gpuE13ELNS1_3repE0EEENS1_52radix_sort_onesweep_histogram_config_static_selectorELNS0_4arch9wavefront6targetE0EEEvSL_.has_indirect_call, 0
	.section	.AMDGPU.csdata,"",@progbits
; Kernel info:
; codeLenInByte = 0
; TotalNumSgprs: 0
; NumVgprs: 0
; ScratchSize: 0
; MemoryBound: 0
; FloatMode: 240
; IeeeMode: 1
; LDSByteSize: 0 bytes/workgroup (compile time only)
; SGPRBlocks: 0
; VGPRBlocks: 0
; NumSGPRsForWavesPerEU: 1
; NumVGPRsForWavesPerEU: 1
; Occupancy: 16
; WaveLimiterHint : 0
; COMPUTE_PGM_RSRC2:SCRATCH_EN: 0
; COMPUTE_PGM_RSRC2:USER_SGPR: 6
; COMPUTE_PGM_RSRC2:TRAP_HANDLER: 0
; COMPUTE_PGM_RSRC2:TGID_X_EN: 1
; COMPUTE_PGM_RSRC2:TGID_Y_EN: 0
; COMPUTE_PGM_RSRC2:TGID_Z_EN: 0
; COMPUTE_PGM_RSRC2:TIDIG_COMP_CNT: 0
	.section	.text._ZN7rocprim17ROCPRIM_400000_NS6detail17trampoline_kernelINS0_14default_configENS1_35radix_sort_onesweep_config_selectorIjN6thrust23THRUST_200600_302600_NS5tupleIffNS6_9null_typeES8_S8_S8_S8_S8_S8_S8_EEEEZNS1_34radix_sort_onesweep_global_offsetsIS3_Lb0ENS6_6detail15normal_iteratorINS6_10device_ptrIjEEEENSD_INSE_IS9_EEEEjNS0_19identity_decomposerEEE10hipError_tT1_T2_PT3_SN_jT4_jjP12ihipStream_tbEUlT_E0_NS1_11comp_targetILNS1_3genE5ELNS1_11target_archE942ELNS1_3gpuE9ELNS1_3repE0EEENS1_52radix_sort_onesweep_histogram_config_static_selectorELNS0_4arch9wavefront6targetE0EEEvSL_,"axG",@progbits,_ZN7rocprim17ROCPRIM_400000_NS6detail17trampoline_kernelINS0_14default_configENS1_35radix_sort_onesweep_config_selectorIjN6thrust23THRUST_200600_302600_NS5tupleIffNS6_9null_typeES8_S8_S8_S8_S8_S8_S8_EEEEZNS1_34radix_sort_onesweep_global_offsetsIS3_Lb0ENS6_6detail15normal_iteratorINS6_10device_ptrIjEEEENSD_INSE_IS9_EEEEjNS0_19identity_decomposerEEE10hipError_tT1_T2_PT3_SN_jT4_jjP12ihipStream_tbEUlT_E0_NS1_11comp_targetILNS1_3genE5ELNS1_11target_archE942ELNS1_3gpuE9ELNS1_3repE0EEENS1_52radix_sort_onesweep_histogram_config_static_selectorELNS0_4arch9wavefront6targetE0EEEvSL_,comdat
	.protected	_ZN7rocprim17ROCPRIM_400000_NS6detail17trampoline_kernelINS0_14default_configENS1_35radix_sort_onesweep_config_selectorIjN6thrust23THRUST_200600_302600_NS5tupleIffNS6_9null_typeES8_S8_S8_S8_S8_S8_S8_EEEEZNS1_34radix_sort_onesweep_global_offsetsIS3_Lb0ENS6_6detail15normal_iteratorINS6_10device_ptrIjEEEENSD_INSE_IS9_EEEEjNS0_19identity_decomposerEEE10hipError_tT1_T2_PT3_SN_jT4_jjP12ihipStream_tbEUlT_E0_NS1_11comp_targetILNS1_3genE5ELNS1_11target_archE942ELNS1_3gpuE9ELNS1_3repE0EEENS1_52radix_sort_onesweep_histogram_config_static_selectorELNS0_4arch9wavefront6targetE0EEEvSL_ ; -- Begin function _ZN7rocprim17ROCPRIM_400000_NS6detail17trampoline_kernelINS0_14default_configENS1_35radix_sort_onesweep_config_selectorIjN6thrust23THRUST_200600_302600_NS5tupleIffNS6_9null_typeES8_S8_S8_S8_S8_S8_S8_EEEEZNS1_34radix_sort_onesweep_global_offsetsIS3_Lb0ENS6_6detail15normal_iteratorINS6_10device_ptrIjEEEENSD_INSE_IS9_EEEEjNS0_19identity_decomposerEEE10hipError_tT1_T2_PT3_SN_jT4_jjP12ihipStream_tbEUlT_E0_NS1_11comp_targetILNS1_3genE5ELNS1_11target_archE942ELNS1_3gpuE9ELNS1_3repE0EEENS1_52radix_sort_onesweep_histogram_config_static_selectorELNS0_4arch9wavefront6targetE0EEEvSL_
	.globl	_ZN7rocprim17ROCPRIM_400000_NS6detail17trampoline_kernelINS0_14default_configENS1_35radix_sort_onesweep_config_selectorIjN6thrust23THRUST_200600_302600_NS5tupleIffNS6_9null_typeES8_S8_S8_S8_S8_S8_S8_EEEEZNS1_34radix_sort_onesweep_global_offsetsIS3_Lb0ENS6_6detail15normal_iteratorINS6_10device_ptrIjEEEENSD_INSE_IS9_EEEEjNS0_19identity_decomposerEEE10hipError_tT1_T2_PT3_SN_jT4_jjP12ihipStream_tbEUlT_E0_NS1_11comp_targetILNS1_3genE5ELNS1_11target_archE942ELNS1_3gpuE9ELNS1_3repE0EEENS1_52radix_sort_onesweep_histogram_config_static_selectorELNS0_4arch9wavefront6targetE0EEEvSL_
	.p2align	8
	.type	_ZN7rocprim17ROCPRIM_400000_NS6detail17trampoline_kernelINS0_14default_configENS1_35radix_sort_onesweep_config_selectorIjN6thrust23THRUST_200600_302600_NS5tupleIffNS6_9null_typeES8_S8_S8_S8_S8_S8_S8_EEEEZNS1_34radix_sort_onesweep_global_offsetsIS3_Lb0ENS6_6detail15normal_iteratorINS6_10device_ptrIjEEEENSD_INSE_IS9_EEEEjNS0_19identity_decomposerEEE10hipError_tT1_T2_PT3_SN_jT4_jjP12ihipStream_tbEUlT_E0_NS1_11comp_targetILNS1_3genE5ELNS1_11target_archE942ELNS1_3gpuE9ELNS1_3repE0EEENS1_52radix_sort_onesweep_histogram_config_static_selectorELNS0_4arch9wavefront6targetE0EEEvSL_,@function
_ZN7rocprim17ROCPRIM_400000_NS6detail17trampoline_kernelINS0_14default_configENS1_35radix_sort_onesweep_config_selectorIjN6thrust23THRUST_200600_302600_NS5tupleIffNS6_9null_typeES8_S8_S8_S8_S8_S8_S8_EEEEZNS1_34radix_sort_onesweep_global_offsetsIS3_Lb0ENS6_6detail15normal_iteratorINS6_10device_ptrIjEEEENSD_INSE_IS9_EEEEjNS0_19identity_decomposerEEE10hipError_tT1_T2_PT3_SN_jT4_jjP12ihipStream_tbEUlT_E0_NS1_11comp_targetILNS1_3genE5ELNS1_11target_archE942ELNS1_3gpuE9ELNS1_3repE0EEENS1_52radix_sort_onesweep_histogram_config_static_selectorELNS0_4arch9wavefront6targetE0EEEvSL_: ; @_ZN7rocprim17ROCPRIM_400000_NS6detail17trampoline_kernelINS0_14default_configENS1_35radix_sort_onesweep_config_selectorIjN6thrust23THRUST_200600_302600_NS5tupleIffNS6_9null_typeES8_S8_S8_S8_S8_S8_S8_EEEEZNS1_34radix_sort_onesweep_global_offsetsIS3_Lb0ENS6_6detail15normal_iteratorINS6_10device_ptrIjEEEENSD_INSE_IS9_EEEEjNS0_19identity_decomposerEEE10hipError_tT1_T2_PT3_SN_jT4_jjP12ihipStream_tbEUlT_E0_NS1_11comp_targetILNS1_3genE5ELNS1_11target_archE942ELNS1_3gpuE9ELNS1_3repE0EEENS1_52radix_sort_onesweep_histogram_config_static_selectorELNS0_4arch9wavefront6targetE0EEEvSL_
; %bb.0:
	.section	.rodata,"a",@progbits
	.p2align	6, 0x0
	.amdhsa_kernel _ZN7rocprim17ROCPRIM_400000_NS6detail17trampoline_kernelINS0_14default_configENS1_35radix_sort_onesweep_config_selectorIjN6thrust23THRUST_200600_302600_NS5tupleIffNS6_9null_typeES8_S8_S8_S8_S8_S8_S8_EEEEZNS1_34radix_sort_onesweep_global_offsetsIS3_Lb0ENS6_6detail15normal_iteratorINS6_10device_ptrIjEEEENSD_INSE_IS9_EEEEjNS0_19identity_decomposerEEE10hipError_tT1_T2_PT3_SN_jT4_jjP12ihipStream_tbEUlT_E0_NS1_11comp_targetILNS1_3genE5ELNS1_11target_archE942ELNS1_3gpuE9ELNS1_3repE0EEENS1_52radix_sort_onesweep_histogram_config_static_selectorELNS0_4arch9wavefront6targetE0EEEvSL_
		.amdhsa_group_segment_fixed_size 0
		.amdhsa_private_segment_fixed_size 0
		.amdhsa_kernarg_size 8
		.amdhsa_user_sgpr_count 6
		.amdhsa_user_sgpr_private_segment_buffer 1
		.amdhsa_user_sgpr_dispatch_ptr 0
		.amdhsa_user_sgpr_queue_ptr 0
		.amdhsa_user_sgpr_kernarg_segment_ptr 1
		.amdhsa_user_sgpr_dispatch_id 0
		.amdhsa_user_sgpr_flat_scratch_init 0
		.amdhsa_user_sgpr_private_segment_size 0
		.amdhsa_wavefront_size32 1
		.amdhsa_uses_dynamic_stack 0
		.amdhsa_system_sgpr_private_segment_wavefront_offset 0
		.amdhsa_system_sgpr_workgroup_id_x 1
		.amdhsa_system_sgpr_workgroup_id_y 0
		.amdhsa_system_sgpr_workgroup_id_z 0
		.amdhsa_system_sgpr_workgroup_info 0
		.amdhsa_system_vgpr_workitem_id 0
		.amdhsa_next_free_vgpr 1
		.amdhsa_next_free_sgpr 1
		.amdhsa_reserve_vcc 0
		.amdhsa_reserve_flat_scratch 0
		.amdhsa_float_round_mode_32 0
		.amdhsa_float_round_mode_16_64 0
		.amdhsa_float_denorm_mode_32 3
		.amdhsa_float_denorm_mode_16_64 3
		.amdhsa_dx10_clamp 1
		.amdhsa_ieee_mode 1
		.amdhsa_fp16_overflow 0
		.amdhsa_workgroup_processor_mode 1
		.amdhsa_memory_ordered 1
		.amdhsa_forward_progress 1
		.amdhsa_shared_vgpr_count 0
		.amdhsa_exception_fp_ieee_invalid_op 0
		.amdhsa_exception_fp_denorm_src 0
		.amdhsa_exception_fp_ieee_div_zero 0
		.amdhsa_exception_fp_ieee_overflow 0
		.amdhsa_exception_fp_ieee_underflow 0
		.amdhsa_exception_fp_ieee_inexact 0
		.amdhsa_exception_int_div_zero 0
	.end_amdhsa_kernel
	.section	.text._ZN7rocprim17ROCPRIM_400000_NS6detail17trampoline_kernelINS0_14default_configENS1_35radix_sort_onesweep_config_selectorIjN6thrust23THRUST_200600_302600_NS5tupleIffNS6_9null_typeES8_S8_S8_S8_S8_S8_S8_EEEEZNS1_34radix_sort_onesweep_global_offsetsIS3_Lb0ENS6_6detail15normal_iteratorINS6_10device_ptrIjEEEENSD_INSE_IS9_EEEEjNS0_19identity_decomposerEEE10hipError_tT1_T2_PT3_SN_jT4_jjP12ihipStream_tbEUlT_E0_NS1_11comp_targetILNS1_3genE5ELNS1_11target_archE942ELNS1_3gpuE9ELNS1_3repE0EEENS1_52radix_sort_onesweep_histogram_config_static_selectorELNS0_4arch9wavefront6targetE0EEEvSL_,"axG",@progbits,_ZN7rocprim17ROCPRIM_400000_NS6detail17trampoline_kernelINS0_14default_configENS1_35radix_sort_onesweep_config_selectorIjN6thrust23THRUST_200600_302600_NS5tupleIffNS6_9null_typeES8_S8_S8_S8_S8_S8_S8_EEEEZNS1_34radix_sort_onesweep_global_offsetsIS3_Lb0ENS6_6detail15normal_iteratorINS6_10device_ptrIjEEEENSD_INSE_IS9_EEEEjNS0_19identity_decomposerEEE10hipError_tT1_T2_PT3_SN_jT4_jjP12ihipStream_tbEUlT_E0_NS1_11comp_targetILNS1_3genE5ELNS1_11target_archE942ELNS1_3gpuE9ELNS1_3repE0EEENS1_52radix_sort_onesweep_histogram_config_static_selectorELNS0_4arch9wavefront6targetE0EEEvSL_,comdat
.Lfunc_end150:
	.size	_ZN7rocprim17ROCPRIM_400000_NS6detail17trampoline_kernelINS0_14default_configENS1_35radix_sort_onesweep_config_selectorIjN6thrust23THRUST_200600_302600_NS5tupleIffNS6_9null_typeES8_S8_S8_S8_S8_S8_S8_EEEEZNS1_34radix_sort_onesweep_global_offsetsIS3_Lb0ENS6_6detail15normal_iteratorINS6_10device_ptrIjEEEENSD_INSE_IS9_EEEEjNS0_19identity_decomposerEEE10hipError_tT1_T2_PT3_SN_jT4_jjP12ihipStream_tbEUlT_E0_NS1_11comp_targetILNS1_3genE5ELNS1_11target_archE942ELNS1_3gpuE9ELNS1_3repE0EEENS1_52radix_sort_onesweep_histogram_config_static_selectorELNS0_4arch9wavefront6targetE0EEEvSL_, .Lfunc_end150-_ZN7rocprim17ROCPRIM_400000_NS6detail17trampoline_kernelINS0_14default_configENS1_35radix_sort_onesweep_config_selectorIjN6thrust23THRUST_200600_302600_NS5tupleIffNS6_9null_typeES8_S8_S8_S8_S8_S8_S8_EEEEZNS1_34radix_sort_onesweep_global_offsetsIS3_Lb0ENS6_6detail15normal_iteratorINS6_10device_ptrIjEEEENSD_INSE_IS9_EEEEjNS0_19identity_decomposerEEE10hipError_tT1_T2_PT3_SN_jT4_jjP12ihipStream_tbEUlT_E0_NS1_11comp_targetILNS1_3genE5ELNS1_11target_archE942ELNS1_3gpuE9ELNS1_3repE0EEENS1_52radix_sort_onesweep_histogram_config_static_selectorELNS0_4arch9wavefront6targetE0EEEvSL_
                                        ; -- End function
	.set _ZN7rocprim17ROCPRIM_400000_NS6detail17trampoline_kernelINS0_14default_configENS1_35radix_sort_onesweep_config_selectorIjN6thrust23THRUST_200600_302600_NS5tupleIffNS6_9null_typeES8_S8_S8_S8_S8_S8_S8_EEEEZNS1_34radix_sort_onesweep_global_offsetsIS3_Lb0ENS6_6detail15normal_iteratorINS6_10device_ptrIjEEEENSD_INSE_IS9_EEEEjNS0_19identity_decomposerEEE10hipError_tT1_T2_PT3_SN_jT4_jjP12ihipStream_tbEUlT_E0_NS1_11comp_targetILNS1_3genE5ELNS1_11target_archE942ELNS1_3gpuE9ELNS1_3repE0EEENS1_52radix_sort_onesweep_histogram_config_static_selectorELNS0_4arch9wavefront6targetE0EEEvSL_.num_vgpr, 0
	.set _ZN7rocprim17ROCPRIM_400000_NS6detail17trampoline_kernelINS0_14default_configENS1_35radix_sort_onesweep_config_selectorIjN6thrust23THRUST_200600_302600_NS5tupleIffNS6_9null_typeES8_S8_S8_S8_S8_S8_S8_EEEEZNS1_34radix_sort_onesweep_global_offsetsIS3_Lb0ENS6_6detail15normal_iteratorINS6_10device_ptrIjEEEENSD_INSE_IS9_EEEEjNS0_19identity_decomposerEEE10hipError_tT1_T2_PT3_SN_jT4_jjP12ihipStream_tbEUlT_E0_NS1_11comp_targetILNS1_3genE5ELNS1_11target_archE942ELNS1_3gpuE9ELNS1_3repE0EEENS1_52radix_sort_onesweep_histogram_config_static_selectorELNS0_4arch9wavefront6targetE0EEEvSL_.num_agpr, 0
	.set _ZN7rocprim17ROCPRIM_400000_NS6detail17trampoline_kernelINS0_14default_configENS1_35radix_sort_onesweep_config_selectorIjN6thrust23THRUST_200600_302600_NS5tupleIffNS6_9null_typeES8_S8_S8_S8_S8_S8_S8_EEEEZNS1_34radix_sort_onesweep_global_offsetsIS3_Lb0ENS6_6detail15normal_iteratorINS6_10device_ptrIjEEEENSD_INSE_IS9_EEEEjNS0_19identity_decomposerEEE10hipError_tT1_T2_PT3_SN_jT4_jjP12ihipStream_tbEUlT_E0_NS1_11comp_targetILNS1_3genE5ELNS1_11target_archE942ELNS1_3gpuE9ELNS1_3repE0EEENS1_52radix_sort_onesweep_histogram_config_static_selectorELNS0_4arch9wavefront6targetE0EEEvSL_.numbered_sgpr, 0
	.set _ZN7rocprim17ROCPRIM_400000_NS6detail17trampoline_kernelINS0_14default_configENS1_35radix_sort_onesweep_config_selectorIjN6thrust23THRUST_200600_302600_NS5tupleIffNS6_9null_typeES8_S8_S8_S8_S8_S8_S8_EEEEZNS1_34radix_sort_onesweep_global_offsetsIS3_Lb0ENS6_6detail15normal_iteratorINS6_10device_ptrIjEEEENSD_INSE_IS9_EEEEjNS0_19identity_decomposerEEE10hipError_tT1_T2_PT3_SN_jT4_jjP12ihipStream_tbEUlT_E0_NS1_11comp_targetILNS1_3genE5ELNS1_11target_archE942ELNS1_3gpuE9ELNS1_3repE0EEENS1_52radix_sort_onesweep_histogram_config_static_selectorELNS0_4arch9wavefront6targetE0EEEvSL_.num_named_barrier, 0
	.set _ZN7rocprim17ROCPRIM_400000_NS6detail17trampoline_kernelINS0_14default_configENS1_35radix_sort_onesweep_config_selectorIjN6thrust23THRUST_200600_302600_NS5tupleIffNS6_9null_typeES8_S8_S8_S8_S8_S8_S8_EEEEZNS1_34radix_sort_onesweep_global_offsetsIS3_Lb0ENS6_6detail15normal_iteratorINS6_10device_ptrIjEEEENSD_INSE_IS9_EEEEjNS0_19identity_decomposerEEE10hipError_tT1_T2_PT3_SN_jT4_jjP12ihipStream_tbEUlT_E0_NS1_11comp_targetILNS1_3genE5ELNS1_11target_archE942ELNS1_3gpuE9ELNS1_3repE0EEENS1_52radix_sort_onesweep_histogram_config_static_selectorELNS0_4arch9wavefront6targetE0EEEvSL_.private_seg_size, 0
	.set _ZN7rocprim17ROCPRIM_400000_NS6detail17trampoline_kernelINS0_14default_configENS1_35radix_sort_onesweep_config_selectorIjN6thrust23THRUST_200600_302600_NS5tupleIffNS6_9null_typeES8_S8_S8_S8_S8_S8_S8_EEEEZNS1_34radix_sort_onesweep_global_offsetsIS3_Lb0ENS6_6detail15normal_iteratorINS6_10device_ptrIjEEEENSD_INSE_IS9_EEEEjNS0_19identity_decomposerEEE10hipError_tT1_T2_PT3_SN_jT4_jjP12ihipStream_tbEUlT_E0_NS1_11comp_targetILNS1_3genE5ELNS1_11target_archE942ELNS1_3gpuE9ELNS1_3repE0EEENS1_52radix_sort_onesweep_histogram_config_static_selectorELNS0_4arch9wavefront6targetE0EEEvSL_.uses_vcc, 0
	.set _ZN7rocprim17ROCPRIM_400000_NS6detail17trampoline_kernelINS0_14default_configENS1_35radix_sort_onesweep_config_selectorIjN6thrust23THRUST_200600_302600_NS5tupleIffNS6_9null_typeES8_S8_S8_S8_S8_S8_S8_EEEEZNS1_34radix_sort_onesweep_global_offsetsIS3_Lb0ENS6_6detail15normal_iteratorINS6_10device_ptrIjEEEENSD_INSE_IS9_EEEEjNS0_19identity_decomposerEEE10hipError_tT1_T2_PT3_SN_jT4_jjP12ihipStream_tbEUlT_E0_NS1_11comp_targetILNS1_3genE5ELNS1_11target_archE942ELNS1_3gpuE9ELNS1_3repE0EEENS1_52radix_sort_onesweep_histogram_config_static_selectorELNS0_4arch9wavefront6targetE0EEEvSL_.uses_flat_scratch, 0
	.set _ZN7rocprim17ROCPRIM_400000_NS6detail17trampoline_kernelINS0_14default_configENS1_35radix_sort_onesweep_config_selectorIjN6thrust23THRUST_200600_302600_NS5tupleIffNS6_9null_typeES8_S8_S8_S8_S8_S8_S8_EEEEZNS1_34radix_sort_onesweep_global_offsetsIS3_Lb0ENS6_6detail15normal_iteratorINS6_10device_ptrIjEEEENSD_INSE_IS9_EEEEjNS0_19identity_decomposerEEE10hipError_tT1_T2_PT3_SN_jT4_jjP12ihipStream_tbEUlT_E0_NS1_11comp_targetILNS1_3genE5ELNS1_11target_archE942ELNS1_3gpuE9ELNS1_3repE0EEENS1_52radix_sort_onesweep_histogram_config_static_selectorELNS0_4arch9wavefront6targetE0EEEvSL_.has_dyn_sized_stack, 0
	.set _ZN7rocprim17ROCPRIM_400000_NS6detail17trampoline_kernelINS0_14default_configENS1_35radix_sort_onesweep_config_selectorIjN6thrust23THRUST_200600_302600_NS5tupleIffNS6_9null_typeES8_S8_S8_S8_S8_S8_S8_EEEEZNS1_34radix_sort_onesweep_global_offsetsIS3_Lb0ENS6_6detail15normal_iteratorINS6_10device_ptrIjEEEENSD_INSE_IS9_EEEEjNS0_19identity_decomposerEEE10hipError_tT1_T2_PT3_SN_jT4_jjP12ihipStream_tbEUlT_E0_NS1_11comp_targetILNS1_3genE5ELNS1_11target_archE942ELNS1_3gpuE9ELNS1_3repE0EEENS1_52radix_sort_onesweep_histogram_config_static_selectorELNS0_4arch9wavefront6targetE0EEEvSL_.has_recursion, 0
	.set _ZN7rocprim17ROCPRIM_400000_NS6detail17trampoline_kernelINS0_14default_configENS1_35radix_sort_onesweep_config_selectorIjN6thrust23THRUST_200600_302600_NS5tupleIffNS6_9null_typeES8_S8_S8_S8_S8_S8_S8_EEEEZNS1_34radix_sort_onesweep_global_offsetsIS3_Lb0ENS6_6detail15normal_iteratorINS6_10device_ptrIjEEEENSD_INSE_IS9_EEEEjNS0_19identity_decomposerEEE10hipError_tT1_T2_PT3_SN_jT4_jjP12ihipStream_tbEUlT_E0_NS1_11comp_targetILNS1_3genE5ELNS1_11target_archE942ELNS1_3gpuE9ELNS1_3repE0EEENS1_52radix_sort_onesweep_histogram_config_static_selectorELNS0_4arch9wavefront6targetE0EEEvSL_.has_indirect_call, 0
	.section	.AMDGPU.csdata,"",@progbits
; Kernel info:
; codeLenInByte = 0
; TotalNumSgprs: 0
; NumVgprs: 0
; ScratchSize: 0
; MemoryBound: 0
; FloatMode: 240
; IeeeMode: 1
; LDSByteSize: 0 bytes/workgroup (compile time only)
; SGPRBlocks: 0
; VGPRBlocks: 0
; NumSGPRsForWavesPerEU: 1
; NumVGPRsForWavesPerEU: 1
; Occupancy: 16
; WaveLimiterHint : 0
; COMPUTE_PGM_RSRC2:SCRATCH_EN: 0
; COMPUTE_PGM_RSRC2:USER_SGPR: 6
; COMPUTE_PGM_RSRC2:TRAP_HANDLER: 0
; COMPUTE_PGM_RSRC2:TGID_X_EN: 1
; COMPUTE_PGM_RSRC2:TGID_Y_EN: 0
; COMPUTE_PGM_RSRC2:TGID_Z_EN: 0
; COMPUTE_PGM_RSRC2:TIDIG_COMP_CNT: 0
	.section	.text._ZN7rocprim17ROCPRIM_400000_NS6detail17trampoline_kernelINS0_14default_configENS1_35radix_sort_onesweep_config_selectorIjN6thrust23THRUST_200600_302600_NS5tupleIffNS6_9null_typeES8_S8_S8_S8_S8_S8_S8_EEEEZNS1_34radix_sort_onesweep_global_offsetsIS3_Lb0ENS6_6detail15normal_iteratorINS6_10device_ptrIjEEEENSD_INSE_IS9_EEEEjNS0_19identity_decomposerEEE10hipError_tT1_T2_PT3_SN_jT4_jjP12ihipStream_tbEUlT_E0_NS1_11comp_targetILNS1_3genE2ELNS1_11target_archE906ELNS1_3gpuE6ELNS1_3repE0EEENS1_52radix_sort_onesweep_histogram_config_static_selectorELNS0_4arch9wavefront6targetE0EEEvSL_,"axG",@progbits,_ZN7rocprim17ROCPRIM_400000_NS6detail17trampoline_kernelINS0_14default_configENS1_35radix_sort_onesweep_config_selectorIjN6thrust23THRUST_200600_302600_NS5tupleIffNS6_9null_typeES8_S8_S8_S8_S8_S8_S8_EEEEZNS1_34radix_sort_onesweep_global_offsetsIS3_Lb0ENS6_6detail15normal_iteratorINS6_10device_ptrIjEEEENSD_INSE_IS9_EEEEjNS0_19identity_decomposerEEE10hipError_tT1_T2_PT3_SN_jT4_jjP12ihipStream_tbEUlT_E0_NS1_11comp_targetILNS1_3genE2ELNS1_11target_archE906ELNS1_3gpuE6ELNS1_3repE0EEENS1_52radix_sort_onesweep_histogram_config_static_selectorELNS0_4arch9wavefront6targetE0EEEvSL_,comdat
	.protected	_ZN7rocprim17ROCPRIM_400000_NS6detail17trampoline_kernelINS0_14default_configENS1_35radix_sort_onesweep_config_selectorIjN6thrust23THRUST_200600_302600_NS5tupleIffNS6_9null_typeES8_S8_S8_S8_S8_S8_S8_EEEEZNS1_34radix_sort_onesweep_global_offsetsIS3_Lb0ENS6_6detail15normal_iteratorINS6_10device_ptrIjEEEENSD_INSE_IS9_EEEEjNS0_19identity_decomposerEEE10hipError_tT1_T2_PT3_SN_jT4_jjP12ihipStream_tbEUlT_E0_NS1_11comp_targetILNS1_3genE2ELNS1_11target_archE906ELNS1_3gpuE6ELNS1_3repE0EEENS1_52radix_sort_onesweep_histogram_config_static_selectorELNS0_4arch9wavefront6targetE0EEEvSL_ ; -- Begin function _ZN7rocprim17ROCPRIM_400000_NS6detail17trampoline_kernelINS0_14default_configENS1_35radix_sort_onesweep_config_selectorIjN6thrust23THRUST_200600_302600_NS5tupleIffNS6_9null_typeES8_S8_S8_S8_S8_S8_S8_EEEEZNS1_34radix_sort_onesweep_global_offsetsIS3_Lb0ENS6_6detail15normal_iteratorINS6_10device_ptrIjEEEENSD_INSE_IS9_EEEEjNS0_19identity_decomposerEEE10hipError_tT1_T2_PT3_SN_jT4_jjP12ihipStream_tbEUlT_E0_NS1_11comp_targetILNS1_3genE2ELNS1_11target_archE906ELNS1_3gpuE6ELNS1_3repE0EEENS1_52radix_sort_onesweep_histogram_config_static_selectorELNS0_4arch9wavefront6targetE0EEEvSL_
	.globl	_ZN7rocprim17ROCPRIM_400000_NS6detail17trampoline_kernelINS0_14default_configENS1_35radix_sort_onesweep_config_selectorIjN6thrust23THRUST_200600_302600_NS5tupleIffNS6_9null_typeES8_S8_S8_S8_S8_S8_S8_EEEEZNS1_34radix_sort_onesweep_global_offsetsIS3_Lb0ENS6_6detail15normal_iteratorINS6_10device_ptrIjEEEENSD_INSE_IS9_EEEEjNS0_19identity_decomposerEEE10hipError_tT1_T2_PT3_SN_jT4_jjP12ihipStream_tbEUlT_E0_NS1_11comp_targetILNS1_3genE2ELNS1_11target_archE906ELNS1_3gpuE6ELNS1_3repE0EEENS1_52radix_sort_onesweep_histogram_config_static_selectorELNS0_4arch9wavefront6targetE0EEEvSL_
	.p2align	8
	.type	_ZN7rocprim17ROCPRIM_400000_NS6detail17trampoline_kernelINS0_14default_configENS1_35radix_sort_onesweep_config_selectorIjN6thrust23THRUST_200600_302600_NS5tupleIffNS6_9null_typeES8_S8_S8_S8_S8_S8_S8_EEEEZNS1_34radix_sort_onesweep_global_offsetsIS3_Lb0ENS6_6detail15normal_iteratorINS6_10device_ptrIjEEEENSD_INSE_IS9_EEEEjNS0_19identity_decomposerEEE10hipError_tT1_T2_PT3_SN_jT4_jjP12ihipStream_tbEUlT_E0_NS1_11comp_targetILNS1_3genE2ELNS1_11target_archE906ELNS1_3gpuE6ELNS1_3repE0EEENS1_52radix_sort_onesweep_histogram_config_static_selectorELNS0_4arch9wavefront6targetE0EEEvSL_,@function
_ZN7rocprim17ROCPRIM_400000_NS6detail17trampoline_kernelINS0_14default_configENS1_35radix_sort_onesweep_config_selectorIjN6thrust23THRUST_200600_302600_NS5tupleIffNS6_9null_typeES8_S8_S8_S8_S8_S8_S8_EEEEZNS1_34radix_sort_onesweep_global_offsetsIS3_Lb0ENS6_6detail15normal_iteratorINS6_10device_ptrIjEEEENSD_INSE_IS9_EEEEjNS0_19identity_decomposerEEE10hipError_tT1_T2_PT3_SN_jT4_jjP12ihipStream_tbEUlT_E0_NS1_11comp_targetILNS1_3genE2ELNS1_11target_archE906ELNS1_3gpuE6ELNS1_3repE0EEENS1_52radix_sort_onesweep_histogram_config_static_selectorELNS0_4arch9wavefront6targetE0EEEvSL_: ; @_ZN7rocprim17ROCPRIM_400000_NS6detail17trampoline_kernelINS0_14default_configENS1_35radix_sort_onesweep_config_selectorIjN6thrust23THRUST_200600_302600_NS5tupleIffNS6_9null_typeES8_S8_S8_S8_S8_S8_S8_EEEEZNS1_34radix_sort_onesweep_global_offsetsIS3_Lb0ENS6_6detail15normal_iteratorINS6_10device_ptrIjEEEENSD_INSE_IS9_EEEEjNS0_19identity_decomposerEEE10hipError_tT1_T2_PT3_SN_jT4_jjP12ihipStream_tbEUlT_E0_NS1_11comp_targetILNS1_3genE2ELNS1_11target_archE906ELNS1_3gpuE6ELNS1_3repE0EEENS1_52radix_sort_onesweep_histogram_config_static_selectorELNS0_4arch9wavefront6targetE0EEEvSL_
; %bb.0:
	.section	.rodata,"a",@progbits
	.p2align	6, 0x0
	.amdhsa_kernel _ZN7rocprim17ROCPRIM_400000_NS6detail17trampoline_kernelINS0_14default_configENS1_35radix_sort_onesweep_config_selectorIjN6thrust23THRUST_200600_302600_NS5tupleIffNS6_9null_typeES8_S8_S8_S8_S8_S8_S8_EEEEZNS1_34radix_sort_onesweep_global_offsetsIS3_Lb0ENS6_6detail15normal_iteratorINS6_10device_ptrIjEEEENSD_INSE_IS9_EEEEjNS0_19identity_decomposerEEE10hipError_tT1_T2_PT3_SN_jT4_jjP12ihipStream_tbEUlT_E0_NS1_11comp_targetILNS1_3genE2ELNS1_11target_archE906ELNS1_3gpuE6ELNS1_3repE0EEENS1_52radix_sort_onesweep_histogram_config_static_selectorELNS0_4arch9wavefront6targetE0EEEvSL_
		.amdhsa_group_segment_fixed_size 0
		.amdhsa_private_segment_fixed_size 0
		.amdhsa_kernarg_size 8
		.amdhsa_user_sgpr_count 6
		.amdhsa_user_sgpr_private_segment_buffer 1
		.amdhsa_user_sgpr_dispatch_ptr 0
		.amdhsa_user_sgpr_queue_ptr 0
		.amdhsa_user_sgpr_kernarg_segment_ptr 1
		.amdhsa_user_sgpr_dispatch_id 0
		.amdhsa_user_sgpr_flat_scratch_init 0
		.amdhsa_user_sgpr_private_segment_size 0
		.amdhsa_wavefront_size32 1
		.amdhsa_uses_dynamic_stack 0
		.amdhsa_system_sgpr_private_segment_wavefront_offset 0
		.amdhsa_system_sgpr_workgroup_id_x 1
		.amdhsa_system_sgpr_workgroup_id_y 0
		.amdhsa_system_sgpr_workgroup_id_z 0
		.amdhsa_system_sgpr_workgroup_info 0
		.amdhsa_system_vgpr_workitem_id 0
		.amdhsa_next_free_vgpr 1
		.amdhsa_next_free_sgpr 1
		.amdhsa_reserve_vcc 0
		.amdhsa_reserve_flat_scratch 0
		.amdhsa_float_round_mode_32 0
		.amdhsa_float_round_mode_16_64 0
		.amdhsa_float_denorm_mode_32 3
		.amdhsa_float_denorm_mode_16_64 3
		.amdhsa_dx10_clamp 1
		.amdhsa_ieee_mode 1
		.amdhsa_fp16_overflow 0
		.amdhsa_workgroup_processor_mode 1
		.amdhsa_memory_ordered 1
		.amdhsa_forward_progress 1
		.amdhsa_shared_vgpr_count 0
		.amdhsa_exception_fp_ieee_invalid_op 0
		.amdhsa_exception_fp_denorm_src 0
		.amdhsa_exception_fp_ieee_div_zero 0
		.amdhsa_exception_fp_ieee_overflow 0
		.amdhsa_exception_fp_ieee_underflow 0
		.amdhsa_exception_fp_ieee_inexact 0
		.amdhsa_exception_int_div_zero 0
	.end_amdhsa_kernel
	.section	.text._ZN7rocprim17ROCPRIM_400000_NS6detail17trampoline_kernelINS0_14default_configENS1_35radix_sort_onesweep_config_selectorIjN6thrust23THRUST_200600_302600_NS5tupleIffNS6_9null_typeES8_S8_S8_S8_S8_S8_S8_EEEEZNS1_34radix_sort_onesweep_global_offsetsIS3_Lb0ENS6_6detail15normal_iteratorINS6_10device_ptrIjEEEENSD_INSE_IS9_EEEEjNS0_19identity_decomposerEEE10hipError_tT1_T2_PT3_SN_jT4_jjP12ihipStream_tbEUlT_E0_NS1_11comp_targetILNS1_3genE2ELNS1_11target_archE906ELNS1_3gpuE6ELNS1_3repE0EEENS1_52radix_sort_onesweep_histogram_config_static_selectorELNS0_4arch9wavefront6targetE0EEEvSL_,"axG",@progbits,_ZN7rocprim17ROCPRIM_400000_NS6detail17trampoline_kernelINS0_14default_configENS1_35radix_sort_onesweep_config_selectorIjN6thrust23THRUST_200600_302600_NS5tupleIffNS6_9null_typeES8_S8_S8_S8_S8_S8_S8_EEEEZNS1_34radix_sort_onesweep_global_offsetsIS3_Lb0ENS6_6detail15normal_iteratorINS6_10device_ptrIjEEEENSD_INSE_IS9_EEEEjNS0_19identity_decomposerEEE10hipError_tT1_T2_PT3_SN_jT4_jjP12ihipStream_tbEUlT_E0_NS1_11comp_targetILNS1_3genE2ELNS1_11target_archE906ELNS1_3gpuE6ELNS1_3repE0EEENS1_52radix_sort_onesweep_histogram_config_static_selectorELNS0_4arch9wavefront6targetE0EEEvSL_,comdat
.Lfunc_end151:
	.size	_ZN7rocprim17ROCPRIM_400000_NS6detail17trampoline_kernelINS0_14default_configENS1_35radix_sort_onesweep_config_selectorIjN6thrust23THRUST_200600_302600_NS5tupleIffNS6_9null_typeES8_S8_S8_S8_S8_S8_S8_EEEEZNS1_34radix_sort_onesweep_global_offsetsIS3_Lb0ENS6_6detail15normal_iteratorINS6_10device_ptrIjEEEENSD_INSE_IS9_EEEEjNS0_19identity_decomposerEEE10hipError_tT1_T2_PT3_SN_jT4_jjP12ihipStream_tbEUlT_E0_NS1_11comp_targetILNS1_3genE2ELNS1_11target_archE906ELNS1_3gpuE6ELNS1_3repE0EEENS1_52radix_sort_onesweep_histogram_config_static_selectorELNS0_4arch9wavefront6targetE0EEEvSL_, .Lfunc_end151-_ZN7rocprim17ROCPRIM_400000_NS6detail17trampoline_kernelINS0_14default_configENS1_35radix_sort_onesweep_config_selectorIjN6thrust23THRUST_200600_302600_NS5tupleIffNS6_9null_typeES8_S8_S8_S8_S8_S8_S8_EEEEZNS1_34radix_sort_onesweep_global_offsetsIS3_Lb0ENS6_6detail15normal_iteratorINS6_10device_ptrIjEEEENSD_INSE_IS9_EEEEjNS0_19identity_decomposerEEE10hipError_tT1_T2_PT3_SN_jT4_jjP12ihipStream_tbEUlT_E0_NS1_11comp_targetILNS1_3genE2ELNS1_11target_archE906ELNS1_3gpuE6ELNS1_3repE0EEENS1_52radix_sort_onesweep_histogram_config_static_selectorELNS0_4arch9wavefront6targetE0EEEvSL_
                                        ; -- End function
	.set _ZN7rocprim17ROCPRIM_400000_NS6detail17trampoline_kernelINS0_14default_configENS1_35radix_sort_onesweep_config_selectorIjN6thrust23THRUST_200600_302600_NS5tupleIffNS6_9null_typeES8_S8_S8_S8_S8_S8_S8_EEEEZNS1_34radix_sort_onesweep_global_offsetsIS3_Lb0ENS6_6detail15normal_iteratorINS6_10device_ptrIjEEEENSD_INSE_IS9_EEEEjNS0_19identity_decomposerEEE10hipError_tT1_T2_PT3_SN_jT4_jjP12ihipStream_tbEUlT_E0_NS1_11comp_targetILNS1_3genE2ELNS1_11target_archE906ELNS1_3gpuE6ELNS1_3repE0EEENS1_52radix_sort_onesweep_histogram_config_static_selectorELNS0_4arch9wavefront6targetE0EEEvSL_.num_vgpr, 0
	.set _ZN7rocprim17ROCPRIM_400000_NS6detail17trampoline_kernelINS0_14default_configENS1_35radix_sort_onesweep_config_selectorIjN6thrust23THRUST_200600_302600_NS5tupleIffNS6_9null_typeES8_S8_S8_S8_S8_S8_S8_EEEEZNS1_34radix_sort_onesweep_global_offsetsIS3_Lb0ENS6_6detail15normal_iteratorINS6_10device_ptrIjEEEENSD_INSE_IS9_EEEEjNS0_19identity_decomposerEEE10hipError_tT1_T2_PT3_SN_jT4_jjP12ihipStream_tbEUlT_E0_NS1_11comp_targetILNS1_3genE2ELNS1_11target_archE906ELNS1_3gpuE6ELNS1_3repE0EEENS1_52radix_sort_onesweep_histogram_config_static_selectorELNS0_4arch9wavefront6targetE0EEEvSL_.num_agpr, 0
	.set _ZN7rocprim17ROCPRIM_400000_NS6detail17trampoline_kernelINS0_14default_configENS1_35radix_sort_onesweep_config_selectorIjN6thrust23THRUST_200600_302600_NS5tupleIffNS6_9null_typeES8_S8_S8_S8_S8_S8_S8_EEEEZNS1_34radix_sort_onesweep_global_offsetsIS3_Lb0ENS6_6detail15normal_iteratorINS6_10device_ptrIjEEEENSD_INSE_IS9_EEEEjNS0_19identity_decomposerEEE10hipError_tT1_T2_PT3_SN_jT4_jjP12ihipStream_tbEUlT_E0_NS1_11comp_targetILNS1_3genE2ELNS1_11target_archE906ELNS1_3gpuE6ELNS1_3repE0EEENS1_52radix_sort_onesweep_histogram_config_static_selectorELNS0_4arch9wavefront6targetE0EEEvSL_.numbered_sgpr, 0
	.set _ZN7rocprim17ROCPRIM_400000_NS6detail17trampoline_kernelINS0_14default_configENS1_35radix_sort_onesweep_config_selectorIjN6thrust23THRUST_200600_302600_NS5tupleIffNS6_9null_typeES8_S8_S8_S8_S8_S8_S8_EEEEZNS1_34radix_sort_onesweep_global_offsetsIS3_Lb0ENS6_6detail15normal_iteratorINS6_10device_ptrIjEEEENSD_INSE_IS9_EEEEjNS0_19identity_decomposerEEE10hipError_tT1_T2_PT3_SN_jT4_jjP12ihipStream_tbEUlT_E0_NS1_11comp_targetILNS1_3genE2ELNS1_11target_archE906ELNS1_3gpuE6ELNS1_3repE0EEENS1_52radix_sort_onesweep_histogram_config_static_selectorELNS0_4arch9wavefront6targetE0EEEvSL_.num_named_barrier, 0
	.set _ZN7rocprim17ROCPRIM_400000_NS6detail17trampoline_kernelINS0_14default_configENS1_35radix_sort_onesweep_config_selectorIjN6thrust23THRUST_200600_302600_NS5tupleIffNS6_9null_typeES8_S8_S8_S8_S8_S8_S8_EEEEZNS1_34radix_sort_onesweep_global_offsetsIS3_Lb0ENS6_6detail15normal_iteratorINS6_10device_ptrIjEEEENSD_INSE_IS9_EEEEjNS0_19identity_decomposerEEE10hipError_tT1_T2_PT3_SN_jT4_jjP12ihipStream_tbEUlT_E0_NS1_11comp_targetILNS1_3genE2ELNS1_11target_archE906ELNS1_3gpuE6ELNS1_3repE0EEENS1_52radix_sort_onesweep_histogram_config_static_selectorELNS0_4arch9wavefront6targetE0EEEvSL_.private_seg_size, 0
	.set _ZN7rocprim17ROCPRIM_400000_NS6detail17trampoline_kernelINS0_14default_configENS1_35radix_sort_onesweep_config_selectorIjN6thrust23THRUST_200600_302600_NS5tupleIffNS6_9null_typeES8_S8_S8_S8_S8_S8_S8_EEEEZNS1_34radix_sort_onesweep_global_offsetsIS3_Lb0ENS6_6detail15normal_iteratorINS6_10device_ptrIjEEEENSD_INSE_IS9_EEEEjNS0_19identity_decomposerEEE10hipError_tT1_T2_PT3_SN_jT4_jjP12ihipStream_tbEUlT_E0_NS1_11comp_targetILNS1_3genE2ELNS1_11target_archE906ELNS1_3gpuE6ELNS1_3repE0EEENS1_52radix_sort_onesweep_histogram_config_static_selectorELNS0_4arch9wavefront6targetE0EEEvSL_.uses_vcc, 0
	.set _ZN7rocprim17ROCPRIM_400000_NS6detail17trampoline_kernelINS0_14default_configENS1_35radix_sort_onesweep_config_selectorIjN6thrust23THRUST_200600_302600_NS5tupleIffNS6_9null_typeES8_S8_S8_S8_S8_S8_S8_EEEEZNS1_34radix_sort_onesweep_global_offsetsIS3_Lb0ENS6_6detail15normal_iteratorINS6_10device_ptrIjEEEENSD_INSE_IS9_EEEEjNS0_19identity_decomposerEEE10hipError_tT1_T2_PT3_SN_jT4_jjP12ihipStream_tbEUlT_E0_NS1_11comp_targetILNS1_3genE2ELNS1_11target_archE906ELNS1_3gpuE6ELNS1_3repE0EEENS1_52radix_sort_onesweep_histogram_config_static_selectorELNS0_4arch9wavefront6targetE0EEEvSL_.uses_flat_scratch, 0
	.set _ZN7rocprim17ROCPRIM_400000_NS6detail17trampoline_kernelINS0_14default_configENS1_35radix_sort_onesweep_config_selectorIjN6thrust23THRUST_200600_302600_NS5tupleIffNS6_9null_typeES8_S8_S8_S8_S8_S8_S8_EEEEZNS1_34radix_sort_onesweep_global_offsetsIS3_Lb0ENS6_6detail15normal_iteratorINS6_10device_ptrIjEEEENSD_INSE_IS9_EEEEjNS0_19identity_decomposerEEE10hipError_tT1_T2_PT3_SN_jT4_jjP12ihipStream_tbEUlT_E0_NS1_11comp_targetILNS1_3genE2ELNS1_11target_archE906ELNS1_3gpuE6ELNS1_3repE0EEENS1_52radix_sort_onesweep_histogram_config_static_selectorELNS0_4arch9wavefront6targetE0EEEvSL_.has_dyn_sized_stack, 0
	.set _ZN7rocprim17ROCPRIM_400000_NS6detail17trampoline_kernelINS0_14default_configENS1_35radix_sort_onesweep_config_selectorIjN6thrust23THRUST_200600_302600_NS5tupleIffNS6_9null_typeES8_S8_S8_S8_S8_S8_S8_EEEEZNS1_34radix_sort_onesweep_global_offsetsIS3_Lb0ENS6_6detail15normal_iteratorINS6_10device_ptrIjEEEENSD_INSE_IS9_EEEEjNS0_19identity_decomposerEEE10hipError_tT1_T2_PT3_SN_jT4_jjP12ihipStream_tbEUlT_E0_NS1_11comp_targetILNS1_3genE2ELNS1_11target_archE906ELNS1_3gpuE6ELNS1_3repE0EEENS1_52radix_sort_onesweep_histogram_config_static_selectorELNS0_4arch9wavefront6targetE0EEEvSL_.has_recursion, 0
	.set _ZN7rocprim17ROCPRIM_400000_NS6detail17trampoline_kernelINS0_14default_configENS1_35radix_sort_onesweep_config_selectorIjN6thrust23THRUST_200600_302600_NS5tupleIffNS6_9null_typeES8_S8_S8_S8_S8_S8_S8_EEEEZNS1_34radix_sort_onesweep_global_offsetsIS3_Lb0ENS6_6detail15normal_iteratorINS6_10device_ptrIjEEEENSD_INSE_IS9_EEEEjNS0_19identity_decomposerEEE10hipError_tT1_T2_PT3_SN_jT4_jjP12ihipStream_tbEUlT_E0_NS1_11comp_targetILNS1_3genE2ELNS1_11target_archE906ELNS1_3gpuE6ELNS1_3repE0EEENS1_52radix_sort_onesweep_histogram_config_static_selectorELNS0_4arch9wavefront6targetE0EEEvSL_.has_indirect_call, 0
	.section	.AMDGPU.csdata,"",@progbits
; Kernel info:
; codeLenInByte = 0
; TotalNumSgprs: 0
; NumVgprs: 0
; ScratchSize: 0
; MemoryBound: 0
; FloatMode: 240
; IeeeMode: 1
; LDSByteSize: 0 bytes/workgroup (compile time only)
; SGPRBlocks: 0
; VGPRBlocks: 0
; NumSGPRsForWavesPerEU: 1
; NumVGPRsForWavesPerEU: 1
; Occupancy: 16
; WaveLimiterHint : 0
; COMPUTE_PGM_RSRC2:SCRATCH_EN: 0
; COMPUTE_PGM_RSRC2:USER_SGPR: 6
; COMPUTE_PGM_RSRC2:TRAP_HANDLER: 0
; COMPUTE_PGM_RSRC2:TGID_X_EN: 1
; COMPUTE_PGM_RSRC2:TGID_Y_EN: 0
; COMPUTE_PGM_RSRC2:TGID_Z_EN: 0
; COMPUTE_PGM_RSRC2:TIDIG_COMP_CNT: 0
	.section	.text._ZN7rocprim17ROCPRIM_400000_NS6detail17trampoline_kernelINS0_14default_configENS1_35radix_sort_onesweep_config_selectorIjN6thrust23THRUST_200600_302600_NS5tupleIffNS6_9null_typeES8_S8_S8_S8_S8_S8_S8_EEEEZNS1_34radix_sort_onesweep_global_offsetsIS3_Lb0ENS6_6detail15normal_iteratorINS6_10device_ptrIjEEEENSD_INSE_IS9_EEEEjNS0_19identity_decomposerEEE10hipError_tT1_T2_PT3_SN_jT4_jjP12ihipStream_tbEUlT_E0_NS1_11comp_targetILNS1_3genE4ELNS1_11target_archE910ELNS1_3gpuE8ELNS1_3repE0EEENS1_52radix_sort_onesweep_histogram_config_static_selectorELNS0_4arch9wavefront6targetE0EEEvSL_,"axG",@progbits,_ZN7rocprim17ROCPRIM_400000_NS6detail17trampoline_kernelINS0_14default_configENS1_35radix_sort_onesweep_config_selectorIjN6thrust23THRUST_200600_302600_NS5tupleIffNS6_9null_typeES8_S8_S8_S8_S8_S8_S8_EEEEZNS1_34radix_sort_onesweep_global_offsetsIS3_Lb0ENS6_6detail15normal_iteratorINS6_10device_ptrIjEEEENSD_INSE_IS9_EEEEjNS0_19identity_decomposerEEE10hipError_tT1_T2_PT3_SN_jT4_jjP12ihipStream_tbEUlT_E0_NS1_11comp_targetILNS1_3genE4ELNS1_11target_archE910ELNS1_3gpuE8ELNS1_3repE0EEENS1_52radix_sort_onesweep_histogram_config_static_selectorELNS0_4arch9wavefront6targetE0EEEvSL_,comdat
	.protected	_ZN7rocprim17ROCPRIM_400000_NS6detail17trampoline_kernelINS0_14default_configENS1_35radix_sort_onesweep_config_selectorIjN6thrust23THRUST_200600_302600_NS5tupleIffNS6_9null_typeES8_S8_S8_S8_S8_S8_S8_EEEEZNS1_34radix_sort_onesweep_global_offsetsIS3_Lb0ENS6_6detail15normal_iteratorINS6_10device_ptrIjEEEENSD_INSE_IS9_EEEEjNS0_19identity_decomposerEEE10hipError_tT1_T2_PT3_SN_jT4_jjP12ihipStream_tbEUlT_E0_NS1_11comp_targetILNS1_3genE4ELNS1_11target_archE910ELNS1_3gpuE8ELNS1_3repE0EEENS1_52radix_sort_onesweep_histogram_config_static_selectorELNS0_4arch9wavefront6targetE0EEEvSL_ ; -- Begin function _ZN7rocprim17ROCPRIM_400000_NS6detail17trampoline_kernelINS0_14default_configENS1_35radix_sort_onesweep_config_selectorIjN6thrust23THRUST_200600_302600_NS5tupleIffNS6_9null_typeES8_S8_S8_S8_S8_S8_S8_EEEEZNS1_34radix_sort_onesweep_global_offsetsIS3_Lb0ENS6_6detail15normal_iteratorINS6_10device_ptrIjEEEENSD_INSE_IS9_EEEEjNS0_19identity_decomposerEEE10hipError_tT1_T2_PT3_SN_jT4_jjP12ihipStream_tbEUlT_E0_NS1_11comp_targetILNS1_3genE4ELNS1_11target_archE910ELNS1_3gpuE8ELNS1_3repE0EEENS1_52radix_sort_onesweep_histogram_config_static_selectorELNS0_4arch9wavefront6targetE0EEEvSL_
	.globl	_ZN7rocprim17ROCPRIM_400000_NS6detail17trampoline_kernelINS0_14default_configENS1_35radix_sort_onesweep_config_selectorIjN6thrust23THRUST_200600_302600_NS5tupleIffNS6_9null_typeES8_S8_S8_S8_S8_S8_S8_EEEEZNS1_34radix_sort_onesweep_global_offsetsIS3_Lb0ENS6_6detail15normal_iteratorINS6_10device_ptrIjEEEENSD_INSE_IS9_EEEEjNS0_19identity_decomposerEEE10hipError_tT1_T2_PT3_SN_jT4_jjP12ihipStream_tbEUlT_E0_NS1_11comp_targetILNS1_3genE4ELNS1_11target_archE910ELNS1_3gpuE8ELNS1_3repE0EEENS1_52radix_sort_onesweep_histogram_config_static_selectorELNS0_4arch9wavefront6targetE0EEEvSL_
	.p2align	8
	.type	_ZN7rocprim17ROCPRIM_400000_NS6detail17trampoline_kernelINS0_14default_configENS1_35radix_sort_onesweep_config_selectorIjN6thrust23THRUST_200600_302600_NS5tupleIffNS6_9null_typeES8_S8_S8_S8_S8_S8_S8_EEEEZNS1_34radix_sort_onesweep_global_offsetsIS3_Lb0ENS6_6detail15normal_iteratorINS6_10device_ptrIjEEEENSD_INSE_IS9_EEEEjNS0_19identity_decomposerEEE10hipError_tT1_T2_PT3_SN_jT4_jjP12ihipStream_tbEUlT_E0_NS1_11comp_targetILNS1_3genE4ELNS1_11target_archE910ELNS1_3gpuE8ELNS1_3repE0EEENS1_52radix_sort_onesweep_histogram_config_static_selectorELNS0_4arch9wavefront6targetE0EEEvSL_,@function
_ZN7rocprim17ROCPRIM_400000_NS6detail17trampoline_kernelINS0_14default_configENS1_35radix_sort_onesweep_config_selectorIjN6thrust23THRUST_200600_302600_NS5tupleIffNS6_9null_typeES8_S8_S8_S8_S8_S8_S8_EEEEZNS1_34radix_sort_onesweep_global_offsetsIS3_Lb0ENS6_6detail15normal_iteratorINS6_10device_ptrIjEEEENSD_INSE_IS9_EEEEjNS0_19identity_decomposerEEE10hipError_tT1_T2_PT3_SN_jT4_jjP12ihipStream_tbEUlT_E0_NS1_11comp_targetILNS1_3genE4ELNS1_11target_archE910ELNS1_3gpuE8ELNS1_3repE0EEENS1_52radix_sort_onesweep_histogram_config_static_selectorELNS0_4arch9wavefront6targetE0EEEvSL_: ; @_ZN7rocprim17ROCPRIM_400000_NS6detail17trampoline_kernelINS0_14default_configENS1_35radix_sort_onesweep_config_selectorIjN6thrust23THRUST_200600_302600_NS5tupleIffNS6_9null_typeES8_S8_S8_S8_S8_S8_S8_EEEEZNS1_34radix_sort_onesweep_global_offsetsIS3_Lb0ENS6_6detail15normal_iteratorINS6_10device_ptrIjEEEENSD_INSE_IS9_EEEEjNS0_19identity_decomposerEEE10hipError_tT1_T2_PT3_SN_jT4_jjP12ihipStream_tbEUlT_E0_NS1_11comp_targetILNS1_3genE4ELNS1_11target_archE910ELNS1_3gpuE8ELNS1_3repE0EEENS1_52radix_sort_onesweep_histogram_config_static_selectorELNS0_4arch9wavefront6targetE0EEEvSL_
; %bb.0:
	.section	.rodata,"a",@progbits
	.p2align	6, 0x0
	.amdhsa_kernel _ZN7rocprim17ROCPRIM_400000_NS6detail17trampoline_kernelINS0_14default_configENS1_35radix_sort_onesweep_config_selectorIjN6thrust23THRUST_200600_302600_NS5tupleIffNS6_9null_typeES8_S8_S8_S8_S8_S8_S8_EEEEZNS1_34radix_sort_onesweep_global_offsetsIS3_Lb0ENS6_6detail15normal_iteratorINS6_10device_ptrIjEEEENSD_INSE_IS9_EEEEjNS0_19identity_decomposerEEE10hipError_tT1_T2_PT3_SN_jT4_jjP12ihipStream_tbEUlT_E0_NS1_11comp_targetILNS1_3genE4ELNS1_11target_archE910ELNS1_3gpuE8ELNS1_3repE0EEENS1_52radix_sort_onesweep_histogram_config_static_selectorELNS0_4arch9wavefront6targetE0EEEvSL_
		.amdhsa_group_segment_fixed_size 0
		.amdhsa_private_segment_fixed_size 0
		.amdhsa_kernarg_size 8
		.amdhsa_user_sgpr_count 6
		.amdhsa_user_sgpr_private_segment_buffer 1
		.amdhsa_user_sgpr_dispatch_ptr 0
		.amdhsa_user_sgpr_queue_ptr 0
		.amdhsa_user_sgpr_kernarg_segment_ptr 1
		.amdhsa_user_sgpr_dispatch_id 0
		.amdhsa_user_sgpr_flat_scratch_init 0
		.amdhsa_user_sgpr_private_segment_size 0
		.amdhsa_wavefront_size32 1
		.amdhsa_uses_dynamic_stack 0
		.amdhsa_system_sgpr_private_segment_wavefront_offset 0
		.amdhsa_system_sgpr_workgroup_id_x 1
		.amdhsa_system_sgpr_workgroup_id_y 0
		.amdhsa_system_sgpr_workgroup_id_z 0
		.amdhsa_system_sgpr_workgroup_info 0
		.amdhsa_system_vgpr_workitem_id 0
		.amdhsa_next_free_vgpr 1
		.amdhsa_next_free_sgpr 1
		.amdhsa_reserve_vcc 0
		.amdhsa_reserve_flat_scratch 0
		.amdhsa_float_round_mode_32 0
		.amdhsa_float_round_mode_16_64 0
		.amdhsa_float_denorm_mode_32 3
		.amdhsa_float_denorm_mode_16_64 3
		.amdhsa_dx10_clamp 1
		.amdhsa_ieee_mode 1
		.amdhsa_fp16_overflow 0
		.amdhsa_workgroup_processor_mode 1
		.amdhsa_memory_ordered 1
		.amdhsa_forward_progress 1
		.amdhsa_shared_vgpr_count 0
		.amdhsa_exception_fp_ieee_invalid_op 0
		.amdhsa_exception_fp_denorm_src 0
		.amdhsa_exception_fp_ieee_div_zero 0
		.amdhsa_exception_fp_ieee_overflow 0
		.amdhsa_exception_fp_ieee_underflow 0
		.amdhsa_exception_fp_ieee_inexact 0
		.amdhsa_exception_int_div_zero 0
	.end_amdhsa_kernel
	.section	.text._ZN7rocprim17ROCPRIM_400000_NS6detail17trampoline_kernelINS0_14default_configENS1_35radix_sort_onesweep_config_selectorIjN6thrust23THRUST_200600_302600_NS5tupleIffNS6_9null_typeES8_S8_S8_S8_S8_S8_S8_EEEEZNS1_34radix_sort_onesweep_global_offsetsIS3_Lb0ENS6_6detail15normal_iteratorINS6_10device_ptrIjEEEENSD_INSE_IS9_EEEEjNS0_19identity_decomposerEEE10hipError_tT1_T2_PT3_SN_jT4_jjP12ihipStream_tbEUlT_E0_NS1_11comp_targetILNS1_3genE4ELNS1_11target_archE910ELNS1_3gpuE8ELNS1_3repE0EEENS1_52radix_sort_onesweep_histogram_config_static_selectorELNS0_4arch9wavefront6targetE0EEEvSL_,"axG",@progbits,_ZN7rocprim17ROCPRIM_400000_NS6detail17trampoline_kernelINS0_14default_configENS1_35radix_sort_onesweep_config_selectorIjN6thrust23THRUST_200600_302600_NS5tupleIffNS6_9null_typeES8_S8_S8_S8_S8_S8_S8_EEEEZNS1_34radix_sort_onesweep_global_offsetsIS3_Lb0ENS6_6detail15normal_iteratorINS6_10device_ptrIjEEEENSD_INSE_IS9_EEEEjNS0_19identity_decomposerEEE10hipError_tT1_T2_PT3_SN_jT4_jjP12ihipStream_tbEUlT_E0_NS1_11comp_targetILNS1_3genE4ELNS1_11target_archE910ELNS1_3gpuE8ELNS1_3repE0EEENS1_52radix_sort_onesweep_histogram_config_static_selectorELNS0_4arch9wavefront6targetE0EEEvSL_,comdat
.Lfunc_end152:
	.size	_ZN7rocprim17ROCPRIM_400000_NS6detail17trampoline_kernelINS0_14default_configENS1_35radix_sort_onesweep_config_selectorIjN6thrust23THRUST_200600_302600_NS5tupleIffNS6_9null_typeES8_S8_S8_S8_S8_S8_S8_EEEEZNS1_34radix_sort_onesweep_global_offsetsIS3_Lb0ENS6_6detail15normal_iteratorINS6_10device_ptrIjEEEENSD_INSE_IS9_EEEEjNS0_19identity_decomposerEEE10hipError_tT1_T2_PT3_SN_jT4_jjP12ihipStream_tbEUlT_E0_NS1_11comp_targetILNS1_3genE4ELNS1_11target_archE910ELNS1_3gpuE8ELNS1_3repE0EEENS1_52radix_sort_onesweep_histogram_config_static_selectorELNS0_4arch9wavefront6targetE0EEEvSL_, .Lfunc_end152-_ZN7rocprim17ROCPRIM_400000_NS6detail17trampoline_kernelINS0_14default_configENS1_35radix_sort_onesweep_config_selectorIjN6thrust23THRUST_200600_302600_NS5tupleIffNS6_9null_typeES8_S8_S8_S8_S8_S8_S8_EEEEZNS1_34radix_sort_onesweep_global_offsetsIS3_Lb0ENS6_6detail15normal_iteratorINS6_10device_ptrIjEEEENSD_INSE_IS9_EEEEjNS0_19identity_decomposerEEE10hipError_tT1_T2_PT3_SN_jT4_jjP12ihipStream_tbEUlT_E0_NS1_11comp_targetILNS1_3genE4ELNS1_11target_archE910ELNS1_3gpuE8ELNS1_3repE0EEENS1_52radix_sort_onesweep_histogram_config_static_selectorELNS0_4arch9wavefront6targetE0EEEvSL_
                                        ; -- End function
	.set _ZN7rocprim17ROCPRIM_400000_NS6detail17trampoline_kernelINS0_14default_configENS1_35radix_sort_onesweep_config_selectorIjN6thrust23THRUST_200600_302600_NS5tupleIffNS6_9null_typeES8_S8_S8_S8_S8_S8_S8_EEEEZNS1_34radix_sort_onesweep_global_offsetsIS3_Lb0ENS6_6detail15normal_iteratorINS6_10device_ptrIjEEEENSD_INSE_IS9_EEEEjNS0_19identity_decomposerEEE10hipError_tT1_T2_PT3_SN_jT4_jjP12ihipStream_tbEUlT_E0_NS1_11comp_targetILNS1_3genE4ELNS1_11target_archE910ELNS1_3gpuE8ELNS1_3repE0EEENS1_52radix_sort_onesweep_histogram_config_static_selectorELNS0_4arch9wavefront6targetE0EEEvSL_.num_vgpr, 0
	.set _ZN7rocprim17ROCPRIM_400000_NS6detail17trampoline_kernelINS0_14default_configENS1_35radix_sort_onesweep_config_selectorIjN6thrust23THRUST_200600_302600_NS5tupleIffNS6_9null_typeES8_S8_S8_S8_S8_S8_S8_EEEEZNS1_34radix_sort_onesweep_global_offsetsIS3_Lb0ENS6_6detail15normal_iteratorINS6_10device_ptrIjEEEENSD_INSE_IS9_EEEEjNS0_19identity_decomposerEEE10hipError_tT1_T2_PT3_SN_jT4_jjP12ihipStream_tbEUlT_E0_NS1_11comp_targetILNS1_3genE4ELNS1_11target_archE910ELNS1_3gpuE8ELNS1_3repE0EEENS1_52radix_sort_onesweep_histogram_config_static_selectorELNS0_4arch9wavefront6targetE0EEEvSL_.num_agpr, 0
	.set _ZN7rocprim17ROCPRIM_400000_NS6detail17trampoline_kernelINS0_14default_configENS1_35radix_sort_onesweep_config_selectorIjN6thrust23THRUST_200600_302600_NS5tupleIffNS6_9null_typeES8_S8_S8_S8_S8_S8_S8_EEEEZNS1_34radix_sort_onesweep_global_offsetsIS3_Lb0ENS6_6detail15normal_iteratorINS6_10device_ptrIjEEEENSD_INSE_IS9_EEEEjNS0_19identity_decomposerEEE10hipError_tT1_T2_PT3_SN_jT4_jjP12ihipStream_tbEUlT_E0_NS1_11comp_targetILNS1_3genE4ELNS1_11target_archE910ELNS1_3gpuE8ELNS1_3repE0EEENS1_52radix_sort_onesweep_histogram_config_static_selectorELNS0_4arch9wavefront6targetE0EEEvSL_.numbered_sgpr, 0
	.set _ZN7rocprim17ROCPRIM_400000_NS6detail17trampoline_kernelINS0_14default_configENS1_35radix_sort_onesweep_config_selectorIjN6thrust23THRUST_200600_302600_NS5tupleIffNS6_9null_typeES8_S8_S8_S8_S8_S8_S8_EEEEZNS1_34radix_sort_onesweep_global_offsetsIS3_Lb0ENS6_6detail15normal_iteratorINS6_10device_ptrIjEEEENSD_INSE_IS9_EEEEjNS0_19identity_decomposerEEE10hipError_tT1_T2_PT3_SN_jT4_jjP12ihipStream_tbEUlT_E0_NS1_11comp_targetILNS1_3genE4ELNS1_11target_archE910ELNS1_3gpuE8ELNS1_3repE0EEENS1_52radix_sort_onesweep_histogram_config_static_selectorELNS0_4arch9wavefront6targetE0EEEvSL_.num_named_barrier, 0
	.set _ZN7rocprim17ROCPRIM_400000_NS6detail17trampoline_kernelINS0_14default_configENS1_35radix_sort_onesweep_config_selectorIjN6thrust23THRUST_200600_302600_NS5tupleIffNS6_9null_typeES8_S8_S8_S8_S8_S8_S8_EEEEZNS1_34radix_sort_onesweep_global_offsetsIS3_Lb0ENS6_6detail15normal_iteratorINS6_10device_ptrIjEEEENSD_INSE_IS9_EEEEjNS0_19identity_decomposerEEE10hipError_tT1_T2_PT3_SN_jT4_jjP12ihipStream_tbEUlT_E0_NS1_11comp_targetILNS1_3genE4ELNS1_11target_archE910ELNS1_3gpuE8ELNS1_3repE0EEENS1_52radix_sort_onesweep_histogram_config_static_selectorELNS0_4arch9wavefront6targetE0EEEvSL_.private_seg_size, 0
	.set _ZN7rocprim17ROCPRIM_400000_NS6detail17trampoline_kernelINS0_14default_configENS1_35radix_sort_onesweep_config_selectorIjN6thrust23THRUST_200600_302600_NS5tupleIffNS6_9null_typeES8_S8_S8_S8_S8_S8_S8_EEEEZNS1_34radix_sort_onesweep_global_offsetsIS3_Lb0ENS6_6detail15normal_iteratorINS6_10device_ptrIjEEEENSD_INSE_IS9_EEEEjNS0_19identity_decomposerEEE10hipError_tT1_T2_PT3_SN_jT4_jjP12ihipStream_tbEUlT_E0_NS1_11comp_targetILNS1_3genE4ELNS1_11target_archE910ELNS1_3gpuE8ELNS1_3repE0EEENS1_52radix_sort_onesweep_histogram_config_static_selectorELNS0_4arch9wavefront6targetE0EEEvSL_.uses_vcc, 0
	.set _ZN7rocprim17ROCPRIM_400000_NS6detail17trampoline_kernelINS0_14default_configENS1_35radix_sort_onesweep_config_selectorIjN6thrust23THRUST_200600_302600_NS5tupleIffNS6_9null_typeES8_S8_S8_S8_S8_S8_S8_EEEEZNS1_34radix_sort_onesweep_global_offsetsIS3_Lb0ENS6_6detail15normal_iteratorINS6_10device_ptrIjEEEENSD_INSE_IS9_EEEEjNS0_19identity_decomposerEEE10hipError_tT1_T2_PT3_SN_jT4_jjP12ihipStream_tbEUlT_E0_NS1_11comp_targetILNS1_3genE4ELNS1_11target_archE910ELNS1_3gpuE8ELNS1_3repE0EEENS1_52radix_sort_onesweep_histogram_config_static_selectorELNS0_4arch9wavefront6targetE0EEEvSL_.uses_flat_scratch, 0
	.set _ZN7rocprim17ROCPRIM_400000_NS6detail17trampoline_kernelINS0_14default_configENS1_35radix_sort_onesweep_config_selectorIjN6thrust23THRUST_200600_302600_NS5tupleIffNS6_9null_typeES8_S8_S8_S8_S8_S8_S8_EEEEZNS1_34radix_sort_onesweep_global_offsetsIS3_Lb0ENS6_6detail15normal_iteratorINS6_10device_ptrIjEEEENSD_INSE_IS9_EEEEjNS0_19identity_decomposerEEE10hipError_tT1_T2_PT3_SN_jT4_jjP12ihipStream_tbEUlT_E0_NS1_11comp_targetILNS1_3genE4ELNS1_11target_archE910ELNS1_3gpuE8ELNS1_3repE0EEENS1_52radix_sort_onesweep_histogram_config_static_selectorELNS0_4arch9wavefront6targetE0EEEvSL_.has_dyn_sized_stack, 0
	.set _ZN7rocprim17ROCPRIM_400000_NS6detail17trampoline_kernelINS0_14default_configENS1_35radix_sort_onesweep_config_selectorIjN6thrust23THRUST_200600_302600_NS5tupleIffNS6_9null_typeES8_S8_S8_S8_S8_S8_S8_EEEEZNS1_34radix_sort_onesweep_global_offsetsIS3_Lb0ENS6_6detail15normal_iteratorINS6_10device_ptrIjEEEENSD_INSE_IS9_EEEEjNS0_19identity_decomposerEEE10hipError_tT1_T2_PT3_SN_jT4_jjP12ihipStream_tbEUlT_E0_NS1_11comp_targetILNS1_3genE4ELNS1_11target_archE910ELNS1_3gpuE8ELNS1_3repE0EEENS1_52radix_sort_onesweep_histogram_config_static_selectorELNS0_4arch9wavefront6targetE0EEEvSL_.has_recursion, 0
	.set _ZN7rocprim17ROCPRIM_400000_NS6detail17trampoline_kernelINS0_14default_configENS1_35radix_sort_onesweep_config_selectorIjN6thrust23THRUST_200600_302600_NS5tupleIffNS6_9null_typeES8_S8_S8_S8_S8_S8_S8_EEEEZNS1_34radix_sort_onesweep_global_offsetsIS3_Lb0ENS6_6detail15normal_iteratorINS6_10device_ptrIjEEEENSD_INSE_IS9_EEEEjNS0_19identity_decomposerEEE10hipError_tT1_T2_PT3_SN_jT4_jjP12ihipStream_tbEUlT_E0_NS1_11comp_targetILNS1_3genE4ELNS1_11target_archE910ELNS1_3gpuE8ELNS1_3repE0EEENS1_52radix_sort_onesweep_histogram_config_static_selectorELNS0_4arch9wavefront6targetE0EEEvSL_.has_indirect_call, 0
	.section	.AMDGPU.csdata,"",@progbits
; Kernel info:
; codeLenInByte = 0
; TotalNumSgprs: 0
; NumVgprs: 0
; ScratchSize: 0
; MemoryBound: 0
; FloatMode: 240
; IeeeMode: 1
; LDSByteSize: 0 bytes/workgroup (compile time only)
; SGPRBlocks: 0
; VGPRBlocks: 0
; NumSGPRsForWavesPerEU: 1
; NumVGPRsForWavesPerEU: 1
; Occupancy: 16
; WaveLimiterHint : 0
; COMPUTE_PGM_RSRC2:SCRATCH_EN: 0
; COMPUTE_PGM_RSRC2:USER_SGPR: 6
; COMPUTE_PGM_RSRC2:TRAP_HANDLER: 0
; COMPUTE_PGM_RSRC2:TGID_X_EN: 1
; COMPUTE_PGM_RSRC2:TGID_Y_EN: 0
; COMPUTE_PGM_RSRC2:TGID_Z_EN: 0
; COMPUTE_PGM_RSRC2:TIDIG_COMP_CNT: 0
	.section	.text._ZN7rocprim17ROCPRIM_400000_NS6detail17trampoline_kernelINS0_14default_configENS1_35radix_sort_onesweep_config_selectorIjN6thrust23THRUST_200600_302600_NS5tupleIffNS6_9null_typeES8_S8_S8_S8_S8_S8_S8_EEEEZNS1_34radix_sort_onesweep_global_offsetsIS3_Lb0ENS6_6detail15normal_iteratorINS6_10device_ptrIjEEEENSD_INSE_IS9_EEEEjNS0_19identity_decomposerEEE10hipError_tT1_T2_PT3_SN_jT4_jjP12ihipStream_tbEUlT_E0_NS1_11comp_targetILNS1_3genE3ELNS1_11target_archE908ELNS1_3gpuE7ELNS1_3repE0EEENS1_52radix_sort_onesweep_histogram_config_static_selectorELNS0_4arch9wavefront6targetE0EEEvSL_,"axG",@progbits,_ZN7rocprim17ROCPRIM_400000_NS6detail17trampoline_kernelINS0_14default_configENS1_35radix_sort_onesweep_config_selectorIjN6thrust23THRUST_200600_302600_NS5tupleIffNS6_9null_typeES8_S8_S8_S8_S8_S8_S8_EEEEZNS1_34radix_sort_onesweep_global_offsetsIS3_Lb0ENS6_6detail15normal_iteratorINS6_10device_ptrIjEEEENSD_INSE_IS9_EEEEjNS0_19identity_decomposerEEE10hipError_tT1_T2_PT3_SN_jT4_jjP12ihipStream_tbEUlT_E0_NS1_11comp_targetILNS1_3genE3ELNS1_11target_archE908ELNS1_3gpuE7ELNS1_3repE0EEENS1_52radix_sort_onesweep_histogram_config_static_selectorELNS0_4arch9wavefront6targetE0EEEvSL_,comdat
	.protected	_ZN7rocprim17ROCPRIM_400000_NS6detail17trampoline_kernelINS0_14default_configENS1_35radix_sort_onesweep_config_selectorIjN6thrust23THRUST_200600_302600_NS5tupleIffNS6_9null_typeES8_S8_S8_S8_S8_S8_S8_EEEEZNS1_34radix_sort_onesweep_global_offsetsIS3_Lb0ENS6_6detail15normal_iteratorINS6_10device_ptrIjEEEENSD_INSE_IS9_EEEEjNS0_19identity_decomposerEEE10hipError_tT1_T2_PT3_SN_jT4_jjP12ihipStream_tbEUlT_E0_NS1_11comp_targetILNS1_3genE3ELNS1_11target_archE908ELNS1_3gpuE7ELNS1_3repE0EEENS1_52radix_sort_onesweep_histogram_config_static_selectorELNS0_4arch9wavefront6targetE0EEEvSL_ ; -- Begin function _ZN7rocprim17ROCPRIM_400000_NS6detail17trampoline_kernelINS0_14default_configENS1_35radix_sort_onesweep_config_selectorIjN6thrust23THRUST_200600_302600_NS5tupleIffNS6_9null_typeES8_S8_S8_S8_S8_S8_S8_EEEEZNS1_34radix_sort_onesweep_global_offsetsIS3_Lb0ENS6_6detail15normal_iteratorINS6_10device_ptrIjEEEENSD_INSE_IS9_EEEEjNS0_19identity_decomposerEEE10hipError_tT1_T2_PT3_SN_jT4_jjP12ihipStream_tbEUlT_E0_NS1_11comp_targetILNS1_3genE3ELNS1_11target_archE908ELNS1_3gpuE7ELNS1_3repE0EEENS1_52radix_sort_onesweep_histogram_config_static_selectorELNS0_4arch9wavefront6targetE0EEEvSL_
	.globl	_ZN7rocprim17ROCPRIM_400000_NS6detail17trampoline_kernelINS0_14default_configENS1_35radix_sort_onesweep_config_selectorIjN6thrust23THRUST_200600_302600_NS5tupleIffNS6_9null_typeES8_S8_S8_S8_S8_S8_S8_EEEEZNS1_34radix_sort_onesweep_global_offsetsIS3_Lb0ENS6_6detail15normal_iteratorINS6_10device_ptrIjEEEENSD_INSE_IS9_EEEEjNS0_19identity_decomposerEEE10hipError_tT1_T2_PT3_SN_jT4_jjP12ihipStream_tbEUlT_E0_NS1_11comp_targetILNS1_3genE3ELNS1_11target_archE908ELNS1_3gpuE7ELNS1_3repE0EEENS1_52radix_sort_onesweep_histogram_config_static_selectorELNS0_4arch9wavefront6targetE0EEEvSL_
	.p2align	8
	.type	_ZN7rocprim17ROCPRIM_400000_NS6detail17trampoline_kernelINS0_14default_configENS1_35radix_sort_onesweep_config_selectorIjN6thrust23THRUST_200600_302600_NS5tupleIffNS6_9null_typeES8_S8_S8_S8_S8_S8_S8_EEEEZNS1_34radix_sort_onesweep_global_offsetsIS3_Lb0ENS6_6detail15normal_iteratorINS6_10device_ptrIjEEEENSD_INSE_IS9_EEEEjNS0_19identity_decomposerEEE10hipError_tT1_T2_PT3_SN_jT4_jjP12ihipStream_tbEUlT_E0_NS1_11comp_targetILNS1_3genE3ELNS1_11target_archE908ELNS1_3gpuE7ELNS1_3repE0EEENS1_52radix_sort_onesweep_histogram_config_static_selectorELNS0_4arch9wavefront6targetE0EEEvSL_,@function
_ZN7rocprim17ROCPRIM_400000_NS6detail17trampoline_kernelINS0_14default_configENS1_35radix_sort_onesweep_config_selectorIjN6thrust23THRUST_200600_302600_NS5tupleIffNS6_9null_typeES8_S8_S8_S8_S8_S8_S8_EEEEZNS1_34radix_sort_onesweep_global_offsetsIS3_Lb0ENS6_6detail15normal_iteratorINS6_10device_ptrIjEEEENSD_INSE_IS9_EEEEjNS0_19identity_decomposerEEE10hipError_tT1_T2_PT3_SN_jT4_jjP12ihipStream_tbEUlT_E0_NS1_11comp_targetILNS1_3genE3ELNS1_11target_archE908ELNS1_3gpuE7ELNS1_3repE0EEENS1_52radix_sort_onesweep_histogram_config_static_selectorELNS0_4arch9wavefront6targetE0EEEvSL_: ; @_ZN7rocprim17ROCPRIM_400000_NS6detail17trampoline_kernelINS0_14default_configENS1_35radix_sort_onesweep_config_selectorIjN6thrust23THRUST_200600_302600_NS5tupleIffNS6_9null_typeES8_S8_S8_S8_S8_S8_S8_EEEEZNS1_34radix_sort_onesweep_global_offsetsIS3_Lb0ENS6_6detail15normal_iteratorINS6_10device_ptrIjEEEENSD_INSE_IS9_EEEEjNS0_19identity_decomposerEEE10hipError_tT1_T2_PT3_SN_jT4_jjP12ihipStream_tbEUlT_E0_NS1_11comp_targetILNS1_3genE3ELNS1_11target_archE908ELNS1_3gpuE7ELNS1_3repE0EEENS1_52radix_sort_onesweep_histogram_config_static_selectorELNS0_4arch9wavefront6targetE0EEEvSL_
; %bb.0:
	.section	.rodata,"a",@progbits
	.p2align	6, 0x0
	.amdhsa_kernel _ZN7rocprim17ROCPRIM_400000_NS6detail17trampoline_kernelINS0_14default_configENS1_35radix_sort_onesweep_config_selectorIjN6thrust23THRUST_200600_302600_NS5tupleIffNS6_9null_typeES8_S8_S8_S8_S8_S8_S8_EEEEZNS1_34radix_sort_onesweep_global_offsetsIS3_Lb0ENS6_6detail15normal_iteratorINS6_10device_ptrIjEEEENSD_INSE_IS9_EEEEjNS0_19identity_decomposerEEE10hipError_tT1_T2_PT3_SN_jT4_jjP12ihipStream_tbEUlT_E0_NS1_11comp_targetILNS1_3genE3ELNS1_11target_archE908ELNS1_3gpuE7ELNS1_3repE0EEENS1_52radix_sort_onesweep_histogram_config_static_selectorELNS0_4arch9wavefront6targetE0EEEvSL_
		.amdhsa_group_segment_fixed_size 0
		.amdhsa_private_segment_fixed_size 0
		.amdhsa_kernarg_size 8
		.amdhsa_user_sgpr_count 6
		.amdhsa_user_sgpr_private_segment_buffer 1
		.amdhsa_user_sgpr_dispatch_ptr 0
		.amdhsa_user_sgpr_queue_ptr 0
		.amdhsa_user_sgpr_kernarg_segment_ptr 1
		.amdhsa_user_sgpr_dispatch_id 0
		.amdhsa_user_sgpr_flat_scratch_init 0
		.amdhsa_user_sgpr_private_segment_size 0
		.amdhsa_wavefront_size32 1
		.amdhsa_uses_dynamic_stack 0
		.amdhsa_system_sgpr_private_segment_wavefront_offset 0
		.amdhsa_system_sgpr_workgroup_id_x 1
		.amdhsa_system_sgpr_workgroup_id_y 0
		.amdhsa_system_sgpr_workgroup_id_z 0
		.amdhsa_system_sgpr_workgroup_info 0
		.amdhsa_system_vgpr_workitem_id 0
		.amdhsa_next_free_vgpr 1
		.amdhsa_next_free_sgpr 1
		.amdhsa_reserve_vcc 0
		.amdhsa_reserve_flat_scratch 0
		.amdhsa_float_round_mode_32 0
		.amdhsa_float_round_mode_16_64 0
		.amdhsa_float_denorm_mode_32 3
		.amdhsa_float_denorm_mode_16_64 3
		.amdhsa_dx10_clamp 1
		.amdhsa_ieee_mode 1
		.amdhsa_fp16_overflow 0
		.amdhsa_workgroup_processor_mode 1
		.amdhsa_memory_ordered 1
		.amdhsa_forward_progress 1
		.amdhsa_shared_vgpr_count 0
		.amdhsa_exception_fp_ieee_invalid_op 0
		.amdhsa_exception_fp_denorm_src 0
		.amdhsa_exception_fp_ieee_div_zero 0
		.amdhsa_exception_fp_ieee_overflow 0
		.amdhsa_exception_fp_ieee_underflow 0
		.amdhsa_exception_fp_ieee_inexact 0
		.amdhsa_exception_int_div_zero 0
	.end_amdhsa_kernel
	.section	.text._ZN7rocprim17ROCPRIM_400000_NS6detail17trampoline_kernelINS0_14default_configENS1_35radix_sort_onesweep_config_selectorIjN6thrust23THRUST_200600_302600_NS5tupleIffNS6_9null_typeES8_S8_S8_S8_S8_S8_S8_EEEEZNS1_34radix_sort_onesweep_global_offsetsIS3_Lb0ENS6_6detail15normal_iteratorINS6_10device_ptrIjEEEENSD_INSE_IS9_EEEEjNS0_19identity_decomposerEEE10hipError_tT1_T2_PT3_SN_jT4_jjP12ihipStream_tbEUlT_E0_NS1_11comp_targetILNS1_3genE3ELNS1_11target_archE908ELNS1_3gpuE7ELNS1_3repE0EEENS1_52radix_sort_onesweep_histogram_config_static_selectorELNS0_4arch9wavefront6targetE0EEEvSL_,"axG",@progbits,_ZN7rocprim17ROCPRIM_400000_NS6detail17trampoline_kernelINS0_14default_configENS1_35radix_sort_onesweep_config_selectorIjN6thrust23THRUST_200600_302600_NS5tupleIffNS6_9null_typeES8_S8_S8_S8_S8_S8_S8_EEEEZNS1_34radix_sort_onesweep_global_offsetsIS3_Lb0ENS6_6detail15normal_iteratorINS6_10device_ptrIjEEEENSD_INSE_IS9_EEEEjNS0_19identity_decomposerEEE10hipError_tT1_T2_PT3_SN_jT4_jjP12ihipStream_tbEUlT_E0_NS1_11comp_targetILNS1_3genE3ELNS1_11target_archE908ELNS1_3gpuE7ELNS1_3repE0EEENS1_52radix_sort_onesweep_histogram_config_static_selectorELNS0_4arch9wavefront6targetE0EEEvSL_,comdat
.Lfunc_end153:
	.size	_ZN7rocprim17ROCPRIM_400000_NS6detail17trampoline_kernelINS0_14default_configENS1_35radix_sort_onesweep_config_selectorIjN6thrust23THRUST_200600_302600_NS5tupleIffNS6_9null_typeES8_S8_S8_S8_S8_S8_S8_EEEEZNS1_34radix_sort_onesweep_global_offsetsIS3_Lb0ENS6_6detail15normal_iteratorINS6_10device_ptrIjEEEENSD_INSE_IS9_EEEEjNS0_19identity_decomposerEEE10hipError_tT1_T2_PT3_SN_jT4_jjP12ihipStream_tbEUlT_E0_NS1_11comp_targetILNS1_3genE3ELNS1_11target_archE908ELNS1_3gpuE7ELNS1_3repE0EEENS1_52radix_sort_onesweep_histogram_config_static_selectorELNS0_4arch9wavefront6targetE0EEEvSL_, .Lfunc_end153-_ZN7rocprim17ROCPRIM_400000_NS6detail17trampoline_kernelINS0_14default_configENS1_35radix_sort_onesweep_config_selectorIjN6thrust23THRUST_200600_302600_NS5tupleIffNS6_9null_typeES8_S8_S8_S8_S8_S8_S8_EEEEZNS1_34radix_sort_onesweep_global_offsetsIS3_Lb0ENS6_6detail15normal_iteratorINS6_10device_ptrIjEEEENSD_INSE_IS9_EEEEjNS0_19identity_decomposerEEE10hipError_tT1_T2_PT3_SN_jT4_jjP12ihipStream_tbEUlT_E0_NS1_11comp_targetILNS1_3genE3ELNS1_11target_archE908ELNS1_3gpuE7ELNS1_3repE0EEENS1_52radix_sort_onesweep_histogram_config_static_selectorELNS0_4arch9wavefront6targetE0EEEvSL_
                                        ; -- End function
	.set _ZN7rocprim17ROCPRIM_400000_NS6detail17trampoline_kernelINS0_14default_configENS1_35radix_sort_onesweep_config_selectorIjN6thrust23THRUST_200600_302600_NS5tupleIffNS6_9null_typeES8_S8_S8_S8_S8_S8_S8_EEEEZNS1_34radix_sort_onesweep_global_offsetsIS3_Lb0ENS6_6detail15normal_iteratorINS6_10device_ptrIjEEEENSD_INSE_IS9_EEEEjNS0_19identity_decomposerEEE10hipError_tT1_T2_PT3_SN_jT4_jjP12ihipStream_tbEUlT_E0_NS1_11comp_targetILNS1_3genE3ELNS1_11target_archE908ELNS1_3gpuE7ELNS1_3repE0EEENS1_52radix_sort_onesweep_histogram_config_static_selectorELNS0_4arch9wavefront6targetE0EEEvSL_.num_vgpr, 0
	.set _ZN7rocprim17ROCPRIM_400000_NS6detail17trampoline_kernelINS0_14default_configENS1_35radix_sort_onesweep_config_selectorIjN6thrust23THRUST_200600_302600_NS5tupleIffNS6_9null_typeES8_S8_S8_S8_S8_S8_S8_EEEEZNS1_34radix_sort_onesweep_global_offsetsIS3_Lb0ENS6_6detail15normal_iteratorINS6_10device_ptrIjEEEENSD_INSE_IS9_EEEEjNS0_19identity_decomposerEEE10hipError_tT1_T2_PT3_SN_jT4_jjP12ihipStream_tbEUlT_E0_NS1_11comp_targetILNS1_3genE3ELNS1_11target_archE908ELNS1_3gpuE7ELNS1_3repE0EEENS1_52radix_sort_onesweep_histogram_config_static_selectorELNS0_4arch9wavefront6targetE0EEEvSL_.num_agpr, 0
	.set _ZN7rocprim17ROCPRIM_400000_NS6detail17trampoline_kernelINS0_14default_configENS1_35radix_sort_onesweep_config_selectorIjN6thrust23THRUST_200600_302600_NS5tupleIffNS6_9null_typeES8_S8_S8_S8_S8_S8_S8_EEEEZNS1_34radix_sort_onesweep_global_offsetsIS3_Lb0ENS6_6detail15normal_iteratorINS6_10device_ptrIjEEEENSD_INSE_IS9_EEEEjNS0_19identity_decomposerEEE10hipError_tT1_T2_PT3_SN_jT4_jjP12ihipStream_tbEUlT_E0_NS1_11comp_targetILNS1_3genE3ELNS1_11target_archE908ELNS1_3gpuE7ELNS1_3repE0EEENS1_52radix_sort_onesweep_histogram_config_static_selectorELNS0_4arch9wavefront6targetE0EEEvSL_.numbered_sgpr, 0
	.set _ZN7rocprim17ROCPRIM_400000_NS6detail17trampoline_kernelINS0_14default_configENS1_35radix_sort_onesweep_config_selectorIjN6thrust23THRUST_200600_302600_NS5tupleIffNS6_9null_typeES8_S8_S8_S8_S8_S8_S8_EEEEZNS1_34radix_sort_onesweep_global_offsetsIS3_Lb0ENS6_6detail15normal_iteratorINS6_10device_ptrIjEEEENSD_INSE_IS9_EEEEjNS0_19identity_decomposerEEE10hipError_tT1_T2_PT3_SN_jT4_jjP12ihipStream_tbEUlT_E0_NS1_11comp_targetILNS1_3genE3ELNS1_11target_archE908ELNS1_3gpuE7ELNS1_3repE0EEENS1_52radix_sort_onesweep_histogram_config_static_selectorELNS0_4arch9wavefront6targetE0EEEvSL_.num_named_barrier, 0
	.set _ZN7rocprim17ROCPRIM_400000_NS6detail17trampoline_kernelINS0_14default_configENS1_35radix_sort_onesweep_config_selectorIjN6thrust23THRUST_200600_302600_NS5tupleIffNS6_9null_typeES8_S8_S8_S8_S8_S8_S8_EEEEZNS1_34radix_sort_onesweep_global_offsetsIS3_Lb0ENS6_6detail15normal_iteratorINS6_10device_ptrIjEEEENSD_INSE_IS9_EEEEjNS0_19identity_decomposerEEE10hipError_tT1_T2_PT3_SN_jT4_jjP12ihipStream_tbEUlT_E0_NS1_11comp_targetILNS1_3genE3ELNS1_11target_archE908ELNS1_3gpuE7ELNS1_3repE0EEENS1_52radix_sort_onesweep_histogram_config_static_selectorELNS0_4arch9wavefront6targetE0EEEvSL_.private_seg_size, 0
	.set _ZN7rocprim17ROCPRIM_400000_NS6detail17trampoline_kernelINS0_14default_configENS1_35radix_sort_onesweep_config_selectorIjN6thrust23THRUST_200600_302600_NS5tupleIffNS6_9null_typeES8_S8_S8_S8_S8_S8_S8_EEEEZNS1_34radix_sort_onesweep_global_offsetsIS3_Lb0ENS6_6detail15normal_iteratorINS6_10device_ptrIjEEEENSD_INSE_IS9_EEEEjNS0_19identity_decomposerEEE10hipError_tT1_T2_PT3_SN_jT4_jjP12ihipStream_tbEUlT_E0_NS1_11comp_targetILNS1_3genE3ELNS1_11target_archE908ELNS1_3gpuE7ELNS1_3repE0EEENS1_52radix_sort_onesweep_histogram_config_static_selectorELNS0_4arch9wavefront6targetE0EEEvSL_.uses_vcc, 0
	.set _ZN7rocprim17ROCPRIM_400000_NS6detail17trampoline_kernelINS0_14default_configENS1_35radix_sort_onesweep_config_selectorIjN6thrust23THRUST_200600_302600_NS5tupleIffNS6_9null_typeES8_S8_S8_S8_S8_S8_S8_EEEEZNS1_34radix_sort_onesweep_global_offsetsIS3_Lb0ENS6_6detail15normal_iteratorINS6_10device_ptrIjEEEENSD_INSE_IS9_EEEEjNS0_19identity_decomposerEEE10hipError_tT1_T2_PT3_SN_jT4_jjP12ihipStream_tbEUlT_E0_NS1_11comp_targetILNS1_3genE3ELNS1_11target_archE908ELNS1_3gpuE7ELNS1_3repE0EEENS1_52radix_sort_onesweep_histogram_config_static_selectorELNS0_4arch9wavefront6targetE0EEEvSL_.uses_flat_scratch, 0
	.set _ZN7rocprim17ROCPRIM_400000_NS6detail17trampoline_kernelINS0_14default_configENS1_35radix_sort_onesweep_config_selectorIjN6thrust23THRUST_200600_302600_NS5tupleIffNS6_9null_typeES8_S8_S8_S8_S8_S8_S8_EEEEZNS1_34radix_sort_onesweep_global_offsetsIS3_Lb0ENS6_6detail15normal_iteratorINS6_10device_ptrIjEEEENSD_INSE_IS9_EEEEjNS0_19identity_decomposerEEE10hipError_tT1_T2_PT3_SN_jT4_jjP12ihipStream_tbEUlT_E0_NS1_11comp_targetILNS1_3genE3ELNS1_11target_archE908ELNS1_3gpuE7ELNS1_3repE0EEENS1_52radix_sort_onesweep_histogram_config_static_selectorELNS0_4arch9wavefront6targetE0EEEvSL_.has_dyn_sized_stack, 0
	.set _ZN7rocprim17ROCPRIM_400000_NS6detail17trampoline_kernelINS0_14default_configENS1_35radix_sort_onesweep_config_selectorIjN6thrust23THRUST_200600_302600_NS5tupleIffNS6_9null_typeES8_S8_S8_S8_S8_S8_S8_EEEEZNS1_34radix_sort_onesweep_global_offsetsIS3_Lb0ENS6_6detail15normal_iteratorINS6_10device_ptrIjEEEENSD_INSE_IS9_EEEEjNS0_19identity_decomposerEEE10hipError_tT1_T2_PT3_SN_jT4_jjP12ihipStream_tbEUlT_E0_NS1_11comp_targetILNS1_3genE3ELNS1_11target_archE908ELNS1_3gpuE7ELNS1_3repE0EEENS1_52radix_sort_onesweep_histogram_config_static_selectorELNS0_4arch9wavefront6targetE0EEEvSL_.has_recursion, 0
	.set _ZN7rocprim17ROCPRIM_400000_NS6detail17trampoline_kernelINS0_14default_configENS1_35radix_sort_onesweep_config_selectorIjN6thrust23THRUST_200600_302600_NS5tupleIffNS6_9null_typeES8_S8_S8_S8_S8_S8_S8_EEEEZNS1_34radix_sort_onesweep_global_offsetsIS3_Lb0ENS6_6detail15normal_iteratorINS6_10device_ptrIjEEEENSD_INSE_IS9_EEEEjNS0_19identity_decomposerEEE10hipError_tT1_T2_PT3_SN_jT4_jjP12ihipStream_tbEUlT_E0_NS1_11comp_targetILNS1_3genE3ELNS1_11target_archE908ELNS1_3gpuE7ELNS1_3repE0EEENS1_52radix_sort_onesweep_histogram_config_static_selectorELNS0_4arch9wavefront6targetE0EEEvSL_.has_indirect_call, 0
	.section	.AMDGPU.csdata,"",@progbits
; Kernel info:
; codeLenInByte = 0
; TotalNumSgprs: 0
; NumVgprs: 0
; ScratchSize: 0
; MemoryBound: 0
; FloatMode: 240
; IeeeMode: 1
; LDSByteSize: 0 bytes/workgroup (compile time only)
; SGPRBlocks: 0
; VGPRBlocks: 0
; NumSGPRsForWavesPerEU: 1
; NumVGPRsForWavesPerEU: 1
; Occupancy: 16
; WaveLimiterHint : 0
; COMPUTE_PGM_RSRC2:SCRATCH_EN: 0
; COMPUTE_PGM_RSRC2:USER_SGPR: 6
; COMPUTE_PGM_RSRC2:TRAP_HANDLER: 0
; COMPUTE_PGM_RSRC2:TGID_X_EN: 1
; COMPUTE_PGM_RSRC2:TGID_Y_EN: 0
; COMPUTE_PGM_RSRC2:TGID_Z_EN: 0
; COMPUTE_PGM_RSRC2:TIDIG_COMP_CNT: 0
	.section	.text._ZN7rocprim17ROCPRIM_400000_NS6detail17trampoline_kernelINS0_14default_configENS1_35radix_sort_onesweep_config_selectorIjN6thrust23THRUST_200600_302600_NS5tupleIffNS6_9null_typeES8_S8_S8_S8_S8_S8_S8_EEEEZNS1_34radix_sort_onesweep_global_offsetsIS3_Lb0ENS6_6detail15normal_iteratorINS6_10device_ptrIjEEEENSD_INSE_IS9_EEEEjNS0_19identity_decomposerEEE10hipError_tT1_T2_PT3_SN_jT4_jjP12ihipStream_tbEUlT_E0_NS1_11comp_targetILNS1_3genE10ELNS1_11target_archE1201ELNS1_3gpuE5ELNS1_3repE0EEENS1_52radix_sort_onesweep_histogram_config_static_selectorELNS0_4arch9wavefront6targetE0EEEvSL_,"axG",@progbits,_ZN7rocprim17ROCPRIM_400000_NS6detail17trampoline_kernelINS0_14default_configENS1_35radix_sort_onesweep_config_selectorIjN6thrust23THRUST_200600_302600_NS5tupleIffNS6_9null_typeES8_S8_S8_S8_S8_S8_S8_EEEEZNS1_34radix_sort_onesweep_global_offsetsIS3_Lb0ENS6_6detail15normal_iteratorINS6_10device_ptrIjEEEENSD_INSE_IS9_EEEEjNS0_19identity_decomposerEEE10hipError_tT1_T2_PT3_SN_jT4_jjP12ihipStream_tbEUlT_E0_NS1_11comp_targetILNS1_3genE10ELNS1_11target_archE1201ELNS1_3gpuE5ELNS1_3repE0EEENS1_52radix_sort_onesweep_histogram_config_static_selectorELNS0_4arch9wavefront6targetE0EEEvSL_,comdat
	.protected	_ZN7rocprim17ROCPRIM_400000_NS6detail17trampoline_kernelINS0_14default_configENS1_35radix_sort_onesweep_config_selectorIjN6thrust23THRUST_200600_302600_NS5tupleIffNS6_9null_typeES8_S8_S8_S8_S8_S8_S8_EEEEZNS1_34radix_sort_onesweep_global_offsetsIS3_Lb0ENS6_6detail15normal_iteratorINS6_10device_ptrIjEEEENSD_INSE_IS9_EEEEjNS0_19identity_decomposerEEE10hipError_tT1_T2_PT3_SN_jT4_jjP12ihipStream_tbEUlT_E0_NS1_11comp_targetILNS1_3genE10ELNS1_11target_archE1201ELNS1_3gpuE5ELNS1_3repE0EEENS1_52radix_sort_onesweep_histogram_config_static_selectorELNS0_4arch9wavefront6targetE0EEEvSL_ ; -- Begin function _ZN7rocprim17ROCPRIM_400000_NS6detail17trampoline_kernelINS0_14default_configENS1_35radix_sort_onesweep_config_selectorIjN6thrust23THRUST_200600_302600_NS5tupleIffNS6_9null_typeES8_S8_S8_S8_S8_S8_S8_EEEEZNS1_34radix_sort_onesweep_global_offsetsIS3_Lb0ENS6_6detail15normal_iteratorINS6_10device_ptrIjEEEENSD_INSE_IS9_EEEEjNS0_19identity_decomposerEEE10hipError_tT1_T2_PT3_SN_jT4_jjP12ihipStream_tbEUlT_E0_NS1_11comp_targetILNS1_3genE10ELNS1_11target_archE1201ELNS1_3gpuE5ELNS1_3repE0EEENS1_52radix_sort_onesweep_histogram_config_static_selectorELNS0_4arch9wavefront6targetE0EEEvSL_
	.globl	_ZN7rocprim17ROCPRIM_400000_NS6detail17trampoline_kernelINS0_14default_configENS1_35radix_sort_onesweep_config_selectorIjN6thrust23THRUST_200600_302600_NS5tupleIffNS6_9null_typeES8_S8_S8_S8_S8_S8_S8_EEEEZNS1_34radix_sort_onesweep_global_offsetsIS3_Lb0ENS6_6detail15normal_iteratorINS6_10device_ptrIjEEEENSD_INSE_IS9_EEEEjNS0_19identity_decomposerEEE10hipError_tT1_T2_PT3_SN_jT4_jjP12ihipStream_tbEUlT_E0_NS1_11comp_targetILNS1_3genE10ELNS1_11target_archE1201ELNS1_3gpuE5ELNS1_3repE0EEENS1_52radix_sort_onesweep_histogram_config_static_selectorELNS0_4arch9wavefront6targetE0EEEvSL_
	.p2align	8
	.type	_ZN7rocprim17ROCPRIM_400000_NS6detail17trampoline_kernelINS0_14default_configENS1_35radix_sort_onesweep_config_selectorIjN6thrust23THRUST_200600_302600_NS5tupleIffNS6_9null_typeES8_S8_S8_S8_S8_S8_S8_EEEEZNS1_34radix_sort_onesweep_global_offsetsIS3_Lb0ENS6_6detail15normal_iteratorINS6_10device_ptrIjEEEENSD_INSE_IS9_EEEEjNS0_19identity_decomposerEEE10hipError_tT1_T2_PT3_SN_jT4_jjP12ihipStream_tbEUlT_E0_NS1_11comp_targetILNS1_3genE10ELNS1_11target_archE1201ELNS1_3gpuE5ELNS1_3repE0EEENS1_52radix_sort_onesweep_histogram_config_static_selectorELNS0_4arch9wavefront6targetE0EEEvSL_,@function
_ZN7rocprim17ROCPRIM_400000_NS6detail17trampoline_kernelINS0_14default_configENS1_35radix_sort_onesweep_config_selectorIjN6thrust23THRUST_200600_302600_NS5tupleIffNS6_9null_typeES8_S8_S8_S8_S8_S8_S8_EEEEZNS1_34radix_sort_onesweep_global_offsetsIS3_Lb0ENS6_6detail15normal_iteratorINS6_10device_ptrIjEEEENSD_INSE_IS9_EEEEjNS0_19identity_decomposerEEE10hipError_tT1_T2_PT3_SN_jT4_jjP12ihipStream_tbEUlT_E0_NS1_11comp_targetILNS1_3genE10ELNS1_11target_archE1201ELNS1_3gpuE5ELNS1_3repE0EEENS1_52radix_sort_onesweep_histogram_config_static_selectorELNS0_4arch9wavefront6targetE0EEEvSL_: ; @_ZN7rocprim17ROCPRIM_400000_NS6detail17trampoline_kernelINS0_14default_configENS1_35radix_sort_onesweep_config_selectorIjN6thrust23THRUST_200600_302600_NS5tupleIffNS6_9null_typeES8_S8_S8_S8_S8_S8_S8_EEEEZNS1_34radix_sort_onesweep_global_offsetsIS3_Lb0ENS6_6detail15normal_iteratorINS6_10device_ptrIjEEEENSD_INSE_IS9_EEEEjNS0_19identity_decomposerEEE10hipError_tT1_T2_PT3_SN_jT4_jjP12ihipStream_tbEUlT_E0_NS1_11comp_targetILNS1_3genE10ELNS1_11target_archE1201ELNS1_3gpuE5ELNS1_3repE0EEENS1_52radix_sort_onesweep_histogram_config_static_selectorELNS0_4arch9wavefront6targetE0EEEvSL_
; %bb.0:
	.section	.rodata,"a",@progbits
	.p2align	6, 0x0
	.amdhsa_kernel _ZN7rocprim17ROCPRIM_400000_NS6detail17trampoline_kernelINS0_14default_configENS1_35radix_sort_onesweep_config_selectorIjN6thrust23THRUST_200600_302600_NS5tupleIffNS6_9null_typeES8_S8_S8_S8_S8_S8_S8_EEEEZNS1_34radix_sort_onesweep_global_offsetsIS3_Lb0ENS6_6detail15normal_iteratorINS6_10device_ptrIjEEEENSD_INSE_IS9_EEEEjNS0_19identity_decomposerEEE10hipError_tT1_T2_PT3_SN_jT4_jjP12ihipStream_tbEUlT_E0_NS1_11comp_targetILNS1_3genE10ELNS1_11target_archE1201ELNS1_3gpuE5ELNS1_3repE0EEENS1_52radix_sort_onesweep_histogram_config_static_selectorELNS0_4arch9wavefront6targetE0EEEvSL_
		.amdhsa_group_segment_fixed_size 0
		.amdhsa_private_segment_fixed_size 0
		.amdhsa_kernarg_size 8
		.amdhsa_user_sgpr_count 6
		.amdhsa_user_sgpr_private_segment_buffer 1
		.amdhsa_user_sgpr_dispatch_ptr 0
		.amdhsa_user_sgpr_queue_ptr 0
		.amdhsa_user_sgpr_kernarg_segment_ptr 1
		.amdhsa_user_sgpr_dispatch_id 0
		.amdhsa_user_sgpr_flat_scratch_init 0
		.amdhsa_user_sgpr_private_segment_size 0
		.amdhsa_wavefront_size32 1
		.amdhsa_uses_dynamic_stack 0
		.amdhsa_system_sgpr_private_segment_wavefront_offset 0
		.amdhsa_system_sgpr_workgroup_id_x 1
		.amdhsa_system_sgpr_workgroup_id_y 0
		.amdhsa_system_sgpr_workgroup_id_z 0
		.amdhsa_system_sgpr_workgroup_info 0
		.amdhsa_system_vgpr_workitem_id 0
		.amdhsa_next_free_vgpr 1
		.amdhsa_next_free_sgpr 1
		.amdhsa_reserve_vcc 0
		.amdhsa_reserve_flat_scratch 0
		.amdhsa_float_round_mode_32 0
		.amdhsa_float_round_mode_16_64 0
		.amdhsa_float_denorm_mode_32 3
		.amdhsa_float_denorm_mode_16_64 3
		.amdhsa_dx10_clamp 1
		.amdhsa_ieee_mode 1
		.amdhsa_fp16_overflow 0
		.amdhsa_workgroup_processor_mode 1
		.amdhsa_memory_ordered 1
		.amdhsa_forward_progress 1
		.amdhsa_shared_vgpr_count 0
		.amdhsa_exception_fp_ieee_invalid_op 0
		.amdhsa_exception_fp_denorm_src 0
		.amdhsa_exception_fp_ieee_div_zero 0
		.amdhsa_exception_fp_ieee_overflow 0
		.amdhsa_exception_fp_ieee_underflow 0
		.amdhsa_exception_fp_ieee_inexact 0
		.amdhsa_exception_int_div_zero 0
	.end_amdhsa_kernel
	.section	.text._ZN7rocprim17ROCPRIM_400000_NS6detail17trampoline_kernelINS0_14default_configENS1_35radix_sort_onesweep_config_selectorIjN6thrust23THRUST_200600_302600_NS5tupleIffNS6_9null_typeES8_S8_S8_S8_S8_S8_S8_EEEEZNS1_34radix_sort_onesweep_global_offsetsIS3_Lb0ENS6_6detail15normal_iteratorINS6_10device_ptrIjEEEENSD_INSE_IS9_EEEEjNS0_19identity_decomposerEEE10hipError_tT1_T2_PT3_SN_jT4_jjP12ihipStream_tbEUlT_E0_NS1_11comp_targetILNS1_3genE10ELNS1_11target_archE1201ELNS1_3gpuE5ELNS1_3repE0EEENS1_52radix_sort_onesweep_histogram_config_static_selectorELNS0_4arch9wavefront6targetE0EEEvSL_,"axG",@progbits,_ZN7rocprim17ROCPRIM_400000_NS6detail17trampoline_kernelINS0_14default_configENS1_35radix_sort_onesweep_config_selectorIjN6thrust23THRUST_200600_302600_NS5tupleIffNS6_9null_typeES8_S8_S8_S8_S8_S8_S8_EEEEZNS1_34radix_sort_onesweep_global_offsetsIS3_Lb0ENS6_6detail15normal_iteratorINS6_10device_ptrIjEEEENSD_INSE_IS9_EEEEjNS0_19identity_decomposerEEE10hipError_tT1_T2_PT3_SN_jT4_jjP12ihipStream_tbEUlT_E0_NS1_11comp_targetILNS1_3genE10ELNS1_11target_archE1201ELNS1_3gpuE5ELNS1_3repE0EEENS1_52radix_sort_onesweep_histogram_config_static_selectorELNS0_4arch9wavefront6targetE0EEEvSL_,comdat
.Lfunc_end154:
	.size	_ZN7rocprim17ROCPRIM_400000_NS6detail17trampoline_kernelINS0_14default_configENS1_35radix_sort_onesweep_config_selectorIjN6thrust23THRUST_200600_302600_NS5tupleIffNS6_9null_typeES8_S8_S8_S8_S8_S8_S8_EEEEZNS1_34radix_sort_onesweep_global_offsetsIS3_Lb0ENS6_6detail15normal_iteratorINS6_10device_ptrIjEEEENSD_INSE_IS9_EEEEjNS0_19identity_decomposerEEE10hipError_tT1_T2_PT3_SN_jT4_jjP12ihipStream_tbEUlT_E0_NS1_11comp_targetILNS1_3genE10ELNS1_11target_archE1201ELNS1_3gpuE5ELNS1_3repE0EEENS1_52radix_sort_onesweep_histogram_config_static_selectorELNS0_4arch9wavefront6targetE0EEEvSL_, .Lfunc_end154-_ZN7rocprim17ROCPRIM_400000_NS6detail17trampoline_kernelINS0_14default_configENS1_35radix_sort_onesweep_config_selectorIjN6thrust23THRUST_200600_302600_NS5tupleIffNS6_9null_typeES8_S8_S8_S8_S8_S8_S8_EEEEZNS1_34radix_sort_onesweep_global_offsetsIS3_Lb0ENS6_6detail15normal_iteratorINS6_10device_ptrIjEEEENSD_INSE_IS9_EEEEjNS0_19identity_decomposerEEE10hipError_tT1_T2_PT3_SN_jT4_jjP12ihipStream_tbEUlT_E0_NS1_11comp_targetILNS1_3genE10ELNS1_11target_archE1201ELNS1_3gpuE5ELNS1_3repE0EEENS1_52radix_sort_onesweep_histogram_config_static_selectorELNS0_4arch9wavefront6targetE0EEEvSL_
                                        ; -- End function
	.set _ZN7rocprim17ROCPRIM_400000_NS6detail17trampoline_kernelINS0_14default_configENS1_35radix_sort_onesweep_config_selectorIjN6thrust23THRUST_200600_302600_NS5tupleIffNS6_9null_typeES8_S8_S8_S8_S8_S8_S8_EEEEZNS1_34radix_sort_onesweep_global_offsetsIS3_Lb0ENS6_6detail15normal_iteratorINS6_10device_ptrIjEEEENSD_INSE_IS9_EEEEjNS0_19identity_decomposerEEE10hipError_tT1_T2_PT3_SN_jT4_jjP12ihipStream_tbEUlT_E0_NS1_11comp_targetILNS1_3genE10ELNS1_11target_archE1201ELNS1_3gpuE5ELNS1_3repE0EEENS1_52radix_sort_onesweep_histogram_config_static_selectorELNS0_4arch9wavefront6targetE0EEEvSL_.num_vgpr, 0
	.set _ZN7rocprim17ROCPRIM_400000_NS6detail17trampoline_kernelINS0_14default_configENS1_35radix_sort_onesweep_config_selectorIjN6thrust23THRUST_200600_302600_NS5tupleIffNS6_9null_typeES8_S8_S8_S8_S8_S8_S8_EEEEZNS1_34radix_sort_onesweep_global_offsetsIS3_Lb0ENS6_6detail15normal_iteratorINS6_10device_ptrIjEEEENSD_INSE_IS9_EEEEjNS0_19identity_decomposerEEE10hipError_tT1_T2_PT3_SN_jT4_jjP12ihipStream_tbEUlT_E0_NS1_11comp_targetILNS1_3genE10ELNS1_11target_archE1201ELNS1_3gpuE5ELNS1_3repE0EEENS1_52radix_sort_onesweep_histogram_config_static_selectorELNS0_4arch9wavefront6targetE0EEEvSL_.num_agpr, 0
	.set _ZN7rocprim17ROCPRIM_400000_NS6detail17trampoline_kernelINS0_14default_configENS1_35radix_sort_onesweep_config_selectorIjN6thrust23THRUST_200600_302600_NS5tupleIffNS6_9null_typeES8_S8_S8_S8_S8_S8_S8_EEEEZNS1_34radix_sort_onesweep_global_offsetsIS3_Lb0ENS6_6detail15normal_iteratorINS6_10device_ptrIjEEEENSD_INSE_IS9_EEEEjNS0_19identity_decomposerEEE10hipError_tT1_T2_PT3_SN_jT4_jjP12ihipStream_tbEUlT_E0_NS1_11comp_targetILNS1_3genE10ELNS1_11target_archE1201ELNS1_3gpuE5ELNS1_3repE0EEENS1_52radix_sort_onesweep_histogram_config_static_selectorELNS0_4arch9wavefront6targetE0EEEvSL_.numbered_sgpr, 0
	.set _ZN7rocprim17ROCPRIM_400000_NS6detail17trampoline_kernelINS0_14default_configENS1_35radix_sort_onesweep_config_selectorIjN6thrust23THRUST_200600_302600_NS5tupleIffNS6_9null_typeES8_S8_S8_S8_S8_S8_S8_EEEEZNS1_34radix_sort_onesweep_global_offsetsIS3_Lb0ENS6_6detail15normal_iteratorINS6_10device_ptrIjEEEENSD_INSE_IS9_EEEEjNS0_19identity_decomposerEEE10hipError_tT1_T2_PT3_SN_jT4_jjP12ihipStream_tbEUlT_E0_NS1_11comp_targetILNS1_3genE10ELNS1_11target_archE1201ELNS1_3gpuE5ELNS1_3repE0EEENS1_52radix_sort_onesweep_histogram_config_static_selectorELNS0_4arch9wavefront6targetE0EEEvSL_.num_named_barrier, 0
	.set _ZN7rocprim17ROCPRIM_400000_NS6detail17trampoline_kernelINS0_14default_configENS1_35radix_sort_onesweep_config_selectorIjN6thrust23THRUST_200600_302600_NS5tupleIffNS6_9null_typeES8_S8_S8_S8_S8_S8_S8_EEEEZNS1_34radix_sort_onesweep_global_offsetsIS3_Lb0ENS6_6detail15normal_iteratorINS6_10device_ptrIjEEEENSD_INSE_IS9_EEEEjNS0_19identity_decomposerEEE10hipError_tT1_T2_PT3_SN_jT4_jjP12ihipStream_tbEUlT_E0_NS1_11comp_targetILNS1_3genE10ELNS1_11target_archE1201ELNS1_3gpuE5ELNS1_3repE0EEENS1_52radix_sort_onesweep_histogram_config_static_selectorELNS0_4arch9wavefront6targetE0EEEvSL_.private_seg_size, 0
	.set _ZN7rocprim17ROCPRIM_400000_NS6detail17trampoline_kernelINS0_14default_configENS1_35radix_sort_onesweep_config_selectorIjN6thrust23THRUST_200600_302600_NS5tupleIffNS6_9null_typeES8_S8_S8_S8_S8_S8_S8_EEEEZNS1_34radix_sort_onesweep_global_offsetsIS3_Lb0ENS6_6detail15normal_iteratorINS6_10device_ptrIjEEEENSD_INSE_IS9_EEEEjNS0_19identity_decomposerEEE10hipError_tT1_T2_PT3_SN_jT4_jjP12ihipStream_tbEUlT_E0_NS1_11comp_targetILNS1_3genE10ELNS1_11target_archE1201ELNS1_3gpuE5ELNS1_3repE0EEENS1_52radix_sort_onesweep_histogram_config_static_selectorELNS0_4arch9wavefront6targetE0EEEvSL_.uses_vcc, 0
	.set _ZN7rocprim17ROCPRIM_400000_NS6detail17trampoline_kernelINS0_14default_configENS1_35radix_sort_onesweep_config_selectorIjN6thrust23THRUST_200600_302600_NS5tupleIffNS6_9null_typeES8_S8_S8_S8_S8_S8_S8_EEEEZNS1_34radix_sort_onesweep_global_offsetsIS3_Lb0ENS6_6detail15normal_iteratorINS6_10device_ptrIjEEEENSD_INSE_IS9_EEEEjNS0_19identity_decomposerEEE10hipError_tT1_T2_PT3_SN_jT4_jjP12ihipStream_tbEUlT_E0_NS1_11comp_targetILNS1_3genE10ELNS1_11target_archE1201ELNS1_3gpuE5ELNS1_3repE0EEENS1_52radix_sort_onesweep_histogram_config_static_selectorELNS0_4arch9wavefront6targetE0EEEvSL_.uses_flat_scratch, 0
	.set _ZN7rocprim17ROCPRIM_400000_NS6detail17trampoline_kernelINS0_14default_configENS1_35radix_sort_onesweep_config_selectorIjN6thrust23THRUST_200600_302600_NS5tupleIffNS6_9null_typeES8_S8_S8_S8_S8_S8_S8_EEEEZNS1_34radix_sort_onesweep_global_offsetsIS3_Lb0ENS6_6detail15normal_iteratorINS6_10device_ptrIjEEEENSD_INSE_IS9_EEEEjNS0_19identity_decomposerEEE10hipError_tT1_T2_PT3_SN_jT4_jjP12ihipStream_tbEUlT_E0_NS1_11comp_targetILNS1_3genE10ELNS1_11target_archE1201ELNS1_3gpuE5ELNS1_3repE0EEENS1_52radix_sort_onesweep_histogram_config_static_selectorELNS0_4arch9wavefront6targetE0EEEvSL_.has_dyn_sized_stack, 0
	.set _ZN7rocprim17ROCPRIM_400000_NS6detail17trampoline_kernelINS0_14default_configENS1_35radix_sort_onesweep_config_selectorIjN6thrust23THRUST_200600_302600_NS5tupleIffNS6_9null_typeES8_S8_S8_S8_S8_S8_S8_EEEEZNS1_34radix_sort_onesweep_global_offsetsIS3_Lb0ENS6_6detail15normal_iteratorINS6_10device_ptrIjEEEENSD_INSE_IS9_EEEEjNS0_19identity_decomposerEEE10hipError_tT1_T2_PT3_SN_jT4_jjP12ihipStream_tbEUlT_E0_NS1_11comp_targetILNS1_3genE10ELNS1_11target_archE1201ELNS1_3gpuE5ELNS1_3repE0EEENS1_52radix_sort_onesweep_histogram_config_static_selectorELNS0_4arch9wavefront6targetE0EEEvSL_.has_recursion, 0
	.set _ZN7rocprim17ROCPRIM_400000_NS6detail17trampoline_kernelINS0_14default_configENS1_35radix_sort_onesweep_config_selectorIjN6thrust23THRUST_200600_302600_NS5tupleIffNS6_9null_typeES8_S8_S8_S8_S8_S8_S8_EEEEZNS1_34radix_sort_onesweep_global_offsetsIS3_Lb0ENS6_6detail15normal_iteratorINS6_10device_ptrIjEEEENSD_INSE_IS9_EEEEjNS0_19identity_decomposerEEE10hipError_tT1_T2_PT3_SN_jT4_jjP12ihipStream_tbEUlT_E0_NS1_11comp_targetILNS1_3genE10ELNS1_11target_archE1201ELNS1_3gpuE5ELNS1_3repE0EEENS1_52radix_sort_onesweep_histogram_config_static_selectorELNS0_4arch9wavefront6targetE0EEEvSL_.has_indirect_call, 0
	.section	.AMDGPU.csdata,"",@progbits
; Kernel info:
; codeLenInByte = 0
; TotalNumSgprs: 0
; NumVgprs: 0
; ScratchSize: 0
; MemoryBound: 0
; FloatMode: 240
; IeeeMode: 1
; LDSByteSize: 0 bytes/workgroup (compile time only)
; SGPRBlocks: 0
; VGPRBlocks: 0
; NumSGPRsForWavesPerEU: 1
; NumVGPRsForWavesPerEU: 1
; Occupancy: 16
; WaveLimiterHint : 0
; COMPUTE_PGM_RSRC2:SCRATCH_EN: 0
; COMPUTE_PGM_RSRC2:USER_SGPR: 6
; COMPUTE_PGM_RSRC2:TRAP_HANDLER: 0
; COMPUTE_PGM_RSRC2:TGID_X_EN: 1
; COMPUTE_PGM_RSRC2:TGID_Y_EN: 0
; COMPUTE_PGM_RSRC2:TGID_Z_EN: 0
; COMPUTE_PGM_RSRC2:TIDIG_COMP_CNT: 0
	.section	.text._ZN7rocprim17ROCPRIM_400000_NS6detail17trampoline_kernelINS0_14default_configENS1_35radix_sort_onesweep_config_selectorIjN6thrust23THRUST_200600_302600_NS5tupleIffNS6_9null_typeES8_S8_S8_S8_S8_S8_S8_EEEEZNS1_34radix_sort_onesweep_global_offsetsIS3_Lb0ENS6_6detail15normal_iteratorINS6_10device_ptrIjEEEENSD_INSE_IS9_EEEEjNS0_19identity_decomposerEEE10hipError_tT1_T2_PT3_SN_jT4_jjP12ihipStream_tbEUlT_E0_NS1_11comp_targetILNS1_3genE9ELNS1_11target_archE1100ELNS1_3gpuE3ELNS1_3repE0EEENS1_52radix_sort_onesweep_histogram_config_static_selectorELNS0_4arch9wavefront6targetE0EEEvSL_,"axG",@progbits,_ZN7rocprim17ROCPRIM_400000_NS6detail17trampoline_kernelINS0_14default_configENS1_35radix_sort_onesweep_config_selectorIjN6thrust23THRUST_200600_302600_NS5tupleIffNS6_9null_typeES8_S8_S8_S8_S8_S8_S8_EEEEZNS1_34radix_sort_onesweep_global_offsetsIS3_Lb0ENS6_6detail15normal_iteratorINS6_10device_ptrIjEEEENSD_INSE_IS9_EEEEjNS0_19identity_decomposerEEE10hipError_tT1_T2_PT3_SN_jT4_jjP12ihipStream_tbEUlT_E0_NS1_11comp_targetILNS1_3genE9ELNS1_11target_archE1100ELNS1_3gpuE3ELNS1_3repE0EEENS1_52radix_sort_onesweep_histogram_config_static_selectorELNS0_4arch9wavefront6targetE0EEEvSL_,comdat
	.protected	_ZN7rocprim17ROCPRIM_400000_NS6detail17trampoline_kernelINS0_14default_configENS1_35radix_sort_onesweep_config_selectorIjN6thrust23THRUST_200600_302600_NS5tupleIffNS6_9null_typeES8_S8_S8_S8_S8_S8_S8_EEEEZNS1_34radix_sort_onesweep_global_offsetsIS3_Lb0ENS6_6detail15normal_iteratorINS6_10device_ptrIjEEEENSD_INSE_IS9_EEEEjNS0_19identity_decomposerEEE10hipError_tT1_T2_PT3_SN_jT4_jjP12ihipStream_tbEUlT_E0_NS1_11comp_targetILNS1_3genE9ELNS1_11target_archE1100ELNS1_3gpuE3ELNS1_3repE0EEENS1_52radix_sort_onesweep_histogram_config_static_selectorELNS0_4arch9wavefront6targetE0EEEvSL_ ; -- Begin function _ZN7rocprim17ROCPRIM_400000_NS6detail17trampoline_kernelINS0_14default_configENS1_35radix_sort_onesweep_config_selectorIjN6thrust23THRUST_200600_302600_NS5tupleIffNS6_9null_typeES8_S8_S8_S8_S8_S8_S8_EEEEZNS1_34radix_sort_onesweep_global_offsetsIS3_Lb0ENS6_6detail15normal_iteratorINS6_10device_ptrIjEEEENSD_INSE_IS9_EEEEjNS0_19identity_decomposerEEE10hipError_tT1_T2_PT3_SN_jT4_jjP12ihipStream_tbEUlT_E0_NS1_11comp_targetILNS1_3genE9ELNS1_11target_archE1100ELNS1_3gpuE3ELNS1_3repE0EEENS1_52radix_sort_onesweep_histogram_config_static_selectorELNS0_4arch9wavefront6targetE0EEEvSL_
	.globl	_ZN7rocprim17ROCPRIM_400000_NS6detail17trampoline_kernelINS0_14default_configENS1_35radix_sort_onesweep_config_selectorIjN6thrust23THRUST_200600_302600_NS5tupleIffNS6_9null_typeES8_S8_S8_S8_S8_S8_S8_EEEEZNS1_34radix_sort_onesweep_global_offsetsIS3_Lb0ENS6_6detail15normal_iteratorINS6_10device_ptrIjEEEENSD_INSE_IS9_EEEEjNS0_19identity_decomposerEEE10hipError_tT1_T2_PT3_SN_jT4_jjP12ihipStream_tbEUlT_E0_NS1_11comp_targetILNS1_3genE9ELNS1_11target_archE1100ELNS1_3gpuE3ELNS1_3repE0EEENS1_52radix_sort_onesweep_histogram_config_static_selectorELNS0_4arch9wavefront6targetE0EEEvSL_
	.p2align	8
	.type	_ZN7rocprim17ROCPRIM_400000_NS6detail17trampoline_kernelINS0_14default_configENS1_35radix_sort_onesweep_config_selectorIjN6thrust23THRUST_200600_302600_NS5tupleIffNS6_9null_typeES8_S8_S8_S8_S8_S8_S8_EEEEZNS1_34radix_sort_onesweep_global_offsetsIS3_Lb0ENS6_6detail15normal_iteratorINS6_10device_ptrIjEEEENSD_INSE_IS9_EEEEjNS0_19identity_decomposerEEE10hipError_tT1_T2_PT3_SN_jT4_jjP12ihipStream_tbEUlT_E0_NS1_11comp_targetILNS1_3genE9ELNS1_11target_archE1100ELNS1_3gpuE3ELNS1_3repE0EEENS1_52radix_sort_onesweep_histogram_config_static_selectorELNS0_4arch9wavefront6targetE0EEEvSL_,@function
_ZN7rocprim17ROCPRIM_400000_NS6detail17trampoline_kernelINS0_14default_configENS1_35radix_sort_onesweep_config_selectorIjN6thrust23THRUST_200600_302600_NS5tupleIffNS6_9null_typeES8_S8_S8_S8_S8_S8_S8_EEEEZNS1_34radix_sort_onesweep_global_offsetsIS3_Lb0ENS6_6detail15normal_iteratorINS6_10device_ptrIjEEEENSD_INSE_IS9_EEEEjNS0_19identity_decomposerEEE10hipError_tT1_T2_PT3_SN_jT4_jjP12ihipStream_tbEUlT_E0_NS1_11comp_targetILNS1_3genE9ELNS1_11target_archE1100ELNS1_3gpuE3ELNS1_3repE0EEENS1_52radix_sort_onesweep_histogram_config_static_selectorELNS0_4arch9wavefront6targetE0EEEvSL_: ; @_ZN7rocprim17ROCPRIM_400000_NS6detail17trampoline_kernelINS0_14default_configENS1_35radix_sort_onesweep_config_selectorIjN6thrust23THRUST_200600_302600_NS5tupleIffNS6_9null_typeES8_S8_S8_S8_S8_S8_S8_EEEEZNS1_34radix_sort_onesweep_global_offsetsIS3_Lb0ENS6_6detail15normal_iteratorINS6_10device_ptrIjEEEENSD_INSE_IS9_EEEEjNS0_19identity_decomposerEEE10hipError_tT1_T2_PT3_SN_jT4_jjP12ihipStream_tbEUlT_E0_NS1_11comp_targetILNS1_3genE9ELNS1_11target_archE1100ELNS1_3gpuE3ELNS1_3repE0EEENS1_52radix_sort_onesweep_histogram_config_static_selectorELNS0_4arch9wavefront6targetE0EEEvSL_
; %bb.0:
	.section	.rodata,"a",@progbits
	.p2align	6, 0x0
	.amdhsa_kernel _ZN7rocprim17ROCPRIM_400000_NS6detail17trampoline_kernelINS0_14default_configENS1_35radix_sort_onesweep_config_selectorIjN6thrust23THRUST_200600_302600_NS5tupleIffNS6_9null_typeES8_S8_S8_S8_S8_S8_S8_EEEEZNS1_34radix_sort_onesweep_global_offsetsIS3_Lb0ENS6_6detail15normal_iteratorINS6_10device_ptrIjEEEENSD_INSE_IS9_EEEEjNS0_19identity_decomposerEEE10hipError_tT1_T2_PT3_SN_jT4_jjP12ihipStream_tbEUlT_E0_NS1_11comp_targetILNS1_3genE9ELNS1_11target_archE1100ELNS1_3gpuE3ELNS1_3repE0EEENS1_52radix_sort_onesweep_histogram_config_static_selectorELNS0_4arch9wavefront6targetE0EEEvSL_
		.amdhsa_group_segment_fixed_size 0
		.amdhsa_private_segment_fixed_size 0
		.amdhsa_kernarg_size 8
		.amdhsa_user_sgpr_count 6
		.amdhsa_user_sgpr_private_segment_buffer 1
		.amdhsa_user_sgpr_dispatch_ptr 0
		.amdhsa_user_sgpr_queue_ptr 0
		.amdhsa_user_sgpr_kernarg_segment_ptr 1
		.amdhsa_user_sgpr_dispatch_id 0
		.amdhsa_user_sgpr_flat_scratch_init 0
		.amdhsa_user_sgpr_private_segment_size 0
		.amdhsa_wavefront_size32 1
		.amdhsa_uses_dynamic_stack 0
		.amdhsa_system_sgpr_private_segment_wavefront_offset 0
		.amdhsa_system_sgpr_workgroup_id_x 1
		.amdhsa_system_sgpr_workgroup_id_y 0
		.amdhsa_system_sgpr_workgroup_id_z 0
		.amdhsa_system_sgpr_workgroup_info 0
		.amdhsa_system_vgpr_workitem_id 0
		.amdhsa_next_free_vgpr 1
		.amdhsa_next_free_sgpr 1
		.amdhsa_reserve_vcc 0
		.amdhsa_reserve_flat_scratch 0
		.amdhsa_float_round_mode_32 0
		.amdhsa_float_round_mode_16_64 0
		.amdhsa_float_denorm_mode_32 3
		.amdhsa_float_denorm_mode_16_64 3
		.amdhsa_dx10_clamp 1
		.amdhsa_ieee_mode 1
		.amdhsa_fp16_overflow 0
		.amdhsa_workgroup_processor_mode 1
		.amdhsa_memory_ordered 1
		.amdhsa_forward_progress 1
		.amdhsa_shared_vgpr_count 0
		.amdhsa_exception_fp_ieee_invalid_op 0
		.amdhsa_exception_fp_denorm_src 0
		.amdhsa_exception_fp_ieee_div_zero 0
		.amdhsa_exception_fp_ieee_overflow 0
		.amdhsa_exception_fp_ieee_underflow 0
		.amdhsa_exception_fp_ieee_inexact 0
		.amdhsa_exception_int_div_zero 0
	.end_amdhsa_kernel
	.section	.text._ZN7rocprim17ROCPRIM_400000_NS6detail17trampoline_kernelINS0_14default_configENS1_35radix_sort_onesweep_config_selectorIjN6thrust23THRUST_200600_302600_NS5tupleIffNS6_9null_typeES8_S8_S8_S8_S8_S8_S8_EEEEZNS1_34radix_sort_onesweep_global_offsetsIS3_Lb0ENS6_6detail15normal_iteratorINS6_10device_ptrIjEEEENSD_INSE_IS9_EEEEjNS0_19identity_decomposerEEE10hipError_tT1_T2_PT3_SN_jT4_jjP12ihipStream_tbEUlT_E0_NS1_11comp_targetILNS1_3genE9ELNS1_11target_archE1100ELNS1_3gpuE3ELNS1_3repE0EEENS1_52radix_sort_onesweep_histogram_config_static_selectorELNS0_4arch9wavefront6targetE0EEEvSL_,"axG",@progbits,_ZN7rocprim17ROCPRIM_400000_NS6detail17trampoline_kernelINS0_14default_configENS1_35radix_sort_onesweep_config_selectorIjN6thrust23THRUST_200600_302600_NS5tupleIffNS6_9null_typeES8_S8_S8_S8_S8_S8_S8_EEEEZNS1_34radix_sort_onesweep_global_offsetsIS3_Lb0ENS6_6detail15normal_iteratorINS6_10device_ptrIjEEEENSD_INSE_IS9_EEEEjNS0_19identity_decomposerEEE10hipError_tT1_T2_PT3_SN_jT4_jjP12ihipStream_tbEUlT_E0_NS1_11comp_targetILNS1_3genE9ELNS1_11target_archE1100ELNS1_3gpuE3ELNS1_3repE0EEENS1_52radix_sort_onesweep_histogram_config_static_selectorELNS0_4arch9wavefront6targetE0EEEvSL_,comdat
.Lfunc_end155:
	.size	_ZN7rocprim17ROCPRIM_400000_NS6detail17trampoline_kernelINS0_14default_configENS1_35radix_sort_onesweep_config_selectorIjN6thrust23THRUST_200600_302600_NS5tupleIffNS6_9null_typeES8_S8_S8_S8_S8_S8_S8_EEEEZNS1_34radix_sort_onesweep_global_offsetsIS3_Lb0ENS6_6detail15normal_iteratorINS6_10device_ptrIjEEEENSD_INSE_IS9_EEEEjNS0_19identity_decomposerEEE10hipError_tT1_T2_PT3_SN_jT4_jjP12ihipStream_tbEUlT_E0_NS1_11comp_targetILNS1_3genE9ELNS1_11target_archE1100ELNS1_3gpuE3ELNS1_3repE0EEENS1_52radix_sort_onesweep_histogram_config_static_selectorELNS0_4arch9wavefront6targetE0EEEvSL_, .Lfunc_end155-_ZN7rocprim17ROCPRIM_400000_NS6detail17trampoline_kernelINS0_14default_configENS1_35radix_sort_onesweep_config_selectorIjN6thrust23THRUST_200600_302600_NS5tupleIffNS6_9null_typeES8_S8_S8_S8_S8_S8_S8_EEEEZNS1_34radix_sort_onesweep_global_offsetsIS3_Lb0ENS6_6detail15normal_iteratorINS6_10device_ptrIjEEEENSD_INSE_IS9_EEEEjNS0_19identity_decomposerEEE10hipError_tT1_T2_PT3_SN_jT4_jjP12ihipStream_tbEUlT_E0_NS1_11comp_targetILNS1_3genE9ELNS1_11target_archE1100ELNS1_3gpuE3ELNS1_3repE0EEENS1_52radix_sort_onesweep_histogram_config_static_selectorELNS0_4arch9wavefront6targetE0EEEvSL_
                                        ; -- End function
	.set _ZN7rocprim17ROCPRIM_400000_NS6detail17trampoline_kernelINS0_14default_configENS1_35radix_sort_onesweep_config_selectorIjN6thrust23THRUST_200600_302600_NS5tupleIffNS6_9null_typeES8_S8_S8_S8_S8_S8_S8_EEEEZNS1_34radix_sort_onesweep_global_offsetsIS3_Lb0ENS6_6detail15normal_iteratorINS6_10device_ptrIjEEEENSD_INSE_IS9_EEEEjNS0_19identity_decomposerEEE10hipError_tT1_T2_PT3_SN_jT4_jjP12ihipStream_tbEUlT_E0_NS1_11comp_targetILNS1_3genE9ELNS1_11target_archE1100ELNS1_3gpuE3ELNS1_3repE0EEENS1_52radix_sort_onesweep_histogram_config_static_selectorELNS0_4arch9wavefront6targetE0EEEvSL_.num_vgpr, 0
	.set _ZN7rocprim17ROCPRIM_400000_NS6detail17trampoline_kernelINS0_14default_configENS1_35radix_sort_onesweep_config_selectorIjN6thrust23THRUST_200600_302600_NS5tupleIffNS6_9null_typeES8_S8_S8_S8_S8_S8_S8_EEEEZNS1_34radix_sort_onesweep_global_offsetsIS3_Lb0ENS6_6detail15normal_iteratorINS6_10device_ptrIjEEEENSD_INSE_IS9_EEEEjNS0_19identity_decomposerEEE10hipError_tT1_T2_PT3_SN_jT4_jjP12ihipStream_tbEUlT_E0_NS1_11comp_targetILNS1_3genE9ELNS1_11target_archE1100ELNS1_3gpuE3ELNS1_3repE0EEENS1_52radix_sort_onesweep_histogram_config_static_selectorELNS0_4arch9wavefront6targetE0EEEvSL_.num_agpr, 0
	.set _ZN7rocprim17ROCPRIM_400000_NS6detail17trampoline_kernelINS0_14default_configENS1_35radix_sort_onesweep_config_selectorIjN6thrust23THRUST_200600_302600_NS5tupleIffNS6_9null_typeES8_S8_S8_S8_S8_S8_S8_EEEEZNS1_34radix_sort_onesweep_global_offsetsIS3_Lb0ENS6_6detail15normal_iteratorINS6_10device_ptrIjEEEENSD_INSE_IS9_EEEEjNS0_19identity_decomposerEEE10hipError_tT1_T2_PT3_SN_jT4_jjP12ihipStream_tbEUlT_E0_NS1_11comp_targetILNS1_3genE9ELNS1_11target_archE1100ELNS1_3gpuE3ELNS1_3repE0EEENS1_52radix_sort_onesweep_histogram_config_static_selectorELNS0_4arch9wavefront6targetE0EEEvSL_.numbered_sgpr, 0
	.set _ZN7rocprim17ROCPRIM_400000_NS6detail17trampoline_kernelINS0_14default_configENS1_35radix_sort_onesweep_config_selectorIjN6thrust23THRUST_200600_302600_NS5tupleIffNS6_9null_typeES8_S8_S8_S8_S8_S8_S8_EEEEZNS1_34radix_sort_onesweep_global_offsetsIS3_Lb0ENS6_6detail15normal_iteratorINS6_10device_ptrIjEEEENSD_INSE_IS9_EEEEjNS0_19identity_decomposerEEE10hipError_tT1_T2_PT3_SN_jT4_jjP12ihipStream_tbEUlT_E0_NS1_11comp_targetILNS1_3genE9ELNS1_11target_archE1100ELNS1_3gpuE3ELNS1_3repE0EEENS1_52radix_sort_onesweep_histogram_config_static_selectorELNS0_4arch9wavefront6targetE0EEEvSL_.num_named_barrier, 0
	.set _ZN7rocprim17ROCPRIM_400000_NS6detail17trampoline_kernelINS0_14default_configENS1_35radix_sort_onesweep_config_selectorIjN6thrust23THRUST_200600_302600_NS5tupleIffNS6_9null_typeES8_S8_S8_S8_S8_S8_S8_EEEEZNS1_34radix_sort_onesweep_global_offsetsIS3_Lb0ENS6_6detail15normal_iteratorINS6_10device_ptrIjEEEENSD_INSE_IS9_EEEEjNS0_19identity_decomposerEEE10hipError_tT1_T2_PT3_SN_jT4_jjP12ihipStream_tbEUlT_E0_NS1_11comp_targetILNS1_3genE9ELNS1_11target_archE1100ELNS1_3gpuE3ELNS1_3repE0EEENS1_52radix_sort_onesweep_histogram_config_static_selectorELNS0_4arch9wavefront6targetE0EEEvSL_.private_seg_size, 0
	.set _ZN7rocprim17ROCPRIM_400000_NS6detail17trampoline_kernelINS0_14default_configENS1_35radix_sort_onesweep_config_selectorIjN6thrust23THRUST_200600_302600_NS5tupleIffNS6_9null_typeES8_S8_S8_S8_S8_S8_S8_EEEEZNS1_34radix_sort_onesweep_global_offsetsIS3_Lb0ENS6_6detail15normal_iteratorINS6_10device_ptrIjEEEENSD_INSE_IS9_EEEEjNS0_19identity_decomposerEEE10hipError_tT1_T2_PT3_SN_jT4_jjP12ihipStream_tbEUlT_E0_NS1_11comp_targetILNS1_3genE9ELNS1_11target_archE1100ELNS1_3gpuE3ELNS1_3repE0EEENS1_52radix_sort_onesweep_histogram_config_static_selectorELNS0_4arch9wavefront6targetE0EEEvSL_.uses_vcc, 0
	.set _ZN7rocprim17ROCPRIM_400000_NS6detail17trampoline_kernelINS0_14default_configENS1_35radix_sort_onesweep_config_selectorIjN6thrust23THRUST_200600_302600_NS5tupleIffNS6_9null_typeES8_S8_S8_S8_S8_S8_S8_EEEEZNS1_34radix_sort_onesweep_global_offsetsIS3_Lb0ENS6_6detail15normal_iteratorINS6_10device_ptrIjEEEENSD_INSE_IS9_EEEEjNS0_19identity_decomposerEEE10hipError_tT1_T2_PT3_SN_jT4_jjP12ihipStream_tbEUlT_E0_NS1_11comp_targetILNS1_3genE9ELNS1_11target_archE1100ELNS1_3gpuE3ELNS1_3repE0EEENS1_52radix_sort_onesweep_histogram_config_static_selectorELNS0_4arch9wavefront6targetE0EEEvSL_.uses_flat_scratch, 0
	.set _ZN7rocprim17ROCPRIM_400000_NS6detail17trampoline_kernelINS0_14default_configENS1_35radix_sort_onesweep_config_selectorIjN6thrust23THRUST_200600_302600_NS5tupleIffNS6_9null_typeES8_S8_S8_S8_S8_S8_S8_EEEEZNS1_34radix_sort_onesweep_global_offsetsIS3_Lb0ENS6_6detail15normal_iteratorINS6_10device_ptrIjEEEENSD_INSE_IS9_EEEEjNS0_19identity_decomposerEEE10hipError_tT1_T2_PT3_SN_jT4_jjP12ihipStream_tbEUlT_E0_NS1_11comp_targetILNS1_3genE9ELNS1_11target_archE1100ELNS1_3gpuE3ELNS1_3repE0EEENS1_52radix_sort_onesweep_histogram_config_static_selectorELNS0_4arch9wavefront6targetE0EEEvSL_.has_dyn_sized_stack, 0
	.set _ZN7rocprim17ROCPRIM_400000_NS6detail17trampoline_kernelINS0_14default_configENS1_35radix_sort_onesweep_config_selectorIjN6thrust23THRUST_200600_302600_NS5tupleIffNS6_9null_typeES8_S8_S8_S8_S8_S8_S8_EEEEZNS1_34radix_sort_onesweep_global_offsetsIS3_Lb0ENS6_6detail15normal_iteratorINS6_10device_ptrIjEEEENSD_INSE_IS9_EEEEjNS0_19identity_decomposerEEE10hipError_tT1_T2_PT3_SN_jT4_jjP12ihipStream_tbEUlT_E0_NS1_11comp_targetILNS1_3genE9ELNS1_11target_archE1100ELNS1_3gpuE3ELNS1_3repE0EEENS1_52radix_sort_onesweep_histogram_config_static_selectorELNS0_4arch9wavefront6targetE0EEEvSL_.has_recursion, 0
	.set _ZN7rocprim17ROCPRIM_400000_NS6detail17trampoline_kernelINS0_14default_configENS1_35radix_sort_onesweep_config_selectorIjN6thrust23THRUST_200600_302600_NS5tupleIffNS6_9null_typeES8_S8_S8_S8_S8_S8_S8_EEEEZNS1_34radix_sort_onesweep_global_offsetsIS3_Lb0ENS6_6detail15normal_iteratorINS6_10device_ptrIjEEEENSD_INSE_IS9_EEEEjNS0_19identity_decomposerEEE10hipError_tT1_T2_PT3_SN_jT4_jjP12ihipStream_tbEUlT_E0_NS1_11comp_targetILNS1_3genE9ELNS1_11target_archE1100ELNS1_3gpuE3ELNS1_3repE0EEENS1_52radix_sort_onesweep_histogram_config_static_selectorELNS0_4arch9wavefront6targetE0EEEvSL_.has_indirect_call, 0
	.section	.AMDGPU.csdata,"",@progbits
; Kernel info:
; codeLenInByte = 0
; TotalNumSgprs: 0
; NumVgprs: 0
; ScratchSize: 0
; MemoryBound: 0
; FloatMode: 240
; IeeeMode: 1
; LDSByteSize: 0 bytes/workgroup (compile time only)
; SGPRBlocks: 0
; VGPRBlocks: 0
; NumSGPRsForWavesPerEU: 1
; NumVGPRsForWavesPerEU: 1
; Occupancy: 16
; WaveLimiterHint : 0
; COMPUTE_PGM_RSRC2:SCRATCH_EN: 0
; COMPUTE_PGM_RSRC2:USER_SGPR: 6
; COMPUTE_PGM_RSRC2:TRAP_HANDLER: 0
; COMPUTE_PGM_RSRC2:TGID_X_EN: 1
; COMPUTE_PGM_RSRC2:TGID_Y_EN: 0
; COMPUTE_PGM_RSRC2:TGID_Z_EN: 0
; COMPUTE_PGM_RSRC2:TIDIG_COMP_CNT: 0
	.section	.text._ZN7rocprim17ROCPRIM_400000_NS6detail17trampoline_kernelINS0_14default_configENS1_35radix_sort_onesweep_config_selectorIjN6thrust23THRUST_200600_302600_NS5tupleIffNS6_9null_typeES8_S8_S8_S8_S8_S8_S8_EEEEZNS1_34radix_sort_onesweep_global_offsetsIS3_Lb0ENS6_6detail15normal_iteratorINS6_10device_ptrIjEEEENSD_INSE_IS9_EEEEjNS0_19identity_decomposerEEE10hipError_tT1_T2_PT3_SN_jT4_jjP12ihipStream_tbEUlT_E0_NS1_11comp_targetILNS1_3genE8ELNS1_11target_archE1030ELNS1_3gpuE2ELNS1_3repE0EEENS1_52radix_sort_onesweep_histogram_config_static_selectorELNS0_4arch9wavefront6targetE0EEEvSL_,"axG",@progbits,_ZN7rocprim17ROCPRIM_400000_NS6detail17trampoline_kernelINS0_14default_configENS1_35radix_sort_onesweep_config_selectorIjN6thrust23THRUST_200600_302600_NS5tupleIffNS6_9null_typeES8_S8_S8_S8_S8_S8_S8_EEEEZNS1_34radix_sort_onesweep_global_offsetsIS3_Lb0ENS6_6detail15normal_iteratorINS6_10device_ptrIjEEEENSD_INSE_IS9_EEEEjNS0_19identity_decomposerEEE10hipError_tT1_T2_PT3_SN_jT4_jjP12ihipStream_tbEUlT_E0_NS1_11comp_targetILNS1_3genE8ELNS1_11target_archE1030ELNS1_3gpuE2ELNS1_3repE0EEENS1_52radix_sort_onesweep_histogram_config_static_selectorELNS0_4arch9wavefront6targetE0EEEvSL_,comdat
	.protected	_ZN7rocprim17ROCPRIM_400000_NS6detail17trampoline_kernelINS0_14default_configENS1_35radix_sort_onesweep_config_selectorIjN6thrust23THRUST_200600_302600_NS5tupleIffNS6_9null_typeES8_S8_S8_S8_S8_S8_S8_EEEEZNS1_34radix_sort_onesweep_global_offsetsIS3_Lb0ENS6_6detail15normal_iteratorINS6_10device_ptrIjEEEENSD_INSE_IS9_EEEEjNS0_19identity_decomposerEEE10hipError_tT1_T2_PT3_SN_jT4_jjP12ihipStream_tbEUlT_E0_NS1_11comp_targetILNS1_3genE8ELNS1_11target_archE1030ELNS1_3gpuE2ELNS1_3repE0EEENS1_52radix_sort_onesweep_histogram_config_static_selectorELNS0_4arch9wavefront6targetE0EEEvSL_ ; -- Begin function _ZN7rocprim17ROCPRIM_400000_NS6detail17trampoline_kernelINS0_14default_configENS1_35radix_sort_onesweep_config_selectorIjN6thrust23THRUST_200600_302600_NS5tupleIffNS6_9null_typeES8_S8_S8_S8_S8_S8_S8_EEEEZNS1_34radix_sort_onesweep_global_offsetsIS3_Lb0ENS6_6detail15normal_iteratorINS6_10device_ptrIjEEEENSD_INSE_IS9_EEEEjNS0_19identity_decomposerEEE10hipError_tT1_T2_PT3_SN_jT4_jjP12ihipStream_tbEUlT_E0_NS1_11comp_targetILNS1_3genE8ELNS1_11target_archE1030ELNS1_3gpuE2ELNS1_3repE0EEENS1_52radix_sort_onesweep_histogram_config_static_selectorELNS0_4arch9wavefront6targetE0EEEvSL_
	.globl	_ZN7rocprim17ROCPRIM_400000_NS6detail17trampoline_kernelINS0_14default_configENS1_35radix_sort_onesweep_config_selectorIjN6thrust23THRUST_200600_302600_NS5tupleIffNS6_9null_typeES8_S8_S8_S8_S8_S8_S8_EEEEZNS1_34radix_sort_onesweep_global_offsetsIS3_Lb0ENS6_6detail15normal_iteratorINS6_10device_ptrIjEEEENSD_INSE_IS9_EEEEjNS0_19identity_decomposerEEE10hipError_tT1_T2_PT3_SN_jT4_jjP12ihipStream_tbEUlT_E0_NS1_11comp_targetILNS1_3genE8ELNS1_11target_archE1030ELNS1_3gpuE2ELNS1_3repE0EEENS1_52radix_sort_onesweep_histogram_config_static_selectorELNS0_4arch9wavefront6targetE0EEEvSL_
	.p2align	8
	.type	_ZN7rocprim17ROCPRIM_400000_NS6detail17trampoline_kernelINS0_14default_configENS1_35radix_sort_onesweep_config_selectorIjN6thrust23THRUST_200600_302600_NS5tupleIffNS6_9null_typeES8_S8_S8_S8_S8_S8_S8_EEEEZNS1_34radix_sort_onesweep_global_offsetsIS3_Lb0ENS6_6detail15normal_iteratorINS6_10device_ptrIjEEEENSD_INSE_IS9_EEEEjNS0_19identity_decomposerEEE10hipError_tT1_T2_PT3_SN_jT4_jjP12ihipStream_tbEUlT_E0_NS1_11comp_targetILNS1_3genE8ELNS1_11target_archE1030ELNS1_3gpuE2ELNS1_3repE0EEENS1_52radix_sort_onesweep_histogram_config_static_selectorELNS0_4arch9wavefront6targetE0EEEvSL_,@function
_ZN7rocprim17ROCPRIM_400000_NS6detail17trampoline_kernelINS0_14default_configENS1_35radix_sort_onesweep_config_selectorIjN6thrust23THRUST_200600_302600_NS5tupleIffNS6_9null_typeES8_S8_S8_S8_S8_S8_S8_EEEEZNS1_34radix_sort_onesweep_global_offsetsIS3_Lb0ENS6_6detail15normal_iteratorINS6_10device_ptrIjEEEENSD_INSE_IS9_EEEEjNS0_19identity_decomposerEEE10hipError_tT1_T2_PT3_SN_jT4_jjP12ihipStream_tbEUlT_E0_NS1_11comp_targetILNS1_3genE8ELNS1_11target_archE1030ELNS1_3gpuE2ELNS1_3repE0EEENS1_52radix_sort_onesweep_histogram_config_static_selectorELNS0_4arch9wavefront6targetE0EEEvSL_: ; @_ZN7rocprim17ROCPRIM_400000_NS6detail17trampoline_kernelINS0_14default_configENS1_35radix_sort_onesweep_config_selectorIjN6thrust23THRUST_200600_302600_NS5tupleIffNS6_9null_typeES8_S8_S8_S8_S8_S8_S8_EEEEZNS1_34radix_sort_onesweep_global_offsetsIS3_Lb0ENS6_6detail15normal_iteratorINS6_10device_ptrIjEEEENSD_INSE_IS9_EEEEjNS0_19identity_decomposerEEE10hipError_tT1_T2_PT3_SN_jT4_jjP12ihipStream_tbEUlT_E0_NS1_11comp_targetILNS1_3genE8ELNS1_11target_archE1030ELNS1_3gpuE2ELNS1_3repE0EEENS1_52radix_sort_onesweep_histogram_config_static_selectorELNS0_4arch9wavefront6targetE0EEEvSL_
; %bb.0:
	s_load_dwordx2 s[0:1], s[4:5], 0x0
	s_lshl_b32 s2, s6, 8
	s_mov_b32 s3, 0
	v_cmp_gt_u32_e32 vcc_lo, 0x100, v0
	s_lshl_b64 s[2:3], s[2:3], 2
	v_lshlrev_b32_e32 v1, 2, v0
                                        ; implicit-def: $vgpr3
	s_waitcnt lgkmcnt(0)
	s_add_u32 s8, s0, s2
	s_addc_u32 s9, s1, s3
	s_and_saveexec_b32 s0, vcc_lo
	s_cbranch_execz .LBB156_2
; %bb.1:
	global_load_dword v3, v1, s[8:9]
.LBB156_2:
	s_or_b32 exec_lo, exec_lo, s0
	v_mbcnt_lo_u32_b32 v2, -1, 0
	s_waitcnt vmcnt(0)
	v_mov_b32_dpp v5, v3 row_shr:1 row_mask:0xf bank_mask:0xf
	v_and_b32_e32 v7, 31, v0
	s_mov_b32 s6, exec_lo
	v_and_b32_e32 v4, 15, v2
	v_and_b32_e32 v6, 16, v2
	v_cmp_eq_u32_e64 s0, 0, v4
	v_cmp_lt_u32_e64 s1, 1, v4
	v_cmp_lt_u32_e64 s2, 3, v4
	;; [unrolled: 1-line block ×3, first 2 shown]
	v_cmp_eq_u32_e64 s4, 0, v6
	v_cndmask_b32_e64 v5, v5, 0, s0
	v_add_nc_u32_e32 v3, v5, v3
	v_mov_b32_dpp v5, v3 row_shr:2 row_mask:0xf bank_mask:0xf
	v_cndmask_b32_e64 v5, 0, v5, s1
	v_add_nc_u32_e32 v3, v3, v5
	v_mov_b32_dpp v5, v3 row_shr:4 row_mask:0xf bank_mask:0xf
	;; [unrolled: 3-line block ×3, first 2 shown]
	v_cndmask_b32_e64 v4, 0, v5, s3
	v_bfe_i32 v5, v2, 4, 1
	v_add_nc_u32_e32 v3, v3, v4
	ds_swizzle_b32 v4, v3 offset:swizzle(BROADCAST,32,15)
	s_waitcnt lgkmcnt(0)
	v_and_b32_e32 v5, v5, v4
	v_lshrrev_b32_e32 v4, 5, v0
	v_add_nc_u32_e32 v3, v3, v5
	v_cmpx_eq_u32_e32 31, v7
; %bb.3:
	v_lshlrev_b32_e32 v5, 2, v4
	ds_write_b32 v5, v3
; %bb.4:
	s_or_b32 exec_lo, exec_lo, s6
	v_cmp_lt_u32_e64 s5, 31, v0
	s_mov_b32 s7, exec_lo
	s_waitcnt lgkmcnt(0)
	s_barrier
	buffer_gl0_inv
	v_cmpx_gt_u32_e32 32, v0
	s_cbranch_execz .LBB156_6
; %bb.5:
	ds_read_b32 v0, v1
	s_waitcnt lgkmcnt(0)
	v_mov_b32_dpp v5, v0 row_shr:1 row_mask:0xf bank_mask:0xf
	v_cndmask_b32_e64 v5, v5, 0, s0
	v_add_nc_u32_e32 v0, v5, v0
	v_mov_b32_dpp v5, v0 row_shr:2 row_mask:0xf bank_mask:0xf
	v_cndmask_b32_e64 v5, 0, v5, s1
	v_add_nc_u32_e32 v0, v0, v5
	;; [unrolled: 3-line block ×4, first 2 shown]
	ds_swizzle_b32 v5, v0 offset:swizzle(BROADCAST,32,15)
	s_waitcnt lgkmcnt(0)
	v_cndmask_b32_e64 v5, v5, 0, s4
	v_add_nc_u32_e32 v0, v0, v5
	ds_write_b32 v1, v0
.LBB156_6:
	s_or_b32 exec_lo, exec_lo, s7
	v_mov_b32_e32 v0, 0
	s_waitcnt lgkmcnt(0)
	s_barrier
	buffer_gl0_inv
	s_and_saveexec_b32 s0, s5
; %bb.7:
	v_lshl_add_u32 v0, v4, 2, -4
	ds_read_b32 v0, v0
; %bb.8:
	s_or_b32 exec_lo, exec_lo, s0
	v_add_nc_u32_e32 v4, -1, v2
	s_waitcnt lgkmcnt(0)
	v_add_nc_u32_e32 v3, v0, v3
	v_cmp_gt_i32_e64 s0, 0, v4
	v_cndmask_b32_e64 v4, v4, v2, s0
	v_lshlrev_b32_e32 v4, 2, v4
	ds_bpermute_b32 v3, v4, v3
	s_and_saveexec_b32 s0, vcc_lo
	s_cbranch_execz .LBB156_10
; %bb.9:
	v_cmp_eq_u32_e32 vcc_lo, 0, v2
	s_waitcnt lgkmcnt(0)
	v_cndmask_b32_e32 v0, v3, v0, vcc_lo
	global_store_dword v1, v0, s[8:9]
.LBB156_10:
	s_endpgm
	.section	.rodata,"a",@progbits
	.p2align	6, 0x0
	.amdhsa_kernel _ZN7rocprim17ROCPRIM_400000_NS6detail17trampoline_kernelINS0_14default_configENS1_35radix_sort_onesweep_config_selectorIjN6thrust23THRUST_200600_302600_NS5tupleIffNS6_9null_typeES8_S8_S8_S8_S8_S8_S8_EEEEZNS1_34radix_sort_onesweep_global_offsetsIS3_Lb0ENS6_6detail15normal_iteratorINS6_10device_ptrIjEEEENSD_INSE_IS9_EEEEjNS0_19identity_decomposerEEE10hipError_tT1_T2_PT3_SN_jT4_jjP12ihipStream_tbEUlT_E0_NS1_11comp_targetILNS1_3genE8ELNS1_11target_archE1030ELNS1_3gpuE2ELNS1_3repE0EEENS1_52radix_sort_onesweep_histogram_config_static_selectorELNS0_4arch9wavefront6targetE0EEEvSL_
		.amdhsa_group_segment_fixed_size 128
		.amdhsa_private_segment_fixed_size 0
		.amdhsa_kernarg_size 8
		.amdhsa_user_sgpr_count 6
		.amdhsa_user_sgpr_private_segment_buffer 1
		.amdhsa_user_sgpr_dispatch_ptr 0
		.amdhsa_user_sgpr_queue_ptr 0
		.amdhsa_user_sgpr_kernarg_segment_ptr 1
		.amdhsa_user_sgpr_dispatch_id 0
		.amdhsa_user_sgpr_flat_scratch_init 0
		.amdhsa_user_sgpr_private_segment_size 0
		.amdhsa_wavefront_size32 1
		.amdhsa_uses_dynamic_stack 0
		.amdhsa_system_sgpr_private_segment_wavefront_offset 0
		.amdhsa_system_sgpr_workgroup_id_x 1
		.amdhsa_system_sgpr_workgroup_id_y 0
		.amdhsa_system_sgpr_workgroup_id_z 0
		.amdhsa_system_sgpr_workgroup_info 0
		.amdhsa_system_vgpr_workitem_id 0
		.amdhsa_next_free_vgpr 8
		.amdhsa_next_free_sgpr 10
		.amdhsa_reserve_vcc 1
		.amdhsa_reserve_flat_scratch 0
		.amdhsa_float_round_mode_32 0
		.amdhsa_float_round_mode_16_64 0
		.amdhsa_float_denorm_mode_32 3
		.amdhsa_float_denorm_mode_16_64 3
		.amdhsa_dx10_clamp 1
		.amdhsa_ieee_mode 1
		.amdhsa_fp16_overflow 0
		.amdhsa_workgroup_processor_mode 1
		.amdhsa_memory_ordered 1
		.amdhsa_forward_progress 1
		.amdhsa_shared_vgpr_count 0
		.amdhsa_exception_fp_ieee_invalid_op 0
		.amdhsa_exception_fp_denorm_src 0
		.amdhsa_exception_fp_ieee_div_zero 0
		.amdhsa_exception_fp_ieee_overflow 0
		.amdhsa_exception_fp_ieee_underflow 0
		.amdhsa_exception_fp_ieee_inexact 0
		.amdhsa_exception_int_div_zero 0
	.end_amdhsa_kernel
	.section	.text._ZN7rocprim17ROCPRIM_400000_NS6detail17trampoline_kernelINS0_14default_configENS1_35radix_sort_onesweep_config_selectorIjN6thrust23THRUST_200600_302600_NS5tupleIffNS6_9null_typeES8_S8_S8_S8_S8_S8_S8_EEEEZNS1_34radix_sort_onesweep_global_offsetsIS3_Lb0ENS6_6detail15normal_iteratorINS6_10device_ptrIjEEEENSD_INSE_IS9_EEEEjNS0_19identity_decomposerEEE10hipError_tT1_T2_PT3_SN_jT4_jjP12ihipStream_tbEUlT_E0_NS1_11comp_targetILNS1_3genE8ELNS1_11target_archE1030ELNS1_3gpuE2ELNS1_3repE0EEENS1_52radix_sort_onesweep_histogram_config_static_selectorELNS0_4arch9wavefront6targetE0EEEvSL_,"axG",@progbits,_ZN7rocprim17ROCPRIM_400000_NS6detail17trampoline_kernelINS0_14default_configENS1_35radix_sort_onesweep_config_selectorIjN6thrust23THRUST_200600_302600_NS5tupleIffNS6_9null_typeES8_S8_S8_S8_S8_S8_S8_EEEEZNS1_34radix_sort_onesweep_global_offsetsIS3_Lb0ENS6_6detail15normal_iteratorINS6_10device_ptrIjEEEENSD_INSE_IS9_EEEEjNS0_19identity_decomposerEEE10hipError_tT1_T2_PT3_SN_jT4_jjP12ihipStream_tbEUlT_E0_NS1_11comp_targetILNS1_3genE8ELNS1_11target_archE1030ELNS1_3gpuE2ELNS1_3repE0EEENS1_52radix_sort_onesweep_histogram_config_static_selectorELNS0_4arch9wavefront6targetE0EEEvSL_,comdat
.Lfunc_end156:
	.size	_ZN7rocprim17ROCPRIM_400000_NS6detail17trampoline_kernelINS0_14default_configENS1_35radix_sort_onesweep_config_selectorIjN6thrust23THRUST_200600_302600_NS5tupleIffNS6_9null_typeES8_S8_S8_S8_S8_S8_S8_EEEEZNS1_34radix_sort_onesweep_global_offsetsIS3_Lb0ENS6_6detail15normal_iteratorINS6_10device_ptrIjEEEENSD_INSE_IS9_EEEEjNS0_19identity_decomposerEEE10hipError_tT1_T2_PT3_SN_jT4_jjP12ihipStream_tbEUlT_E0_NS1_11comp_targetILNS1_3genE8ELNS1_11target_archE1030ELNS1_3gpuE2ELNS1_3repE0EEENS1_52radix_sort_onesweep_histogram_config_static_selectorELNS0_4arch9wavefront6targetE0EEEvSL_, .Lfunc_end156-_ZN7rocprim17ROCPRIM_400000_NS6detail17trampoline_kernelINS0_14default_configENS1_35radix_sort_onesweep_config_selectorIjN6thrust23THRUST_200600_302600_NS5tupleIffNS6_9null_typeES8_S8_S8_S8_S8_S8_S8_EEEEZNS1_34radix_sort_onesweep_global_offsetsIS3_Lb0ENS6_6detail15normal_iteratorINS6_10device_ptrIjEEEENSD_INSE_IS9_EEEEjNS0_19identity_decomposerEEE10hipError_tT1_T2_PT3_SN_jT4_jjP12ihipStream_tbEUlT_E0_NS1_11comp_targetILNS1_3genE8ELNS1_11target_archE1030ELNS1_3gpuE2ELNS1_3repE0EEENS1_52radix_sort_onesweep_histogram_config_static_selectorELNS0_4arch9wavefront6targetE0EEEvSL_
                                        ; -- End function
	.set _ZN7rocprim17ROCPRIM_400000_NS6detail17trampoline_kernelINS0_14default_configENS1_35radix_sort_onesweep_config_selectorIjN6thrust23THRUST_200600_302600_NS5tupleIffNS6_9null_typeES8_S8_S8_S8_S8_S8_S8_EEEEZNS1_34radix_sort_onesweep_global_offsetsIS3_Lb0ENS6_6detail15normal_iteratorINS6_10device_ptrIjEEEENSD_INSE_IS9_EEEEjNS0_19identity_decomposerEEE10hipError_tT1_T2_PT3_SN_jT4_jjP12ihipStream_tbEUlT_E0_NS1_11comp_targetILNS1_3genE8ELNS1_11target_archE1030ELNS1_3gpuE2ELNS1_3repE0EEENS1_52radix_sort_onesweep_histogram_config_static_selectorELNS0_4arch9wavefront6targetE0EEEvSL_.num_vgpr, 8
	.set _ZN7rocprim17ROCPRIM_400000_NS6detail17trampoline_kernelINS0_14default_configENS1_35radix_sort_onesweep_config_selectorIjN6thrust23THRUST_200600_302600_NS5tupleIffNS6_9null_typeES8_S8_S8_S8_S8_S8_S8_EEEEZNS1_34radix_sort_onesweep_global_offsetsIS3_Lb0ENS6_6detail15normal_iteratorINS6_10device_ptrIjEEEENSD_INSE_IS9_EEEEjNS0_19identity_decomposerEEE10hipError_tT1_T2_PT3_SN_jT4_jjP12ihipStream_tbEUlT_E0_NS1_11comp_targetILNS1_3genE8ELNS1_11target_archE1030ELNS1_3gpuE2ELNS1_3repE0EEENS1_52radix_sort_onesweep_histogram_config_static_selectorELNS0_4arch9wavefront6targetE0EEEvSL_.num_agpr, 0
	.set _ZN7rocprim17ROCPRIM_400000_NS6detail17trampoline_kernelINS0_14default_configENS1_35radix_sort_onesweep_config_selectorIjN6thrust23THRUST_200600_302600_NS5tupleIffNS6_9null_typeES8_S8_S8_S8_S8_S8_S8_EEEEZNS1_34radix_sort_onesweep_global_offsetsIS3_Lb0ENS6_6detail15normal_iteratorINS6_10device_ptrIjEEEENSD_INSE_IS9_EEEEjNS0_19identity_decomposerEEE10hipError_tT1_T2_PT3_SN_jT4_jjP12ihipStream_tbEUlT_E0_NS1_11comp_targetILNS1_3genE8ELNS1_11target_archE1030ELNS1_3gpuE2ELNS1_3repE0EEENS1_52radix_sort_onesweep_histogram_config_static_selectorELNS0_4arch9wavefront6targetE0EEEvSL_.numbered_sgpr, 10
	.set _ZN7rocprim17ROCPRIM_400000_NS6detail17trampoline_kernelINS0_14default_configENS1_35radix_sort_onesweep_config_selectorIjN6thrust23THRUST_200600_302600_NS5tupleIffNS6_9null_typeES8_S8_S8_S8_S8_S8_S8_EEEEZNS1_34radix_sort_onesweep_global_offsetsIS3_Lb0ENS6_6detail15normal_iteratorINS6_10device_ptrIjEEEENSD_INSE_IS9_EEEEjNS0_19identity_decomposerEEE10hipError_tT1_T2_PT3_SN_jT4_jjP12ihipStream_tbEUlT_E0_NS1_11comp_targetILNS1_3genE8ELNS1_11target_archE1030ELNS1_3gpuE2ELNS1_3repE0EEENS1_52radix_sort_onesweep_histogram_config_static_selectorELNS0_4arch9wavefront6targetE0EEEvSL_.num_named_barrier, 0
	.set _ZN7rocprim17ROCPRIM_400000_NS6detail17trampoline_kernelINS0_14default_configENS1_35radix_sort_onesweep_config_selectorIjN6thrust23THRUST_200600_302600_NS5tupleIffNS6_9null_typeES8_S8_S8_S8_S8_S8_S8_EEEEZNS1_34radix_sort_onesweep_global_offsetsIS3_Lb0ENS6_6detail15normal_iteratorINS6_10device_ptrIjEEEENSD_INSE_IS9_EEEEjNS0_19identity_decomposerEEE10hipError_tT1_T2_PT3_SN_jT4_jjP12ihipStream_tbEUlT_E0_NS1_11comp_targetILNS1_3genE8ELNS1_11target_archE1030ELNS1_3gpuE2ELNS1_3repE0EEENS1_52radix_sort_onesweep_histogram_config_static_selectorELNS0_4arch9wavefront6targetE0EEEvSL_.private_seg_size, 0
	.set _ZN7rocprim17ROCPRIM_400000_NS6detail17trampoline_kernelINS0_14default_configENS1_35radix_sort_onesweep_config_selectorIjN6thrust23THRUST_200600_302600_NS5tupleIffNS6_9null_typeES8_S8_S8_S8_S8_S8_S8_EEEEZNS1_34radix_sort_onesweep_global_offsetsIS3_Lb0ENS6_6detail15normal_iteratorINS6_10device_ptrIjEEEENSD_INSE_IS9_EEEEjNS0_19identity_decomposerEEE10hipError_tT1_T2_PT3_SN_jT4_jjP12ihipStream_tbEUlT_E0_NS1_11comp_targetILNS1_3genE8ELNS1_11target_archE1030ELNS1_3gpuE2ELNS1_3repE0EEENS1_52radix_sort_onesweep_histogram_config_static_selectorELNS0_4arch9wavefront6targetE0EEEvSL_.uses_vcc, 1
	.set _ZN7rocprim17ROCPRIM_400000_NS6detail17trampoline_kernelINS0_14default_configENS1_35radix_sort_onesweep_config_selectorIjN6thrust23THRUST_200600_302600_NS5tupleIffNS6_9null_typeES8_S8_S8_S8_S8_S8_S8_EEEEZNS1_34radix_sort_onesweep_global_offsetsIS3_Lb0ENS6_6detail15normal_iteratorINS6_10device_ptrIjEEEENSD_INSE_IS9_EEEEjNS0_19identity_decomposerEEE10hipError_tT1_T2_PT3_SN_jT4_jjP12ihipStream_tbEUlT_E0_NS1_11comp_targetILNS1_3genE8ELNS1_11target_archE1030ELNS1_3gpuE2ELNS1_3repE0EEENS1_52radix_sort_onesweep_histogram_config_static_selectorELNS0_4arch9wavefront6targetE0EEEvSL_.uses_flat_scratch, 0
	.set _ZN7rocprim17ROCPRIM_400000_NS6detail17trampoline_kernelINS0_14default_configENS1_35radix_sort_onesweep_config_selectorIjN6thrust23THRUST_200600_302600_NS5tupleIffNS6_9null_typeES8_S8_S8_S8_S8_S8_S8_EEEEZNS1_34radix_sort_onesweep_global_offsetsIS3_Lb0ENS6_6detail15normal_iteratorINS6_10device_ptrIjEEEENSD_INSE_IS9_EEEEjNS0_19identity_decomposerEEE10hipError_tT1_T2_PT3_SN_jT4_jjP12ihipStream_tbEUlT_E0_NS1_11comp_targetILNS1_3genE8ELNS1_11target_archE1030ELNS1_3gpuE2ELNS1_3repE0EEENS1_52radix_sort_onesweep_histogram_config_static_selectorELNS0_4arch9wavefront6targetE0EEEvSL_.has_dyn_sized_stack, 0
	.set _ZN7rocprim17ROCPRIM_400000_NS6detail17trampoline_kernelINS0_14default_configENS1_35radix_sort_onesweep_config_selectorIjN6thrust23THRUST_200600_302600_NS5tupleIffNS6_9null_typeES8_S8_S8_S8_S8_S8_S8_EEEEZNS1_34radix_sort_onesweep_global_offsetsIS3_Lb0ENS6_6detail15normal_iteratorINS6_10device_ptrIjEEEENSD_INSE_IS9_EEEEjNS0_19identity_decomposerEEE10hipError_tT1_T2_PT3_SN_jT4_jjP12ihipStream_tbEUlT_E0_NS1_11comp_targetILNS1_3genE8ELNS1_11target_archE1030ELNS1_3gpuE2ELNS1_3repE0EEENS1_52radix_sort_onesweep_histogram_config_static_selectorELNS0_4arch9wavefront6targetE0EEEvSL_.has_recursion, 0
	.set _ZN7rocprim17ROCPRIM_400000_NS6detail17trampoline_kernelINS0_14default_configENS1_35radix_sort_onesweep_config_selectorIjN6thrust23THRUST_200600_302600_NS5tupleIffNS6_9null_typeES8_S8_S8_S8_S8_S8_S8_EEEEZNS1_34radix_sort_onesweep_global_offsetsIS3_Lb0ENS6_6detail15normal_iteratorINS6_10device_ptrIjEEEENSD_INSE_IS9_EEEEjNS0_19identity_decomposerEEE10hipError_tT1_T2_PT3_SN_jT4_jjP12ihipStream_tbEUlT_E0_NS1_11comp_targetILNS1_3genE8ELNS1_11target_archE1030ELNS1_3gpuE2ELNS1_3repE0EEENS1_52radix_sort_onesweep_histogram_config_static_selectorELNS0_4arch9wavefront6targetE0EEEvSL_.has_indirect_call, 0
	.section	.AMDGPU.csdata,"",@progbits
; Kernel info:
; codeLenInByte = 544
; TotalNumSgprs: 12
; NumVgprs: 8
; ScratchSize: 0
; MemoryBound: 0
; FloatMode: 240
; IeeeMode: 1
; LDSByteSize: 128 bytes/workgroup (compile time only)
; SGPRBlocks: 0
; VGPRBlocks: 0
; NumSGPRsForWavesPerEU: 12
; NumVGPRsForWavesPerEU: 8
; Occupancy: 16
; WaveLimiterHint : 0
; COMPUTE_PGM_RSRC2:SCRATCH_EN: 0
; COMPUTE_PGM_RSRC2:USER_SGPR: 6
; COMPUTE_PGM_RSRC2:TRAP_HANDLER: 0
; COMPUTE_PGM_RSRC2:TGID_X_EN: 1
; COMPUTE_PGM_RSRC2:TGID_Y_EN: 0
; COMPUTE_PGM_RSRC2:TGID_Z_EN: 0
; COMPUTE_PGM_RSRC2:TIDIG_COMP_CNT: 0
	.section	.text._ZN7rocprim17ROCPRIM_400000_NS6detail17trampoline_kernelINS0_14default_configENS1_25transform_config_selectorIjLb0EEEZNS1_14transform_implILb0ES3_S5_N6thrust23THRUST_200600_302600_NS6detail15normal_iteratorINS8_10device_ptrIjEEEEPjNS0_8identityIjEEEE10hipError_tT2_T3_mT4_P12ihipStream_tbEUlT_E_NS1_11comp_targetILNS1_3genE0ELNS1_11target_archE4294967295ELNS1_3gpuE0ELNS1_3repE0EEENS1_30default_config_static_selectorELNS0_4arch9wavefront6targetE0EEEvT1_,"axG",@progbits,_ZN7rocprim17ROCPRIM_400000_NS6detail17trampoline_kernelINS0_14default_configENS1_25transform_config_selectorIjLb0EEEZNS1_14transform_implILb0ES3_S5_N6thrust23THRUST_200600_302600_NS6detail15normal_iteratorINS8_10device_ptrIjEEEEPjNS0_8identityIjEEEE10hipError_tT2_T3_mT4_P12ihipStream_tbEUlT_E_NS1_11comp_targetILNS1_3genE0ELNS1_11target_archE4294967295ELNS1_3gpuE0ELNS1_3repE0EEENS1_30default_config_static_selectorELNS0_4arch9wavefront6targetE0EEEvT1_,comdat
	.protected	_ZN7rocprim17ROCPRIM_400000_NS6detail17trampoline_kernelINS0_14default_configENS1_25transform_config_selectorIjLb0EEEZNS1_14transform_implILb0ES3_S5_N6thrust23THRUST_200600_302600_NS6detail15normal_iteratorINS8_10device_ptrIjEEEEPjNS0_8identityIjEEEE10hipError_tT2_T3_mT4_P12ihipStream_tbEUlT_E_NS1_11comp_targetILNS1_3genE0ELNS1_11target_archE4294967295ELNS1_3gpuE0ELNS1_3repE0EEENS1_30default_config_static_selectorELNS0_4arch9wavefront6targetE0EEEvT1_ ; -- Begin function _ZN7rocprim17ROCPRIM_400000_NS6detail17trampoline_kernelINS0_14default_configENS1_25transform_config_selectorIjLb0EEEZNS1_14transform_implILb0ES3_S5_N6thrust23THRUST_200600_302600_NS6detail15normal_iteratorINS8_10device_ptrIjEEEEPjNS0_8identityIjEEEE10hipError_tT2_T3_mT4_P12ihipStream_tbEUlT_E_NS1_11comp_targetILNS1_3genE0ELNS1_11target_archE4294967295ELNS1_3gpuE0ELNS1_3repE0EEENS1_30default_config_static_selectorELNS0_4arch9wavefront6targetE0EEEvT1_
	.globl	_ZN7rocprim17ROCPRIM_400000_NS6detail17trampoline_kernelINS0_14default_configENS1_25transform_config_selectorIjLb0EEEZNS1_14transform_implILb0ES3_S5_N6thrust23THRUST_200600_302600_NS6detail15normal_iteratorINS8_10device_ptrIjEEEEPjNS0_8identityIjEEEE10hipError_tT2_T3_mT4_P12ihipStream_tbEUlT_E_NS1_11comp_targetILNS1_3genE0ELNS1_11target_archE4294967295ELNS1_3gpuE0ELNS1_3repE0EEENS1_30default_config_static_selectorELNS0_4arch9wavefront6targetE0EEEvT1_
	.p2align	8
	.type	_ZN7rocprim17ROCPRIM_400000_NS6detail17trampoline_kernelINS0_14default_configENS1_25transform_config_selectorIjLb0EEEZNS1_14transform_implILb0ES3_S5_N6thrust23THRUST_200600_302600_NS6detail15normal_iteratorINS8_10device_ptrIjEEEEPjNS0_8identityIjEEEE10hipError_tT2_T3_mT4_P12ihipStream_tbEUlT_E_NS1_11comp_targetILNS1_3genE0ELNS1_11target_archE4294967295ELNS1_3gpuE0ELNS1_3repE0EEENS1_30default_config_static_selectorELNS0_4arch9wavefront6targetE0EEEvT1_,@function
_ZN7rocprim17ROCPRIM_400000_NS6detail17trampoline_kernelINS0_14default_configENS1_25transform_config_selectorIjLb0EEEZNS1_14transform_implILb0ES3_S5_N6thrust23THRUST_200600_302600_NS6detail15normal_iteratorINS8_10device_ptrIjEEEEPjNS0_8identityIjEEEE10hipError_tT2_T3_mT4_P12ihipStream_tbEUlT_E_NS1_11comp_targetILNS1_3genE0ELNS1_11target_archE4294967295ELNS1_3gpuE0ELNS1_3repE0EEENS1_30default_config_static_selectorELNS0_4arch9wavefront6targetE0EEEvT1_: ; @_ZN7rocprim17ROCPRIM_400000_NS6detail17trampoline_kernelINS0_14default_configENS1_25transform_config_selectorIjLb0EEEZNS1_14transform_implILb0ES3_S5_N6thrust23THRUST_200600_302600_NS6detail15normal_iteratorINS8_10device_ptrIjEEEEPjNS0_8identityIjEEEE10hipError_tT2_T3_mT4_P12ihipStream_tbEUlT_E_NS1_11comp_targetILNS1_3genE0ELNS1_11target_archE4294967295ELNS1_3gpuE0ELNS1_3repE0EEENS1_30default_config_static_selectorELNS0_4arch9wavefront6targetE0EEEvT1_
; %bb.0:
	.section	.rodata,"a",@progbits
	.p2align	6, 0x0
	.amdhsa_kernel _ZN7rocprim17ROCPRIM_400000_NS6detail17trampoline_kernelINS0_14default_configENS1_25transform_config_selectorIjLb0EEEZNS1_14transform_implILb0ES3_S5_N6thrust23THRUST_200600_302600_NS6detail15normal_iteratorINS8_10device_ptrIjEEEEPjNS0_8identityIjEEEE10hipError_tT2_T3_mT4_P12ihipStream_tbEUlT_E_NS1_11comp_targetILNS1_3genE0ELNS1_11target_archE4294967295ELNS1_3gpuE0ELNS1_3repE0EEENS1_30default_config_static_selectorELNS0_4arch9wavefront6targetE0EEEvT1_
		.amdhsa_group_segment_fixed_size 0
		.amdhsa_private_segment_fixed_size 0
		.amdhsa_kernarg_size 40
		.amdhsa_user_sgpr_count 6
		.amdhsa_user_sgpr_private_segment_buffer 1
		.amdhsa_user_sgpr_dispatch_ptr 0
		.amdhsa_user_sgpr_queue_ptr 0
		.amdhsa_user_sgpr_kernarg_segment_ptr 1
		.amdhsa_user_sgpr_dispatch_id 0
		.amdhsa_user_sgpr_flat_scratch_init 0
		.amdhsa_user_sgpr_private_segment_size 0
		.amdhsa_wavefront_size32 1
		.amdhsa_uses_dynamic_stack 0
		.amdhsa_system_sgpr_private_segment_wavefront_offset 0
		.amdhsa_system_sgpr_workgroup_id_x 1
		.amdhsa_system_sgpr_workgroup_id_y 0
		.amdhsa_system_sgpr_workgroup_id_z 0
		.amdhsa_system_sgpr_workgroup_info 0
		.amdhsa_system_vgpr_workitem_id 0
		.amdhsa_next_free_vgpr 1
		.amdhsa_next_free_sgpr 1
		.amdhsa_reserve_vcc 0
		.amdhsa_reserve_flat_scratch 0
		.amdhsa_float_round_mode_32 0
		.amdhsa_float_round_mode_16_64 0
		.amdhsa_float_denorm_mode_32 3
		.amdhsa_float_denorm_mode_16_64 3
		.amdhsa_dx10_clamp 1
		.amdhsa_ieee_mode 1
		.amdhsa_fp16_overflow 0
		.amdhsa_workgroup_processor_mode 1
		.amdhsa_memory_ordered 1
		.amdhsa_forward_progress 1
		.amdhsa_shared_vgpr_count 0
		.amdhsa_exception_fp_ieee_invalid_op 0
		.amdhsa_exception_fp_denorm_src 0
		.amdhsa_exception_fp_ieee_div_zero 0
		.amdhsa_exception_fp_ieee_overflow 0
		.amdhsa_exception_fp_ieee_underflow 0
		.amdhsa_exception_fp_ieee_inexact 0
		.amdhsa_exception_int_div_zero 0
	.end_amdhsa_kernel
	.section	.text._ZN7rocprim17ROCPRIM_400000_NS6detail17trampoline_kernelINS0_14default_configENS1_25transform_config_selectorIjLb0EEEZNS1_14transform_implILb0ES3_S5_N6thrust23THRUST_200600_302600_NS6detail15normal_iteratorINS8_10device_ptrIjEEEEPjNS0_8identityIjEEEE10hipError_tT2_T3_mT4_P12ihipStream_tbEUlT_E_NS1_11comp_targetILNS1_3genE0ELNS1_11target_archE4294967295ELNS1_3gpuE0ELNS1_3repE0EEENS1_30default_config_static_selectorELNS0_4arch9wavefront6targetE0EEEvT1_,"axG",@progbits,_ZN7rocprim17ROCPRIM_400000_NS6detail17trampoline_kernelINS0_14default_configENS1_25transform_config_selectorIjLb0EEEZNS1_14transform_implILb0ES3_S5_N6thrust23THRUST_200600_302600_NS6detail15normal_iteratorINS8_10device_ptrIjEEEEPjNS0_8identityIjEEEE10hipError_tT2_T3_mT4_P12ihipStream_tbEUlT_E_NS1_11comp_targetILNS1_3genE0ELNS1_11target_archE4294967295ELNS1_3gpuE0ELNS1_3repE0EEENS1_30default_config_static_selectorELNS0_4arch9wavefront6targetE0EEEvT1_,comdat
.Lfunc_end157:
	.size	_ZN7rocprim17ROCPRIM_400000_NS6detail17trampoline_kernelINS0_14default_configENS1_25transform_config_selectorIjLb0EEEZNS1_14transform_implILb0ES3_S5_N6thrust23THRUST_200600_302600_NS6detail15normal_iteratorINS8_10device_ptrIjEEEEPjNS0_8identityIjEEEE10hipError_tT2_T3_mT4_P12ihipStream_tbEUlT_E_NS1_11comp_targetILNS1_3genE0ELNS1_11target_archE4294967295ELNS1_3gpuE0ELNS1_3repE0EEENS1_30default_config_static_selectorELNS0_4arch9wavefront6targetE0EEEvT1_, .Lfunc_end157-_ZN7rocprim17ROCPRIM_400000_NS6detail17trampoline_kernelINS0_14default_configENS1_25transform_config_selectorIjLb0EEEZNS1_14transform_implILb0ES3_S5_N6thrust23THRUST_200600_302600_NS6detail15normal_iteratorINS8_10device_ptrIjEEEEPjNS0_8identityIjEEEE10hipError_tT2_T3_mT4_P12ihipStream_tbEUlT_E_NS1_11comp_targetILNS1_3genE0ELNS1_11target_archE4294967295ELNS1_3gpuE0ELNS1_3repE0EEENS1_30default_config_static_selectorELNS0_4arch9wavefront6targetE0EEEvT1_
                                        ; -- End function
	.set _ZN7rocprim17ROCPRIM_400000_NS6detail17trampoline_kernelINS0_14default_configENS1_25transform_config_selectorIjLb0EEEZNS1_14transform_implILb0ES3_S5_N6thrust23THRUST_200600_302600_NS6detail15normal_iteratorINS8_10device_ptrIjEEEEPjNS0_8identityIjEEEE10hipError_tT2_T3_mT4_P12ihipStream_tbEUlT_E_NS1_11comp_targetILNS1_3genE0ELNS1_11target_archE4294967295ELNS1_3gpuE0ELNS1_3repE0EEENS1_30default_config_static_selectorELNS0_4arch9wavefront6targetE0EEEvT1_.num_vgpr, 0
	.set _ZN7rocprim17ROCPRIM_400000_NS6detail17trampoline_kernelINS0_14default_configENS1_25transform_config_selectorIjLb0EEEZNS1_14transform_implILb0ES3_S5_N6thrust23THRUST_200600_302600_NS6detail15normal_iteratorINS8_10device_ptrIjEEEEPjNS0_8identityIjEEEE10hipError_tT2_T3_mT4_P12ihipStream_tbEUlT_E_NS1_11comp_targetILNS1_3genE0ELNS1_11target_archE4294967295ELNS1_3gpuE0ELNS1_3repE0EEENS1_30default_config_static_selectorELNS0_4arch9wavefront6targetE0EEEvT1_.num_agpr, 0
	.set _ZN7rocprim17ROCPRIM_400000_NS6detail17trampoline_kernelINS0_14default_configENS1_25transform_config_selectorIjLb0EEEZNS1_14transform_implILb0ES3_S5_N6thrust23THRUST_200600_302600_NS6detail15normal_iteratorINS8_10device_ptrIjEEEEPjNS0_8identityIjEEEE10hipError_tT2_T3_mT4_P12ihipStream_tbEUlT_E_NS1_11comp_targetILNS1_3genE0ELNS1_11target_archE4294967295ELNS1_3gpuE0ELNS1_3repE0EEENS1_30default_config_static_selectorELNS0_4arch9wavefront6targetE0EEEvT1_.numbered_sgpr, 0
	.set _ZN7rocprim17ROCPRIM_400000_NS6detail17trampoline_kernelINS0_14default_configENS1_25transform_config_selectorIjLb0EEEZNS1_14transform_implILb0ES3_S5_N6thrust23THRUST_200600_302600_NS6detail15normal_iteratorINS8_10device_ptrIjEEEEPjNS0_8identityIjEEEE10hipError_tT2_T3_mT4_P12ihipStream_tbEUlT_E_NS1_11comp_targetILNS1_3genE0ELNS1_11target_archE4294967295ELNS1_3gpuE0ELNS1_3repE0EEENS1_30default_config_static_selectorELNS0_4arch9wavefront6targetE0EEEvT1_.num_named_barrier, 0
	.set _ZN7rocprim17ROCPRIM_400000_NS6detail17trampoline_kernelINS0_14default_configENS1_25transform_config_selectorIjLb0EEEZNS1_14transform_implILb0ES3_S5_N6thrust23THRUST_200600_302600_NS6detail15normal_iteratorINS8_10device_ptrIjEEEEPjNS0_8identityIjEEEE10hipError_tT2_T3_mT4_P12ihipStream_tbEUlT_E_NS1_11comp_targetILNS1_3genE0ELNS1_11target_archE4294967295ELNS1_3gpuE0ELNS1_3repE0EEENS1_30default_config_static_selectorELNS0_4arch9wavefront6targetE0EEEvT1_.private_seg_size, 0
	.set _ZN7rocprim17ROCPRIM_400000_NS6detail17trampoline_kernelINS0_14default_configENS1_25transform_config_selectorIjLb0EEEZNS1_14transform_implILb0ES3_S5_N6thrust23THRUST_200600_302600_NS6detail15normal_iteratorINS8_10device_ptrIjEEEEPjNS0_8identityIjEEEE10hipError_tT2_T3_mT4_P12ihipStream_tbEUlT_E_NS1_11comp_targetILNS1_3genE0ELNS1_11target_archE4294967295ELNS1_3gpuE0ELNS1_3repE0EEENS1_30default_config_static_selectorELNS0_4arch9wavefront6targetE0EEEvT1_.uses_vcc, 0
	.set _ZN7rocprim17ROCPRIM_400000_NS6detail17trampoline_kernelINS0_14default_configENS1_25transform_config_selectorIjLb0EEEZNS1_14transform_implILb0ES3_S5_N6thrust23THRUST_200600_302600_NS6detail15normal_iteratorINS8_10device_ptrIjEEEEPjNS0_8identityIjEEEE10hipError_tT2_T3_mT4_P12ihipStream_tbEUlT_E_NS1_11comp_targetILNS1_3genE0ELNS1_11target_archE4294967295ELNS1_3gpuE0ELNS1_3repE0EEENS1_30default_config_static_selectorELNS0_4arch9wavefront6targetE0EEEvT1_.uses_flat_scratch, 0
	.set _ZN7rocprim17ROCPRIM_400000_NS6detail17trampoline_kernelINS0_14default_configENS1_25transform_config_selectorIjLb0EEEZNS1_14transform_implILb0ES3_S5_N6thrust23THRUST_200600_302600_NS6detail15normal_iteratorINS8_10device_ptrIjEEEEPjNS0_8identityIjEEEE10hipError_tT2_T3_mT4_P12ihipStream_tbEUlT_E_NS1_11comp_targetILNS1_3genE0ELNS1_11target_archE4294967295ELNS1_3gpuE0ELNS1_3repE0EEENS1_30default_config_static_selectorELNS0_4arch9wavefront6targetE0EEEvT1_.has_dyn_sized_stack, 0
	.set _ZN7rocprim17ROCPRIM_400000_NS6detail17trampoline_kernelINS0_14default_configENS1_25transform_config_selectorIjLb0EEEZNS1_14transform_implILb0ES3_S5_N6thrust23THRUST_200600_302600_NS6detail15normal_iteratorINS8_10device_ptrIjEEEEPjNS0_8identityIjEEEE10hipError_tT2_T3_mT4_P12ihipStream_tbEUlT_E_NS1_11comp_targetILNS1_3genE0ELNS1_11target_archE4294967295ELNS1_3gpuE0ELNS1_3repE0EEENS1_30default_config_static_selectorELNS0_4arch9wavefront6targetE0EEEvT1_.has_recursion, 0
	.set _ZN7rocprim17ROCPRIM_400000_NS6detail17trampoline_kernelINS0_14default_configENS1_25transform_config_selectorIjLb0EEEZNS1_14transform_implILb0ES3_S5_N6thrust23THRUST_200600_302600_NS6detail15normal_iteratorINS8_10device_ptrIjEEEEPjNS0_8identityIjEEEE10hipError_tT2_T3_mT4_P12ihipStream_tbEUlT_E_NS1_11comp_targetILNS1_3genE0ELNS1_11target_archE4294967295ELNS1_3gpuE0ELNS1_3repE0EEENS1_30default_config_static_selectorELNS0_4arch9wavefront6targetE0EEEvT1_.has_indirect_call, 0
	.section	.AMDGPU.csdata,"",@progbits
; Kernel info:
; codeLenInByte = 0
; TotalNumSgprs: 0
; NumVgprs: 0
; ScratchSize: 0
; MemoryBound: 0
; FloatMode: 240
; IeeeMode: 1
; LDSByteSize: 0 bytes/workgroup (compile time only)
; SGPRBlocks: 0
; VGPRBlocks: 0
; NumSGPRsForWavesPerEU: 1
; NumVGPRsForWavesPerEU: 1
; Occupancy: 16
; WaveLimiterHint : 0
; COMPUTE_PGM_RSRC2:SCRATCH_EN: 0
; COMPUTE_PGM_RSRC2:USER_SGPR: 6
; COMPUTE_PGM_RSRC2:TRAP_HANDLER: 0
; COMPUTE_PGM_RSRC2:TGID_X_EN: 1
; COMPUTE_PGM_RSRC2:TGID_Y_EN: 0
; COMPUTE_PGM_RSRC2:TGID_Z_EN: 0
; COMPUTE_PGM_RSRC2:TIDIG_COMP_CNT: 0
	.section	.text._ZN7rocprim17ROCPRIM_400000_NS6detail17trampoline_kernelINS0_14default_configENS1_25transform_config_selectorIjLb0EEEZNS1_14transform_implILb0ES3_S5_N6thrust23THRUST_200600_302600_NS6detail15normal_iteratorINS8_10device_ptrIjEEEEPjNS0_8identityIjEEEE10hipError_tT2_T3_mT4_P12ihipStream_tbEUlT_E_NS1_11comp_targetILNS1_3genE5ELNS1_11target_archE942ELNS1_3gpuE9ELNS1_3repE0EEENS1_30default_config_static_selectorELNS0_4arch9wavefront6targetE0EEEvT1_,"axG",@progbits,_ZN7rocprim17ROCPRIM_400000_NS6detail17trampoline_kernelINS0_14default_configENS1_25transform_config_selectorIjLb0EEEZNS1_14transform_implILb0ES3_S5_N6thrust23THRUST_200600_302600_NS6detail15normal_iteratorINS8_10device_ptrIjEEEEPjNS0_8identityIjEEEE10hipError_tT2_T3_mT4_P12ihipStream_tbEUlT_E_NS1_11comp_targetILNS1_3genE5ELNS1_11target_archE942ELNS1_3gpuE9ELNS1_3repE0EEENS1_30default_config_static_selectorELNS0_4arch9wavefront6targetE0EEEvT1_,comdat
	.protected	_ZN7rocprim17ROCPRIM_400000_NS6detail17trampoline_kernelINS0_14default_configENS1_25transform_config_selectorIjLb0EEEZNS1_14transform_implILb0ES3_S5_N6thrust23THRUST_200600_302600_NS6detail15normal_iteratorINS8_10device_ptrIjEEEEPjNS0_8identityIjEEEE10hipError_tT2_T3_mT4_P12ihipStream_tbEUlT_E_NS1_11comp_targetILNS1_3genE5ELNS1_11target_archE942ELNS1_3gpuE9ELNS1_3repE0EEENS1_30default_config_static_selectorELNS0_4arch9wavefront6targetE0EEEvT1_ ; -- Begin function _ZN7rocprim17ROCPRIM_400000_NS6detail17trampoline_kernelINS0_14default_configENS1_25transform_config_selectorIjLb0EEEZNS1_14transform_implILb0ES3_S5_N6thrust23THRUST_200600_302600_NS6detail15normal_iteratorINS8_10device_ptrIjEEEEPjNS0_8identityIjEEEE10hipError_tT2_T3_mT4_P12ihipStream_tbEUlT_E_NS1_11comp_targetILNS1_3genE5ELNS1_11target_archE942ELNS1_3gpuE9ELNS1_3repE0EEENS1_30default_config_static_selectorELNS0_4arch9wavefront6targetE0EEEvT1_
	.globl	_ZN7rocprim17ROCPRIM_400000_NS6detail17trampoline_kernelINS0_14default_configENS1_25transform_config_selectorIjLb0EEEZNS1_14transform_implILb0ES3_S5_N6thrust23THRUST_200600_302600_NS6detail15normal_iteratorINS8_10device_ptrIjEEEEPjNS0_8identityIjEEEE10hipError_tT2_T3_mT4_P12ihipStream_tbEUlT_E_NS1_11comp_targetILNS1_3genE5ELNS1_11target_archE942ELNS1_3gpuE9ELNS1_3repE0EEENS1_30default_config_static_selectorELNS0_4arch9wavefront6targetE0EEEvT1_
	.p2align	8
	.type	_ZN7rocprim17ROCPRIM_400000_NS6detail17trampoline_kernelINS0_14default_configENS1_25transform_config_selectorIjLb0EEEZNS1_14transform_implILb0ES3_S5_N6thrust23THRUST_200600_302600_NS6detail15normal_iteratorINS8_10device_ptrIjEEEEPjNS0_8identityIjEEEE10hipError_tT2_T3_mT4_P12ihipStream_tbEUlT_E_NS1_11comp_targetILNS1_3genE5ELNS1_11target_archE942ELNS1_3gpuE9ELNS1_3repE0EEENS1_30default_config_static_selectorELNS0_4arch9wavefront6targetE0EEEvT1_,@function
_ZN7rocprim17ROCPRIM_400000_NS6detail17trampoline_kernelINS0_14default_configENS1_25transform_config_selectorIjLb0EEEZNS1_14transform_implILb0ES3_S5_N6thrust23THRUST_200600_302600_NS6detail15normal_iteratorINS8_10device_ptrIjEEEEPjNS0_8identityIjEEEE10hipError_tT2_T3_mT4_P12ihipStream_tbEUlT_E_NS1_11comp_targetILNS1_3genE5ELNS1_11target_archE942ELNS1_3gpuE9ELNS1_3repE0EEENS1_30default_config_static_selectorELNS0_4arch9wavefront6targetE0EEEvT1_: ; @_ZN7rocprim17ROCPRIM_400000_NS6detail17trampoline_kernelINS0_14default_configENS1_25transform_config_selectorIjLb0EEEZNS1_14transform_implILb0ES3_S5_N6thrust23THRUST_200600_302600_NS6detail15normal_iteratorINS8_10device_ptrIjEEEEPjNS0_8identityIjEEEE10hipError_tT2_T3_mT4_P12ihipStream_tbEUlT_E_NS1_11comp_targetILNS1_3genE5ELNS1_11target_archE942ELNS1_3gpuE9ELNS1_3repE0EEENS1_30default_config_static_selectorELNS0_4arch9wavefront6targetE0EEEvT1_
; %bb.0:
	.section	.rodata,"a",@progbits
	.p2align	6, 0x0
	.amdhsa_kernel _ZN7rocprim17ROCPRIM_400000_NS6detail17trampoline_kernelINS0_14default_configENS1_25transform_config_selectorIjLb0EEEZNS1_14transform_implILb0ES3_S5_N6thrust23THRUST_200600_302600_NS6detail15normal_iteratorINS8_10device_ptrIjEEEEPjNS0_8identityIjEEEE10hipError_tT2_T3_mT4_P12ihipStream_tbEUlT_E_NS1_11comp_targetILNS1_3genE5ELNS1_11target_archE942ELNS1_3gpuE9ELNS1_3repE0EEENS1_30default_config_static_selectorELNS0_4arch9wavefront6targetE0EEEvT1_
		.amdhsa_group_segment_fixed_size 0
		.amdhsa_private_segment_fixed_size 0
		.amdhsa_kernarg_size 40
		.amdhsa_user_sgpr_count 6
		.amdhsa_user_sgpr_private_segment_buffer 1
		.amdhsa_user_sgpr_dispatch_ptr 0
		.amdhsa_user_sgpr_queue_ptr 0
		.amdhsa_user_sgpr_kernarg_segment_ptr 1
		.amdhsa_user_sgpr_dispatch_id 0
		.amdhsa_user_sgpr_flat_scratch_init 0
		.amdhsa_user_sgpr_private_segment_size 0
		.amdhsa_wavefront_size32 1
		.amdhsa_uses_dynamic_stack 0
		.amdhsa_system_sgpr_private_segment_wavefront_offset 0
		.amdhsa_system_sgpr_workgroup_id_x 1
		.amdhsa_system_sgpr_workgroup_id_y 0
		.amdhsa_system_sgpr_workgroup_id_z 0
		.amdhsa_system_sgpr_workgroup_info 0
		.amdhsa_system_vgpr_workitem_id 0
		.amdhsa_next_free_vgpr 1
		.amdhsa_next_free_sgpr 1
		.amdhsa_reserve_vcc 0
		.amdhsa_reserve_flat_scratch 0
		.amdhsa_float_round_mode_32 0
		.amdhsa_float_round_mode_16_64 0
		.amdhsa_float_denorm_mode_32 3
		.amdhsa_float_denorm_mode_16_64 3
		.amdhsa_dx10_clamp 1
		.amdhsa_ieee_mode 1
		.amdhsa_fp16_overflow 0
		.amdhsa_workgroup_processor_mode 1
		.amdhsa_memory_ordered 1
		.amdhsa_forward_progress 1
		.amdhsa_shared_vgpr_count 0
		.amdhsa_exception_fp_ieee_invalid_op 0
		.amdhsa_exception_fp_denorm_src 0
		.amdhsa_exception_fp_ieee_div_zero 0
		.amdhsa_exception_fp_ieee_overflow 0
		.amdhsa_exception_fp_ieee_underflow 0
		.amdhsa_exception_fp_ieee_inexact 0
		.amdhsa_exception_int_div_zero 0
	.end_amdhsa_kernel
	.section	.text._ZN7rocprim17ROCPRIM_400000_NS6detail17trampoline_kernelINS0_14default_configENS1_25transform_config_selectorIjLb0EEEZNS1_14transform_implILb0ES3_S5_N6thrust23THRUST_200600_302600_NS6detail15normal_iteratorINS8_10device_ptrIjEEEEPjNS0_8identityIjEEEE10hipError_tT2_T3_mT4_P12ihipStream_tbEUlT_E_NS1_11comp_targetILNS1_3genE5ELNS1_11target_archE942ELNS1_3gpuE9ELNS1_3repE0EEENS1_30default_config_static_selectorELNS0_4arch9wavefront6targetE0EEEvT1_,"axG",@progbits,_ZN7rocprim17ROCPRIM_400000_NS6detail17trampoline_kernelINS0_14default_configENS1_25transform_config_selectorIjLb0EEEZNS1_14transform_implILb0ES3_S5_N6thrust23THRUST_200600_302600_NS6detail15normal_iteratorINS8_10device_ptrIjEEEEPjNS0_8identityIjEEEE10hipError_tT2_T3_mT4_P12ihipStream_tbEUlT_E_NS1_11comp_targetILNS1_3genE5ELNS1_11target_archE942ELNS1_3gpuE9ELNS1_3repE0EEENS1_30default_config_static_selectorELNS0_4arch9wavefront6targetE0EEEvT1_,comdat
.Lfunc_end158:
	.size	_ZN7rocprim17ROCPRIM_400000_NS6detail17trampoline_kernelINS0_14default_configENS1_25transform_config_selectorIjLb0EEEZNS1_14transform_implILb0ES3_S5_N6thrust23THRUST_200600_302600_NS6detail15normal_iteratorINS8_10device_ptrIjEEEEPjNS0_8identityIjEEEE10hipError_tT2_T3_mT4_P12ihipStream_tbEUlT_E_NS1_11comp_targetILNS1_3genE5ELNS1_11target_archE942ELNS1_3gpuE9ELNS1_3repE0EEENS1_30default_config_static_selectorELNS0_4arch9wavefront6targetE0EEEvT1_, .Lfunc_end158-_ZN7rocprim17ROCPRIM_400000_NS6detail17trampoline_kernelINS0_14default_configENS1_25transform_config_selectorIjLb0EEEZNS1_14transform_implILb0ES3_S5_N6thrust23THRUST_200600_302600_NS6detail15normal_iteratorINS8_10device_ptrIjEEEEPjNS0_8identityIjEEEE10hipError_tT2_T3_mT4_P12ihipStream_tbEUlT_E_NS1_11comp_targetILNS1_3genE5ELNS1_11target_archE942ELNS1_3gpuE9ELNS1_3repE0EEENS1_30default_config_static_selectorELNS0_4arch9wavefront6targetE0EEEvT1_
                                        ; -- End function
	.set _ZN7rocprim17ROCPRIM_400000_NS6detail17trampoline_kernelINS0_14default_configENS1_25transform_config_selectorIjLb0EEEZNS1_14transform_implILb0ES3_S5_N6thrust23THRUST_200600_302600_NS6detail15normal_iteratorINS8_10device_ptrIjEEEEPjNS0_8identityIjEEEE10hipError_tT2_T3_mT4_P12ihipStream_tbEUlT_E_NS1_11comp_targetILNS1_3genE5ELNS1_11target_archE942ELNS1_3gpuE9ELNS1_3repE0EEENS1_30default_config_static_selectorELNS0_4arch9wavefront6targetE0EEEvT1_.num_vgpr, 0
	.set _ZN7rocprim17ROCPRIM_400000_NS6detail17trampoline_kernelINS0_14default_configENS1_25transform_config_selectorIjLb0EEEZNS1_14transform_implILb0ES3_S5_N6thrust23THRUST_200600_302600_NS6detail15normal_iteratorINS8_10device_ptrIjEEEEPjNS0_8identityIjEEEE10hipError_tT2_T3_mT4_P12ihipStream_tbEUlT_E_NS1_11comp_targetILNS1_3genE5ELNS1_11target_archE942ELNS1_3gpuE9ELNS1_3repE0EEENS1_30default_config_static_selectorELNS0_4arch9wavefront6targetE0EEEvT1_.num_agpr, 0
	.set _ZN7rocprim17ROCPRIM_400000_NS6detail17trampoline_kernelINS0_14default_configENS1_25transform_config_selectorIjLb0EEEZNS1_14transform_implILb0ES3_S5_N6thrust23THRUST_200600_302600_NS6detail15normal_iteratorINS8_10device_ptrIjEEEEPjNS0_8identityIjEEEE10hipError_tT2_T3_mT4_P12ihipStream_tbEUlT_E_NS1_11comp_targetILNS1_3genE5ELNS1_11target_archE942ELNS1_3gpuE9ELNS1_3repE0EEENS1_30default_config_static_selectorELNS0_4arch9wavefront6targetE0EEEvT1_.numbered_sgpr, 0
	.set _ZN7rocprim17ROCPRIM_400000_NS6detail17trampoline_kernelINS0_14default_configENS1_25transform_config_selectorIjLb0EEEZNS1_14transform_implILb0ES3_S5_N6thrust23THRUST_200600_302600_NS6detail15normal_iteratorINS8_10device_ptrIjEEEEPjNS0_8identityIjEEEE10hipError_tT2_T3_mT4_P12ihipStream_tbEUlT_E_NS1_11comp_targetILNS1_3genE5ELNS1_11target_archE942ELNS1_3gpuE9ELNS1_3repE0EEENS1_30default_config_static_selectorELNS0_4arch9wavefront6targetE0EEEvT1_.num_named_barrier, 0
	.set _ZN7rocprim17ROCPRIM_400000_NS6detail17trampoline_kernelINS0_14default_configENS1_25transform_config_selectorIjLb0EEEZNS1_14transform_implILb0ES3_S5_N6thrust23THRUST_200600_302600_NS6detail15normal_iteratorINS8_10device_ptrIjEEEEPjNS0_8identityIjEEEE10hipError_tT2_T3_mT4_P12ihipStream_tbEUlT_E_NS1_11comp_targetILNS1_3genE5ELNS1_11target_archE942ELNS1_3gpuE9ELNS1_3repE0EEENS1_30default_config_static_selectorELNS0_4arch9wavefront6targetE0EEEvT1_.private_seg_size, 0
	.set _ZN7rocprim17ROCPRIM_400000_NS6detail17trampoline_kernelINS0_14default_configENS1_25transform_config_selectorIjLb0EEEZNS1_14transform_implILb0ES3_S5_N6thrust23THRUST_200600_302600_NS6detail15normal_iteratorINS8_10device_ptrIjEEEEPjNS0_8identityIjEEEE10hipError_tT2_T3_mT4_P12ihipStream_tbEUlT_E_NS1_11comp_targetILNS1_3genE5ELNS1_11target_archE942ELNS1_3gpuE9ELNS1_3repE0EEENS1_30default_config_static_selectorELNS0_4arch9wavefront6targetE0EEEvT1_.uses_vcc, 0
	.set _ZN7rocprim17ROCPRIM_400000_NS6detail17trampoline_kernelINS0_14default_configENS1_25transform_config_selectorIjLb0EEEZNS1_14transform_implILb0ES3_S5_N6thrust23THRUST_200600_302600_NS6detail15normal_iteratorINS8_10device_ptrIjEEEEPjNS0_8identityIjEEEE10hipError_tT2_T3_mT4_P12ihipStream_tbEUlT_E_NS1_11comp_targetILNS1_3genE5ELNS1_11target_archE942ELNS1_3gpuE9ELNS1_3repE0EEENS1_30default_config_static_selectorELNS0_4arch9wavefront6targetE0EEEvT1_.uses_flat_scratch, 0
	.set _ZN7rocprim17ROCPRIM_400000_NS6detail17trampoline_kernelINS0_14default_configENS1_25transform_config_selectorIjLb0EEEZNS1_14transform_implILb0ES3_S5_N6thrust23THRUST_200600_302600_NS6detail15normal_iteratorINS8_10device_ptrIjEEEEPjNS0_8identityIjEEEE10hipError_tT2_T3_mT4_P12ihipStream_tbEUlT_E_NS1_11comp_targetILNS1_3genE5ELNS1_11target_archE942ELNS1_3gpuE9ELNS1_3repE0EEENS1_30default_config_static_selectorELNS0_4arch9wavefront6targetE0EEEvT1_.has_dyn_sized_stack, 0
	.set _ZN7rocprim17ROCPRIM_400000_NS6detail17trampoline_kernelINS0_14default_configENS1_25transform_config_selectorIjLb0EEEZNS1_14transform_implILb0ES3_S5_N6thrust23THRUST_200600_302600_NS6detail15normal_iteratorINS8_10device_ptrIjEEEEPjNS0_8identityIjEEEE10hipError_tT2_T3_mT4_P12ihipStream_tbEUlT_E_NS1_11comp_targetILNS1_3genE5ELNS1_11target_archE942ELNS1_3gpuE9ELNS1_3repE0EEENS1_30default_config_static_selectorELNS0_4arch9wavefront6targetE0EEEvT1_.has_recursion, 0
	.set _ZN7rocprim17ROCPRIM_400000_NS6detail17trampoline_kernelINS0_14default_configENS1_25transform_config_selectorIjLb0EEEZNS1_14transform_implILb0ES3_S5_N6thrust23THRUST_200600_302600_NS6detail15normal_iteratorINS8_10device_ptrIjEEEEPjNS0_8identityIjEEEE10hipError_tT2_T3_mT4_P12ihipStream_tbEUlT_E_NS1_11comp_targetILNS1_3genE5ELNS1_11target_archE942ELNS1_3gpuE9ELNS1_3repE0EEENS1_30default_config_static_selectorELNS0_4arch9wavefront6targetE0EEEvT1_.has_indirect_call, 0
	.section	.AMDGPU.csdata,"",@progbits
; Kernel info:
; codeLenInByte = 0
; TotalNumSgprs: 0
; NumVgprs: 0
; ScratchSize: 0
; MemoryBound: 0
; FloatMode: 240
; IeeeMode: 1
; LDSByteSize: 0 bytes/workgroup (compile time only)
; SGPRBlocks: 0
; VGPRBlocks: 0
; NumSGPRsForWavesPerEU: 1
; NumVGPRsForWavesPerEU: 1
; Occupancy: 16
; WaveLimiterHint : 0
; COMPUTE_PGM_RSRC2:SCRATCH_EN: 0
; COMPUTE_PGM_RSRC2:USER_SGPR: 6
; COMPUTE_PGM_RSRC2:TRAP_HANDLER: 0
; COMPUTE_PGM_RSRC2:TGID_X_EN: 1
; COMPUTE_PGM_RSRC2:TGID_Y_EN: 0
; COMPUTE_PGM_RSRC2:TGID_Z_EN: 0
; COMPUTE_PGM_RSRC2:TIDIG_COMP_CNT: 0
	.section	.text._ZN7rocprim17ROCPRIM_400000_NS6detail17trampoline_kernelINS0_14default_configENS1_25transform_config_selectorIjLb0EEEZNS1_14transform_implILb0ES3_S5_N6thrust23THRUST_200600_302600_NS6detail15normal_iteratorINS8_10device_ptrIjEEEEPjNS0_8identityIjEEEE10hipError_tT2_T3_mT4_P12ihipStream_tbEUlT_E_NS1_11comp_targetILNS1_3genE4ELNS1_11target_archE910ELNS1_3gpuE8ELNS1_3repE0EEENS1_30default_config_static_selectorELNS0_4arch9wavefront6targetE0EEEvT1_,"axG",@progbits,_ZN7rocprim17ROCPRIM_400000_NS6detail17trampoline_kernelINS0_14default_configENS1_25transform_config_selectorIjLb0EEEZNS1_14transform_implILb0ES3_S5_N6thrust23THRUST_200600_302600_NS6detail15normal_iteratorINS8_10device_ptrIjEEEEPjNS0_8identityIjEEEE10hipError_tT2_T3_mT4_P12ihipStream_tbEUlT_E_NS1_11comp_targetILNS1_3genE4ELNS1_11target_archE910ELNS1_3gpuE8ELNS1_3repE0EEENS1_30default_config_static_selectorELNS0_4arch9wavefront6targetE0EEEvT1_,comdat
	.protected	_ZN7rocprim17ROCPRIM_400000_NS6detail17trampoline_kernelINS0_14default_configENS1_25transform_config_selectorIjLb0EEEZNS1_14transform_implILb0ES3_S5_N6thrust23THRUST_200600_302600_NS6detail15normal_iteratorINS8_10device_ptrIjEEEEPjNS0_8identityIjEEEE10hipError_tT2_T3_mT4_P12ihipStream_tbEUlT_E_NS1_11comp_targetILNS1_3genE4ELNS1_11target_archE910ELNS1_3gpuE8ELNS1_3repE0EEENS1_30default_config_static_selectorELNS0_4arch9wavefront6targetE0EEEvT1_ ; -- Begin function _ZN7rocprim17ROCPRIM_400000_NS6detail17trampoline_kernelINS0_14default_configENS1_25transform_config_selectorIjLb0EEEZNS1_14transform_implILb0ES3_S5_N6thrust23THRUST_200600_302600_NS6detail15normal_iteratorINS8_10device_ptrIjEEEEPjNS0_8identityIjEEEE10hipError_tT2_T3_mT4_P12ihipStream_tbEUlT_E_NS1_11comp_targetILNS1_3genE4ELNS1_11target_archE910ELNS1_3gpuE8ELNS1_3repE0EEENS1_30default_config_static_selectorELNS0_4arch9wavefront6targetE0EEEvT1_
	.globl	_ZN7rocprim17ROCPRIM_400000_NS6detail17trampoline_kernelINS0_14default_configENS1_25transform_config_selectorIjLb0EEEZNS1_14transform_implILb0ES3_S5_N6thrust23THRUST_200600_302600_NS6detail15normal_iteratorINS8_10device_ptrIjEEEEPjNS0_8identityIjEEEE10hipError_tT2_T3_mT4_P12ihipStream_tbEUlT_E_NS1_11comp_targetILNS1_3genE4ELNS1_11target_archE910ELNS1_3gpuE8ELNS1_3repE0EEENS1_30default_config_static_selectorELNS0_4arch9wavefront6targetE0EEEvT1_
	.p2align	8
	.type	_ZN7rocprim17ROCPRIM_400000_NS6detail17trampoline_kernelINS0_14default_configENS1_25transform_config_selectorIjLb0EEEZNS1_14transform_implILb0ES3_S5_N6thrust23THRUST_200600_302600_NS6detail15normal_iteratorINS8_10device_ptrIjEEEEPjNS0_8identityIjEEEE10hipError_tT2_T3_mT4_P12ihipStream_tbEUlT_E_NS1_11comp_targetILNS1_3genE4ELNS1_11target_archE910ELNS1_3gpuE8ELNS1_3repE0EEENS1_30default_config_static_selectorELNS0_4arch9wavefront6targetE0EEEvT1_,@function
_ZN7rocprim17ROCPRIM_400000_NS6detail17trampoline_kernelINS0_14default_configENS1_25transform_config_selectorIjLb0EEEZNS1_14transform_implILb0ES3_S5_N6thrust23THRUST_200600_302600_NS6detail15normal_iteratorINS8_10device_ptrIjEEEEPjNS0_8identityIjEEEE10hipError_tT2_T3_mT4_P12ihipStream_tbEUlT_E_NS1_11comp_targetILNS1_3genE4ELNS1_11target_archE910ELNS1_3gpuE8ELNS1_3repE0EEENS1_30default_config_static_selectorELNS0_4arch9wavefront6targetE0EEEvT1_: ; @_ZN7rocprim17ROCPRIM_400000_NS6detail17trampoline_kernelINS0_14default_configENS1_25transform_config_selectorIjLb0EEEZNS1_14transform_implILb0ES3_S5_N6thrust23THRUST_200600_302600_NS6detail15normal_iteratorINS8_10device_ptrIjEEEEPjNS0_8identityIjEEEE10hipError_tT2_T3_mT4_P12ihipStream_tbEUlT_E_NS1_11comp_targetILNS1_3genE4ELNS1_11target_archE910ELNS1_3gpuE8ELNS1_3repE0EEENS1_30default_config_static_selectorELNS0_4arch9wavefront6targetE0EEEvT1_
; %bb.0:
	.section	.rodata,"a",@progbits
	.p2align	6, 0x0
	.amdhsa_kernel _ZN7rocprim17ROCPRIM_400000_NS6detail17trampoline_kernelINS0_14default_configENS1_25transform_config_selectorIjLb0EEEZNS1_14transform_implILb0ES3_S5_N6thrust23THRUST_200600_302600_NS6detail15normal_iteratorINS8_10device_ptrIjEEEEPjNS0_8identityIjEEEE10hipError_tT2_T3_mT4_P12ihipStream_tbEUlT_E_NS1_11comp_targetILNS1_3genE4ELNS1_11target_archE910ELNS1_3gpuE8ELNS1_3repE0EEENS1_30default_config_static_selectorELNS0_4arch9wavefront6targetE0EEEvT1_
		.amdhsa_group_segment_fixed_size 0
		.amdhsa_private_segment_fixed_size 0
		.amdhsa_kernarg_size 40
		.amdhsa_user_sgpr_count 6
		.amdhsa_user_sgpr_private_segment_buffer 1
		.amdhsa_user_sgpr_dispatch_ptr 0
		.amdhsa_user_sgpr_queue_ptr 0
		.amdhsa_user_sgpr_kernarg_segment_ptr 1
		.amdhsa_user_sgpr_dispatch_id 0
		.amdhsa_user_sgpr_flat_scratch_init 0
		.amdhsa_user_sgpr_private_segment_size 0
		.amdhsa_wavefront_size32 1
		.amdhsa_uses_dynamic_stack 0
		.amdhsa_system_sgpr_private_segment_wavefront_offset 0
		.amdhsa_system_sgpr_workgroup_id_x 1
		.amdhsa_system_sgpr_workgroup_id_y 0
		.amdhsa_system_sgpr_workgroup_id_z 0
		.amdhsa_system_sgpr_workgroup_info 0
		.amdhsa_system_vgpr_workitem_id 0
		.amdhsa_next_free_vgpr 1
		.amdhsa_next_free_sgpr 1
		.amdhsa_reserve_vcc 0
		.amdhsa_reserve_flat_scratch 0
		.amdhsa_float_round_mode_32 0
		.amdhsa_float_round_mode_16_64 0
		.amdhsa_float_denorm_mode_32 3
		.amdhsa_float_denorm_mode_16_64 3
		.amdhsa_dx10_clamp 1
		.amdhsa_ieee_mode 1
		.amdhsa_fp16_overflow 0
		.amdhsa_workgroup_processor_mode 1
		.amdhsa_memory_ordered 1
		.amdhsa_forward_progress 1
		.amdhsa_shared_vgpr_count 0
		.amdhsa_exception_fp_ieee_invalid_op 0
		.amdhsa_exception_fp_denorm_src 0
		.amdhsa_exception_fp_ieee_div_zero 0
		.amdhsa_exception_fp_ieee_overflow 0
		.amdhsa_exception_fp_ieee_underflow 0
		.amdhsa_exception_fp_ieee_inexact 0
		.amdhsa_exception_int_div_zero 0
	.end_amdhsa_kernel
	.section	.text._ZN7rocprim17ROCPRIM_400000_NS6detail17trampoline_kernelINS0_14default_configENS1_25transform_config_selectorIjLb0EEEZNS1_14transform_implILb0ES3_S5_N6thrust23THRUST_200600_302600_NS6detail15normal_iteratorINS8_10device_ptrIjEEEEPjNS0_8identityIjEEEE10hipError_tT2_T3_mT4_P12ihipStream_tbEUlT_E_NS1_11comp_targetILNS1_3genE4ELNS1_11target_archE910ELNS1_3gpuE8ELNS1_3repE0EEENS1_30default_config_static_selectorELNS0_4arch9wavefront6targetE0EEEvT1_,"axG",@progbits,_ZN7rocprim17ROCPRIM_400000_NS6detail17trampoline_kernelINS0_14default_configENS1_25transform_config_selectorIjLb0EEEZNS1_14transform_implILb0ES3_S5_N6thrust23THRUST_200600_302600_NS6detail15normal_iteratorINS8_10device_ptrIjEEEEPjNS0_8identityIjEEEE10hipError_tT2_T3_mT4_P12ihipStream_tbEUlT_E_NS1_11comp_targetILNS1_3genE4ELNS1_11target_archE910ELNS1_3gpuE8ELNS1_3repE0EEENS1_30default_config_static_selectorELNS0_4arch9wavefront6targetE0EEEvT1_,comdat
.Lfunc_end159:
	.size	_ZN7rocprim17ROCPRIM_400000_NS6detail17trampoline_kernelINS0_14default_configENS1_25transform_config_selectorIjLb0EEEZNS1_14transform_implILb0ES3_S5_N6thrust23THRUST_200600_302600_NS6detail15normal_iteratorINS8_10device_ptrIjEEEEPjNS0_8identityIjEEEE10hipError_tT2_T3_mT4_P12ihipStream_tbEUlT_E_NS1_11comp_targetILNS1_3genE4ELNS1_11target_archE910ELNS1_3gpuE8ELNS1_3repE0EEENS1_30default_config_static_selectorELNS0_4arch9wavefront6targetE0EEEvT1_, .Lfunc_end159-_ZN7rocprim17ROCPRIM_400000_NS6detail17trampoline_kernelINS0_14default_configENS1_25transform_config_selectorIjLb0EEEZNS1_14transform_implILb0ES3_S5_N6thrust23THRUST_200600_302600_NS6detail15normal_iteratorINS8_10device_ptrIjEEEEPjNS0_8identityIjEEEE10hipError_tT2_T3_mT4_P12ihipStream_tbEUlT_E_NS1_11comp_targetILNS1_3genE4ELNS1_11target_archE910ELNS1_3gpuE8ELNS1_3repE0EEENS1_30default_config_static_selectorELNS0_4arch9wavefront6targetE0EEEvT1_
                                        ; -- End function
	.set _ZN7rocprim17ROCPRIM_400000_NS6detail17trampoline_kernelINS0_14default_configENS1_25transform_config_selectorIjLb0EEEZNS1_14transform_implILb0ES3_S5_N6thrust23THRUST_200600_302600_NS6detail15normal_iteratorINS8_10device_ptrIjEEEEPjNS0_8identityIjEEEE10hipError_tT2_T3_mT4_P12ihipStream_tbEUlT_E_NS1_11comp_targetILNS1_3genE4ELNS1_11target_archE910ELNS1_3gpuE8ELNS1_3repE0EEENS1_30default_config_static_selectorELNS0_4arch9wavefront6targetE0EEEvT1_.num_vgpr, 0
	.set _ZN7rocprim17ROCPRIM_400000_NS6detail17trampoline_kernelINS0_14default_configENS1_25transform_config_selectorIjLb0EEEZNS1_14transform_implILb0ES3_S5_N6thrust23THRUST_200600_302600_NS6detail15normal_iteratorINS8_10device_ptrIjEEEEPjNS0_8identityIjEEEE10hipError_tT2_T3_mT4_P12ihipStream_tbEUlT_E_NS1_11comp_targetILNS1_3genE4ELNS1_11target_archE910ELNS1_3gpuE8ELNS1_3repE0EEENS1_30default_config_static_selectorELNS0_4arch9wavefront6targetE0EEEvT1_.num_agpr, 0
	.set _ZN7rocprim17ROCPRIM_400000_NS6detail17trampoline_kernelINS0_14default_configENS1_25transform_config_selectorIjLb0EEEZNS1_14transform_implILb0ES3_S5_N6thrust23THRUST_200600_302600_NS6detail15normal_iteratorINS8_10device_ptrIjEEEEPjNS0_8identityIjEEEE10hipError_tT2_T3_mT4_P12ihipStream_tbEUlT_E_NS1_11comp_targetILNS1_3genE4ELNS1_11target_archE910ELNS1_3gpuE8ELNS1_3repE0EEENS1_30default_config_static_selectorELNS0_4arch9wavefront6targetE0EEEvT1_.numbered_sgpr, 0
	.set _ZN7rocprim17ROCPRIM_400000_NS6detail17trampoline_kernelINS0_14default_configENS1_25transform_config_selectorIjLb0EEEZNS1_14transform_implILb0ES3_S5_N6thrust23THRUST_200600_302600_NS6detail15normal_iteratorINS8_10device_ptrIjEEEEPjNS0_8identityIjEEEE10hipError_tT2_T3_mT4_P12ihipStream_tbEUlT_E_NS1_11comp_targetILNS1_3genE4ELNS1_11target_archE910ELNS1_3gpuE8ELNS1_3repE0EEENS1_30default_config_static_selectorELNS0_4arch9wavefront6targetE0EEEvT1_.num_named_barrier, 0
	.set _ZN7rocprim17ROCPRIM_400000_NS6detail17trampoline_kernelINS0_14default_configENS1_25transform_config_selectorIjLb0EEEZNS1_14transform_implILb0ES3_S5_N6thrust23THRUST_200600_302600_NS6detail15normal_iteratorINS8_10device_ptrIjEEEEPjNS0_8identityIjEEEE10hipError_tT2_T3_mT4_P12ihipStream_tbEUlT_E_NS1_11comp_targetILNS1_3genE4ELNS1_11target_archE910ELNS1_3gpuE8ELNS1_3repE0EEENS1_30default_config_static_selectorELNS0_4arch9wavefront6targetE0EEEvT1_.private_seg_size, 0
	.set _ZN7rocprim17ROCPRIM_400000_NS6detail17trampoline_kernelINS0_14default_configENS1_25transform_config_selectorIjLb0EEEZNS1_14transform_implILb0ES3_S5_N6thrust23THRUST_200600_302600_NS6detail15normal_iteratorINS8_10device_ptrIjEEEEPjNS0_8identityIjEEEE10hipError_tT2_T3_mT4_P12ihipStream_tbEUlT_E_NS1_11comp_targetILNS1_3genE4ELNS1_11target_archE910ELNS1_3gpuE8ELNS1_3repE0EEENS1_30default_config_static_selectorELNS0_4arch9wavefront6targetE0EEEvT1_.uses_vcc, 0
	.set _ZN7rocprim17ROCPRIM_400000_NS6detail17trampoline_kernelINS0_14default_configENS1_25transform_config_selectorIjLb0EEEZNS1_14transform_implILb0ES3_S5_N6thrust23THRUST_200600_302600_NS6detail15normal_iteratorINS8_10device_ptrIjEEEEPjNS0_8identityIjEEEE10hipError_tT2_T3_mT4_P12ihipStream_tbEUlT_E_NS1_11comp_targetILNS1_3genE4ELNS1_11target_archE910ELNS1_3gpuE8ELNS1_3repE0EEENS1_30default_config_static_selectorELNS0_4arch9wavefront6targetE0EEEvT1_.uses_flat_scratch, 0
	.set _ZN7rocprim17ROCPRIM_400000_NS6detail17trampoline_kernelINS0_14default_configENS1_25transform_config_selectorIjLb0EEEZNS1_14transform_implILb0ES3_S5_N6thrust23THRUST_200600_302600_NS6detail15normal_iteratorINS8_10device_ptrIjEEEEPjNS0_8identityIjEEEE10hipError_tT2_T3_mT4_P12ihipStream_tbEUlT_E_NS1_11comp_targetILNS1_3genE4ELNS1_11target_archE910ELNS1_3gpuE8ELNS1_3repE0EEENS1_30default_config_static_selectorELNS0_4arch9wavefront6targetE0EEEvT1_.has_dyn_sized_stack, 0
	.set _ZN7rocprim17ROCPRIM_400000_NS6detail17trampoline_kernelINS0_14default_configENS1_25transform_config_selectorIjLb0EEEZNS1_14transform_implILb0ES3_S5_N6thrust23THRUST_200600_302600_NS6detail15normal_iteratorINS8_10device_ptrIjEEEEPjNS0_8identityIjEEEE10hipError_tT2_T3_mT4_P12ihipStream_tbEUlT_E_NS1_11comp_targetILNS1_3genE4ELNS1_11target_archE910ELNS1_3gpuE8ELNS1_3repE0EEENS1_30default_config_static_selectorELNS0_4arch9wavefront6targetE0EEEvT1_.has_recursion, 0
	.set _ZN7rocprim17ROCPRIM_400000_NS6detail17trampoline_kernelINS0_14default_configENS1_25transform_config_selectorIjLb0EEEZNS1_14transform_implILb0ES3_S5_N6thrust23THRUST_200600_302600_NS6detail15normal_iteratorINS8_10device_ptrIjEEEEPjNS0_8identityIjEEEE10hipError_tT2_T3_mT4_P12ihipStream_tbEUlT_E_NS1_11comp_targetILNS1_3genE4ELNS1_11target_archE910ELNS1_3gpuE8ELNS1_3repE0EEENS1_30default_config_static_selectorELNS0_4arch9wavefront6targetE0EEEvT1_.has_indirect_call, 0
	.section	.AMDGPU.csdata,"",@progbits
; Kernel info:
; codeLenInByte = 0
; TotalNumSgprs: 0
; NumVgprs: 0
; ScratchSize: 0
; MemoryBound: 0
; FloatMode: 240
; IeeeMode: 1
; LDSByteSize: 0 bytes/workgroup (compile time only)
; SGPRBlocks: 0
; VGPRBlocks: 0
; NumSGPRsForWavesPerEU: 1
; NumVGPRsForWavesPerEU: 1
; Occupancy: 16
; WaveLimiterHint : 0
; COMPUTE_PGM_RSRC2:SCRATCH_EN: 0
; COMPUTE_PGM_RSRC2:USER_SGPR: 6
; COMPUTE_PGM_RSRC2:TRAP_HANDLER: 0
; COMPUTE_PGM_RSRC2:TGID_X_EN: 1
; COMPUTE_PGM_RSRC2:TGID_Y_EN: 0
; COMPUTE_PGM_RSRC2:TGID_Z_EN: 0
; COMPUTE_PGM_RSRC2:TIDIG_COMP_CNT: 0
	.section	.text._ZN7rocprim17ROCPRIM_400000_NS6detail17trampoline_kernelINS0_14default_configENS1_25transform_config_selectorIjLb0EEEZNS1_14transform_implILb0ES3_S5_N6thrust23THRUST_200600_302600_NS6detail15normal_iteratorINS8_10device_ptrIjEEEEPjNS0_8identityIjEEEE10hipError_tT2_T3_mT4_P12ihipStream_tbEUlT_E_NS1_11comp_targetILNS1_3genE3ELNS1_11target_archE908ELNS1_3gpuE7ELNS1_3repE0EEENS1_30default_config_static_selectorELNS0_4arch9wavefront6targetE0EEEvT1_,"axG",@progbits,_ZN7rocprim17ROCPRIM_400000_NS6detail17trampoline_kernelINS0_14default_configENS1_25transform_config_selectorIjLb0EEEZNS1_14transform_implILb0ES3_S5_N6thrust23THRUST_200600_302600_NS6detail15normal_iteratorINS8_10device_ptrIjEEEEPjNS0_8identityIjEEEE10hipError_tT2_T3_mT4_P12ihipStream_tbEUlT_E_NS1_11comp_targetILNS1_3genE3ELNS1_11target_archE908ELNS1_3gpuE7ELNS1_3repE0EEENS1_30default_config_static_selectorELNS0_4arch9wavefront6targetE0EEEvT1_,comdat
	.protected	_ZN7rocprim17ROCPRIM_400000_NS6detail17trampoline_kernelINS0_14default_configENS1_25transform_config_selectorIjLb0EEEZNS1_14transform_implILb0ES3_S5_N6thrust23THRUST_200600_302600_NS6detail15normal_iteratorINS8_10device_ptrIjEEEEPjNS0_8identityIjEEEE10hipError_tT2_T3_mT4_P12ihipStream_tbEUlT_E_NS1_11comp_targetILNS1_3genE3ELNS1_11target_archE908ELNS1_3gpuE7ELNS1_3repE0EEENS1_30default_config_static_selectorELNS0_4arch9wavefront6targetE0EEEvT1_ ; -- Begin function _ZN7rocprim17ROCPRIM_400000_NS6detail17trampoline_kernelINS0_14default_configENS1_25transform_config_selectorIjLb0EEEZNS1_14transform_implILb0ES3_S5_N6thrust23THRUST_200600_302600_NS6detail15normal_iteratorINS8_10device_ptrIjEEEEPjNS0_8identityIjEEEE10hipError_tT2_T3_mT4_P12ihipStream_tbEUlT_E_NS1_11comp_targetILNS1_3genE3ELNS1_11target_archE908ELNS1_3gpuE7ELNS1_3repE0EEENS1_30default_config_static_selectorELNS0_4arch9wavefront6targetE0EEEvT1_
	.globl	_ZN7rocprim17ROCPRIM_400000_NS6detail17trampoline_kernelINS0_14default_configENS1_25transform_config_selectorIjLb0EEEZNS1_14transform_implILb0ES3_S5_N6thrust23THRUST_200600_302600_NS6detail15normal_iteratorINS8_10device_ptrIjEEEEPjNS0_8identityIjEEEE10hipError_tT2_T3_mT4_P12ihipStream_tbEUlT_E_NS1_11comp_targetILNS1_3genE3ELNS1_11target_archE908ELNS1_3gpuE7ELNS1_3repE0EEENS1_30default_config_static_selectorELNS0_4arch9wavefront6targetE0EEEvT1_
	.p2align	8
	.type	_ZN7rocprim17ROCPRIM_400000_NS6detail17trampoline_kernelINS0_14default_configENS1_25transform_config_selectorIjLb0EEEZNS1_14transform_implILb0ES3_S5_N6thrust23THRUST_200600_302600_NS6detail15normal_iteratorINS8_10device_ptrIjEEEEPjNS0_8identityIjEEEE10hipError_tT2_T3_mT4_P12ihipStream_tbEUlT_E_NS1_11comp_targetILNS1_3genE3ELNS1_11target_archE908ELNS1_3gpuE7ELNS1_3repE0EEENS1_30default_config_static_selectorELNS0_4arch9wavefront6targetE0EEEvT1_,@function
_ZN7rocprim17ROCPRIM_400000_NS6detail17trampoline_kernelINS0_14default_configENS1_25transform_config_selectorIjLb0EEEZNS1_14transform_implILb0ES3_S5_N6thrust23THRUST_200600_302600_NS6detail15normal_iteratorINS8_10device_ptrIjEEEEPjNS0_8identityIjEEEE10hipError_tT2_T3_mT4_P12ihipStream_tbEUlT_E_NS1_11comp_targetILNS1_3genE3ELNS1_11target_archE908ELNS1_3gpuE7ELNS1_3repE0EEENS1_30default_config_static_selectorELNS0_4arch9wavefront6targetE0EEEvT1_: ; @_ZN7rocprim17ROCPRIM_400000_NS6detail17trampoline_kernelINS0_14default_configENS1_25transform_config_selectorIjLb0EEEZNS1_14transform_implILb0ES3_S5_N6thrust23THRUST_200600_302600_NS6detail15normal_iteratorINS8_10device_ptrIjEEEEPjNS0_8identityIjEEEE10hipError_tT2_T3_mT4_P12ihipStream_tbEUlT_E_NS1_11comp_targetILNS1_3genE3ELNS1_11target_archE908ELNS1_3gpuE7ELNS1_3repE0EEENS1_30default_config_static_selectorELNS0_4arch9wavefront6targetE0EEEvT1_
; %bb.0:
	.section	.rodata,"a",@progbits
	.p2align	6, 0x0
	.amdhsa_kernel _ZN7rocprim17ROCPRIM_400000_NS6detail17trampoline_kernelINS0_14default_configENS1_25transform_config_selectorIjLb0EEEZNS1_14transform_implILb0ES3_S5_N6thrust23THRUST_200600_302600_NS6detail15normal_iteratorINS8_10device_ptrIjEEEEPjNS0_8identityIjEEEE10hipError_tT2_T3_mT4_P12ihipStream_tbEUlT_E_NS1_11comp_targetILNS1_3genE3ELNS1_11target_archE908ELNS1_3gpuE7ELNS1_3repE0EEENS1_30default_config_static_selectorELNS0_4arch9wavefront6targetE0EEEvT1_
		.amdhsa_group_segment_fixed_size 0
		.amdhsa_private_segment_fixed_size 0
		.amdhsa_kernarg_size 40
		.amdhsa_user_sgpr_count 6
		.amdhsa_user_sgpr_private_segment_buffer 1
		.amdhsa_user_sgpr_dispatch_ptr 0
		.amdhsa_user_sgpr_queue_ptr 0
		.amdhsa_user_sgpr_kernarg_segment_ptr 1
		.amdhsa_user_sgpr_dispatch_id 0
		.amdhsa_user_sgpr_flat_scratch_init 0
		.amdhsa_user_sgpr_private_segment_size 0
		.amdhsa_wavefront_size32 1
		.amdhsa_uses_dynamic_stack 0
		.amdhsa_system_sgpr_private_segment_wavefront_offset 0
		.amdhsa_system_sgpr_workgroup_id_x 1
		.amdhsa_system_sgpr_workgroup_id_y 0
		.amdhsa_system_sgpr_workgroup_id_z 0
		.amdhsa_system_sgpr_workgroup_info 0
		.amdhsa_system_vgpr_workitem_id 0
		.amdhsa_next_free_vgpr 1
		.amdhsa_next_free_sgpr 1
		.amdhsa_reserve_vcc 0
		.amdhsa_reserve_flat_scratch 0
		.amdhsa_float_round_mode_32 0
		.amdhsa_float_round_mode_16_64 0
		.amdhsa_float_denorm_mode_32 3
		.amdhsa_float_denorm_mode_16_64 3
		.amdhsa_dx10_clamp 1
		.amdhsa_ieee_mode 1
		.amdhsa_fp16_overflow 0
		.amdhsa_workgroup_processor_mode 1
		.amdhsa_memory_ordered 1
		.amdhsa_forward_progress 1
		.amdhsa_shared_vgpr_count 0
		.amdhsa_exception_fp_ieee_invalid_op 0
		.amdhsa_exception_fp_denorm_src 0
		.amdhsa_exception_fp_ieee_div_zero 0
		.amdhsa_exception_fp_ieee_overflow 0
		.amdhsa_exception_fp_ieee_underflow 0
		.amdhsa_exception_fp_ieee_inexact 0
		.amdhsa_exception_int_div_zero 0
	.end_amdhsa_kernel
	.section	.text._ZN7rocprim17ROCPRIM_400000_NS6detail17trampoline_kernelINS0_14default_configENS1_25transform_config_selectorIjLb0EEEZNS1_14transform_implILb0ES3_S5_N6thrust23THRUST_200600_302600_NS6detail15normal_iteratorINS8_10device_ptrIjEEEEPjNS0_8identityIjEEEE10hipError_tT2_T3_mT4_P12ihipStream_tbEUlT_E_NS1_11comp_targetILNS1_3genE3ELNS1_11target_archE908ELNS1_3gpuE7ELNS1_3repE0EEENS1_30default_config_static_selectorELNS0_4arch9wavefront6targetE0EEEvT1_,"axG",@progbits,_ZN7rocprim17ROCPRIM_400000_NS6detail17trampoline_kernelINS0_14default_configENS1_25transform_config_selectorIjLb0EEEZNS1_14transform_implILb0ES3_S5_N6thrust23THRUST_200600_302600_NS6detail15normal_iteratorINS8_10device_ptrIjEEEEPjNS0_8identityIjEEEE10hipError_tT2_T3_mT4_P12ihipStream_tbEUlT_E_NS1_11comp_targetILNS1_3genE3ELNS1_11target_archE908ELNS1_3gpuE7ELNS1_3repE0EEENS1_30default_config_static_selectorELNS0_4arch9wavefront6targetE0EEEvT1_,comdat
.Lfunc_end160:
	.size	_ZN7rocprim17ROCPRIM_400000_NS6detail17trampoline_kernelINS0_14default_configENS1_25transform_config_selectorIjLb0EEEZNS1_14transform_implILb0ES3_S5_N6thrust23THRUST_200600_302600_NS6detail15normal_iteratorINS8_10device_ptrIjEEEEPjNS0_8identityIjEEEE10hipError_tT2_T3_mT4_P12ihipStream_tbEUlT_E_NS1_11comp_targetILNS1_3genE3ELNS1_11target_archE908ELNS1_3gpuE7ELNS1_3repE0EEENS1_30default_config_static_selectorELNS0_4arch9wavefront6targetE0EEEvT1_, .Lfunc_end160-_ZN7rocprim17ROCPRIM_400000_NS6detail17trampoline_kernelINS0_14default_configENS1_25transform_config_selectorIjLb0EEEZNS1_14transform_implILb0ES3_S5_N6thrust23THRUST_200600_302600_NS6detail15normal_iteratorINS8_10device_ptrIjEEEEPjNS0_8identityIjEEEE10hipError_tT2_T3_mT4_P12ihipStream_tbEUlT_E_NS1_11comp_targetILNS1_3genE3ELNS1_11target_archE908ELNS1_3gpuE7ELNS1_3repE0EEENS1_30default_config_static_selectorELNS0_4arch9wavefront6targetE0EEEvT1_
                                        ; -- End function
	.set _ZN7rocprim17ROCPRIM_400000_NS6detail17trampoline_kernelINS0_14default_configENS1_25transform_config_selectorIjLb0EEEZNS1_14transform_implILb0ES3_S5_N6thrust23THRUST_200600_302600_NS6detail15normal_iteratorINS8_10device_ptrIjEEEEPjNS0_8identityIjEEEE10hipError_tT2_T3_mT4_P12ihipStream_tbEUlT_E_NS1_11comp_targetILNS1_3genE3ELNS1_11target_archE908ELNS1_3gpuE7ELNS1_3repE0EEENS1_30default_config_static_selectorELNS0_4arch9wavefront6targetE0EEEvT1_.num_vgpr, 0
	.set _ZN7rocprim17ROCPRIM_400000_NS6detail17trampoline_kernelINS0_14default_configENS1_25transform_config_selectorIjLb0EEEZNS1_14transform_implILb0ES3_S5_N6thrust23THRUST_200600_302600_NS6detail15normal_iteratorINS8_10device_ptrIjEEEEPjNS0_8identityIjEEEE10hipError_tT2_T3_mT4_P12ihipStream_tbEUlT_E_NS1_11comp_targetILNS1_3genE3ELNS1_11target_archE908ELNS1_3gpuE7ELNS1_3repE0EEENS1_30default_config_static_selectorELNS0_4arch9wavefront6targetE0EEEvT1_.num_agpr, 0
	.set _ZN7rocprim17ROCPRIM_400000_NS6detail17trampoline_kernelINS0_14default_configENS1_25transform_config_selectorIjLb0EEEZNS1_14transform_implILb0ES3_S5_N6thrust23THRUST_200600_302600_NS6detail15normal_iteratorINS8_10device_ptrIjEEEEPjNS0_8identityIjEEEE10hipError_tT2_T3_mT4_P12ihipStream_tbEUlT_E_NS1_11comp_targetILNS1_3genE3ELNS1_11target_archE908ELNS1_3gpuE7ELNS1_3repE0EEENS1_30default_config_static_selectorELNS0_4arch9wavefront6targetE0EEEvT1_.numbered_sgpr, 0
	.set _ZN7rocprim17ROCPRIM_400000_NS6detail17trampoline_kernelINS0_14default_configENS1_25transform_config_selectorIjLb0EEEZNS1_14transform_implILb0ES3_S5_N6thrust23THRUST_200600_302600_NS6detail15normal_iteratorINS8_10device_ptrIjEEEEPjNS0_8identityIjEEEE10hipError_tT2_T3_mT4_P12ihipStream_tbEUlT_E_NS1_11comp_targetILNS1_3genE3ELNS1_11target_archE908ELNS1_3gpuE7ELNS1_3repE0EEENS1_30default_config_static_selectorELNS0_4arch9wavefront6targetE0EEEvT1_.num_named_barrier, 0
	.set _ZN7rocprim17ROCPRIM_400000_NS6detail17trampoline_kernelINS0_14default_configENS1_25transform_config_selectorIjLb0EEEZNS1_14transform_implILb0ES3_S5_N6thrust23THRUST_200600_302600_NS6detail15normal_iteratorINS8_10device_ptrIjEEEEPjNS0_8identityIjEEEE10hipError_tT2_T3_mT4_P12ihipStream_tbEUlT_E_NS1_11comp_targetILNS1_3genE3ELNS1_11target_archE908ELNS1_3gpuE7ELNS1_3repE0EEENS1_30default_config_static_selectorELNS0_4arch9wavefront6targetE0EEEvT1_.private_seg_size, 0
	.set _ZN7rocprim17ROCPRIM_400000_NS6detail17trampoline_kernelINS0_14default_configENS1_25transform_config_selectorIjLb0EEEZNS1_14transform_implILb0ES3_S5_N6thrust23THRUST_200600_302600_NS6detail15normal_iteratorINS8_10device_ptrIjEEEEPjNS0_8identityIjEEEE10hipError_tT2_T3_mT4_P12ihipStream_tbEUlT_E_NS1_11comp_targetILNS1_3genE3ELNS1_11target_archE908ELNS1_3gpuE7ELNS1_3repE0EEENS1_30default_config_static_selectorELNS0_4arch9wavefront6targetE0EEEvT1_.uses_vcc, 0
	.set _ZN7rocprim17ROCPRIM_400000_NS6detail17trampoline_kernelINS0_14default_configENS1_25transform_config_selectorIjLb0EEEZNS1_14transform_implILb0ES3_S5_N6thrust23THRUST_200600_302600_NS6detail15normal_iteratorINS8_10device_ptrIjEEEEPjNS0_8identityIjEEEE10hipError_tT2_T3_mT4_P12ihipStream_tbEUlT_E_NS1_11comp_targetILNS1_3genE3ELNS1_11target_archE908ELNS1_3gpuE7ELNS1_3repE0EEENS1_30default_config_static_selectorELNS0_4arch9wavefront6targetE0EEEvT1_.uses_flat_scratch, 0
	.set _ZN7rocprim17ROCPRIM_400000_NS6detail17trampoline_kernelINS0_14default_configENS1_25transform_config_selectorIjLb0EEEZNS1_14transform_implILb0ES3_S5_N6thrust23THRUST_200600_302600_NS6detail15normal_iteratorINS8_10device_ptrIjEEEEPjNS0_8identityIjEEEE10hipError_tT2_T3_mT4_P12ihipStream_tbEUlT_E_NS1_11comp_targetILNS1_3genE3ELNS1_11target_archE908ELNS1_3gpuE7ELNS1_3repE0EEENS1_30default_config_static_selectorELNS0_4arch9wavefront6targetE0EEEvT1_.has_dyn_sized_stack, 0
	.set _ZN7rocprim17ROCPRIM_400000_NS6detail17trampoline_kernelINS0_14default_configENS1_25transform_config_selectorIjLb0EEEZNS1_14transform_implILb0ES3_S5_N6thrust23THRUST_200600_302600_NS6detail15normal_iteratorINS8_10device_ptrIjEEEEPjNS0_8identityIjEEEE10hipError_tT2_T3_mT4_P12ihipStream_tbEUlT_E_NS1_11comp_targetILNS1_3genE3ELNS1_11target_archE908ELNS1_3gpuE7ELNS1_3repE0EEENS1_30default_config_static_selectorELNS0_4arch9wavefront6targetE0EEEvT1_.has_recursion, 0
	.set _ZN7rocprim17ROCPRIM_400000_NS6detail17trampoline_kernelINS0_14default_configENS1_25transform_config_selectorIjLb0EEEZNS1_14transform_implILb0ES3_S5_N6thrust23THRUST_200600_302600_NS6detail15normal_iteratorINS8_10device_ptrIjEEEEPjNS0_8identityIjEEEE10hipError_tT2_T3_mT4_P12ihipStream_tbEUlT_E_NS1_11comp_targetILNS1_3genE3ELNS1_11target_archE908ELNS1_3gpuE7ELNS1_3repE0EEENS1_30default_config_static_selectorELNS0_4arch9wavefront6targetE0EEEvT1_.has_indirect_call, 0
	.section	.AMDGPU.csdata,"",@progbits
; Kernel info:
; codeLenInByte = 0
; TotalNumSgprs: 0
; NumVgprs: 0
; ScratchSize: 0
; MemoryBound: 0
; FloatMode: 240
; IeeeMode: 1
; LDSByteSize: 0 bytes/workgroup (compile time only)
; SGPRBlocks: 0
; VGPRBlocks: 0
; NumSGPRsForWavesPerEU: 1
; NumVGPRsForWavesPerEU: 1
; Occupancy: 16
; WaveLimiterHint : 0
; COMPUTE_PGM_RSRC2:SCRATCH_EN: 0
; COMPUTE_PGM_RSRC2:USER_SGPR: 6
; COMPUTE_PGM_RSRC2:TRAP_HANDLER: 0
; COMPUTE_PGM_RSRC2:TGID_X_EN: 1
; COMPUTE_PGM_RSRC2:TGID_Y_EN: 0
; COMPUTE_PGM_RSRC2:TGID_Z_EN: 0
; COMPUTE_PGM_RSRC2:TIDIG_COMP_CNT: 0
	.section	.text._ZN7rocprim17ROCPRIM_400000_NS6detail17trampoline_kernelINS0_14default_configENS1_25transform_config_selectorIjLb0EEEZNS1_14transform_implILb0ES3_S5_N6thrust23THRUST_200600_302600_NS6detail15normal_iteratorINS8_10device_ptrIjEEEEPjNS0_8identityIjEEEE10hipError_tT2_T3_mT4_P12ihipStream_tbEUlT_E_NS1_11comp_targetILNS1_3genE2ELNS1_11target_archE906ELNS1_3gpuE6ELNS1_3repE0EEENS1_30default_config_static_selectorELNS0_4arch9wavefront6targetE0EEEvT1_,"axG",@progbits,_ZN7rocprim17ROCPRIM_400000_NS6detail17trampoline_kernelINS0_14default_configENS1_25transform_config_selectorIjLb0EEEZNS1_14transform_implILb0ES3_S5_N6thrust23THRUST_200600_302600_NS6detail15normal_iteratorINS8_10device_ptrIjEEEEPjNS0_8identityIjEEEE10hipError_tT2_T3_mT4_P12ihipStream_tbEUlT_E_NS1_11comp_targetILNS1_3genE2ELNS1_11target_archE906ELNS1_3gpuE6ELNS1_3repE0EEENS1_30default_config_static_selectorELNS0_4arch9wavefront6targetE0EEEvT1_,comdat
	.protected	_ZN7rocprim17ROCPRIM_400000_NS6detail17trampoline_kernelINS0_14default_configENS1_25transform_config_selectorIjLb0EEEZNS1_14transform_implILb0ES3_S5_N6thrust23THRUST_200600_302600_NS6detail15normal_iteratorINS8_10device_ptrIjEEEEPjNS0_8identityIjEEEE10hipError_tT2_T3_mT4_P12ihipStream_tbEUlT_E_NS1_11comp_targetILNS1_3genE2ELNS1_11target_archE906ELNS1_3gpuE6ELNS1_3repE0EEENS1_30default_config_static_selectorELNS0_4arch9wavefront6targetE0EEEvT1_ ; -- Begin function _ZN7rocprim17ROCPRIM_400000_NS6detail17trampoline_kernelINS0_14default_configENS1_25transform_config_selectorIjLb0EEEZNS1_14transform_implILb0ES3_S5_N6thrust23THRUST_200600_302600_NS6detail15normal_iteratorINS8_10device_ptrIjEEEEPjNS0_8identityIjEEEE10hipError_tT2_T3_mT4_P12ihipStream_tbEUlT_E_NS1_11comp_targetILNS1_3genE2ELNS1_11target_archE906ELNS1_3gpuE6ELNS1_3repE0EEENS1_30default_config_static_selectorELNS0_4arch9wavefront6targetE0EEEvT1_
	.globl	_ZN7rocprim17ROCPRIM_400000_NS6detail17trampoline_kernelINS0_14default_configENS1_25transform_config_selectorIjLb0EEEZNS1_14transform_implILb0ES3_S5_N6thrust23THRUST_200600_302600_NS6detail15normal_iteratorINS8_10device_ptrIjEEEEPjNS0_8identityIjEEEE10hipError_tT2_T3_mT4_P12ihipStream_tbEUlT_E_NS1_11comp_targetILNS1_3genE2ELNS1_11target_archE906ELNS1_3gpuE6ELNS1_3repE0EEENS1_30default_config_static_selectorELNS0_4arch9wavefront6targetE0EEEvT1_
	.p2align	8
	.type	_ZN7rocprim17ROCPRIM_400000_NS6detail17trampoline_kernelINS0_14default_configENS1_25transform_config_selectorIjLb0EEEZNS1_14transform_implILb0ES3_S5_N6thrust23THRUST_200600_302600_NS6detail15normal_iteratorINS8_10device_ptrIjEEEEPjNS0_8identityIjEEEE10hipError_tT2_T3_mT4_P12ihipStream_tbEUlT_E_NS1_11comp_targetILNS1_3genE2ELNS1_11target_archE906ELNS1_3gpuE6ELNS1_3repE0EEENS1_30default_config_static_selectorELNS0_4arch9wavefront6targetE0EEEvT1_,@function
_ZN7rocprim17ROCPRIM_400000_NS6detail17trampoline_kernelINS0_14default_configENS1_25transform_config_selectorIjLb0EEEZNS1_14transform_implILb0ES3_S5_N6thrust23THRUST_200600_302600_NS6detail15normal_iteratorINS8_10device_ptrIjEEEEPjNS0_8identityIjEEEE10hipError_tT2_T3_mT4_P12ihipStream_tbEUlT_E_NS1_11comp_targetILNS1_3genE2ELNS1_11target_archE906ELNS1_3gpuE6ELNS1_3repE0EEENS1_30default_config_static_selectorELNS0_4arch9wavefront6targetE0EEEvT1_: ; @_ZN7rocprim17ROCPRIM_400000_NS6detail17trampoline_kernelINS0_14default_configENS1_25transform_config_selectorIjLb0EEEZNS1_14transform_implILb0ES3_S5_N6thrust23THRUST_200600_302600_NS6detail15normal_iteratorINS8_10device_ptrIjEEEEPjNS0_8identityIjEEEE10hipError_tT2_T3_mT4_P12ihipStream_tbEUlT_E_NS1_11comp_targetILNS1_3genE2ELNS1_11target_archE906ELNS1_3gpuE6ELNS1_3repE0EEENS1_30default_config_static_selectorELNS0_4arch9wavefront6targetE0EEEvT1_
; %bb.0:
	.section	.rodata,"a",@progbits
	.p2align	6, 0x0
	.amdhsa_kernel _ZN7rocprim17ROCPRIM_400000_NS6detail17trampoline_kernelINS0_14default_configENS1_25transform_config_selectorIjLb0EEEZNS1_14transform_implILb0ES3_S5_N6thrust23THRUST_200600_302600_NS6detail15normal_iteratorINS8_10device_ptrIjEEEEPjNS0_8identityIjEEEE10hipError_tT2_T3_mT4_P12ihipStream_tbEUlT_E_NS1_11comp_targetILNS1_3genE2ELNS1_11target_archE906ELNS1_3gpuE6ELNS1_3repE0EEENS1_30default_config_static_selectorELNS0_4arch9wavefront6targetE0EEEvT1_
		.amdhsa_group_segment_fixed_size 0
		.amdhsa_private_segment_fixed_size 0
		.amdhsa_kernarg_size 40
		.amdhsa_user_sgpr_count 6
		.amdhsa_user_sgpr_private_segment_buffer 1
		.amdhsa_user_sgpr_dispatch_ptr 0
		.amdhsa_user_sgpr_queue_ptr 0
		.amdhsa_user_sgpr_kernarg_segment_ptr 1
		.amdhsa_user_sgpr_dispatch_id 0
		.amdhsa_user_sgpr_flat_scratch_init 0
		.amdhsa_user_sgpr_private_segment_size 0
		.amdhsa_wavefront_size32 1
		.amdhsa_uses_dynamic_stack 0
		.amdhsa_system_sgpr_private_segment_wavefront_offset 0
		.amdhsa_system_sgpr_workgroup_id_x 1
		.amdhsa_system_sgpr_workgroup_id_y 0
		.amdhsa_system_sgpr_workgroup_id_z 0
		.amdhsa_system_sgpr_workgroup_info 0
		.amdhsa_system_vgpr_workitem_id 0
		.amdhsa_next_free_vgpr 1
		.amdhsa_next_free_sgpr 1
		.amdhsa_reserve_vcc 0
		.amdhsa_reserve_flat_scratch 0
		.amdhsa_float_round_mode_32 0
		.amdhsa_float_round_mode_16_64 0
		.amdhsa_float_denorm_mode_32 3
		.amdhsa_float_denorm_mode_16_64 3
		.amdhsa_dx10_clamp 1
		.amdhsa_ieee_mode 1
		.amdhsa_fp16_overflow 0
		.amdhsa_workgroup_processor_mode 1
		.amdhsa_memory_ordered 1
		.amdhsa_forward_progress 1
		.amdhsa_shared_vgpr_count 0
		.amdhsa_exception_fp_ieee_invalid_op 0
		.amdhsa_exception_fp_denorm_src 0
		.amdhsa_exception_fp_ieee_div_zero 0
		.amdhsa_exception_fp_ieee_overflow 0
		.amdhsa_exception_fp_ieee_underflow 0
		.amdhsa_exception_fp_ieee_inexact 0
		.amdhsa_exception_int_div_zero 0
	.end_amdhsa_kernel
	.section	.text._ZN7rocprim17ROCPRIM_400000_NS6detail17trampoline_kernelINS0_14default_configENS1_25transform_config_selectorIjLb0EEEZNS1_14transform_implILb0ES3_S5_N6thrust23THRUST_200600_302600_NS6detail15normal_iteratorINS8_10device_ptrIjEEEEPjNS0_8identityIjEEEE10hipError_tT2_T3_mT4_P12ihipStream_tbEUlT_E_NS1_11comp_targetILNS1_3genE2ELNS1_11target_archE906ELNS1_3gpuE6ELNS1_3repE0EEENS1_30default_config_static_selectorELNS0_4arch9wavefront6targetE0EEEvT1_,"axG",@progbits,_ZN7rocprim17ROCPRIM_400000_NS6detail17trampoline_kernelINS0_14default_configENS1_25transform_config_selectorIjLb0EEEZNS1_14transform_implILb0ES3_S5_N6thrust23THRUST_200600_302600_NS6detail15normal_iteratorINS8_10device_ptrIjEEEEPjNS0_8identityIjEEEE10hipError_tT2_T3_mT4_P12ihipStream_tbEUlT_E_NS1_11comp_targetILNS1_3genE2ELNS1_11target_archE906ELNS1_3gpuE6ELNS1_3repE0EEENS1_30default_config_static_selectorELNS0_4arch9wavefront6targetE0EEEvT1_,comdat
.Lfunc_end161:
	.size	_ZN7rocprim17ROCPRIM_400000_NS6detail17trampoline_kernelINS0_14default_configENS1_25transform_config_selectorIjLb0EEEZNS1_14transform_implILb0ES3_S5_N6thrust23THRUST_200600_302600_NS6detail15normal_iteratorINS8_10device_ptrIjEEEEPjNS0_8identityIjEEEE10hipError_tT2_T3_mT4_P12ihipStream_tbEUlT_E_NS1_11comp_targetILNS1_3genE2ELNS1_11target_archE906ELNS1_3gpuE6ELNS1_3repE0EEENS1_30default_config_static_selectorELNS0_4arch9wavefront6targetE0EEEvT1_, .Lfunc_end161-_ZN7rocprim17ROCPRIM_400000_NS6detail17trampoline_kernelINS0_14default_configENS1_25transform_config_selectorIjLb0EEEZNS1_14transform_implILb0ES3_S5_N6thrust23THRUST_200600_302600_NS6detail15normal_iteratorINS8_10device_ptrIjEEEEPjNS0_8identityIjEEEE10hipError_tT2_T3_mT4_P12ihipStream_tbEUlT_E_NS1_11comp_targetILNS1_3genE2ELNS1_11target_archE906ELNS1_3gpuE6ELNS1_3repE0EEENS1_30default_config_static_selectorELNS0_4arch9wavefront6targetE0EEEvT1_
                                        ; -- End function
	.set _ZN7rocprim17ROCPRIM_400000_NS6detail17trampoline_kernelINS0_14default_configENS1_25transform_config_selectorIjLb0EEEZNS1_14transform_implILb0ES3_S5_N6thrust23THRUST_200600_302600_NS6detail15normal_iteratorINS8_10device_ptrIjEEEEPjNS0_8identityIjEEEE10hipError_tT2_T3_mT4_P12ihipStream_tbEUlT_E_NS1_11comp_targetILNS1_3genE2ELNS1_11target_archE906ELNS1_3gpuE6ELNS1_3repE0EEENS1_30default_config_static_selectorELNS0_4arch9wavefront6targetE0EEEvT1_.num_vgpr, 0
	.set _ZN7rocprim17ROCPRIM_400000_NS6detail17trampoline_kernelINS0_14default_configENS1_25transform_config_selectorIjLb0EEEZNS1_14transform_implILb0ES3_S5_N6thrust23THRUST_200600_302600_NS6detail15normal_iteratorINS8_10device_ptrIjEEEEPjNS0_8identityIjEEEE10hipError_tT2_T3_mT4_P12ihipStream_tbEUlT_E_NS1_11comp_targetILNS1_3genE2ELNS1_11target_archE906ELNS1_3gpuE6ELNS1_3repE0EEENS1_30default_config_static_selectorELNS0_4arch9wavefront6targetE0EEEvT1_.num_agpr, 0
	.set _ZN7rocprim17ROCPRIM_400000_NS6detail17trampoline_kernelINS0_14default_configENS1_25transform_config_selectorIjLb0EEEZNS1_14transform_implILb0ES3_S5_N6thrust23THRUST_200600_302600_NS6detail15normal_iteratorINS8_10device_ptrIjEEEEPjNS0_8identityIjEEEE10hipError_tT2_T3_mT4_P12ihipStream_tbEUlT_E_NS1_11comp_targetILNS1_3genE2ELNS1_11target_archE906ELNS1_3gpuE6ELNS1_3repE0EEENS1_30default_config_static_selectorELNS0_4arch9wavefront6targetE0EEEvT1_.numbered_sgpr, 0
	.set _ZN7rocprim17ROCPRIM_400000_NS6detail17trampoline_kernelINS0_14default_configENS1_25transform_config_selectorIjLb0EEEZNS1_14transform_implILb0ES3_S5_N6thrust23THRUST_200600_302600_NS6detail15normal_iteratorINS8_10device_ptrIjEEEEPjNS0_8identityIjEEEE10hipError_tT2_T3_mT4_P12ihipStream_tbEUlT_E_NS1_11comp_targetILNS1_3genE2ELNS1_11target_archE906ELNS1_3gpuE6ELNS1_3repE0EEENS1_30default_config_static_selectorELNS0_4arch9wavefront6targetE0EEEvT1_.num_named_barrier, 0
	.set _ZN7rocprim17ROCPRIM_400000_NS6detail17trampoline_kernelINS0_14default_configENS1_25transform_config_selectorIjLb0EEEZNS1_14transform_implILb0ES3_S5_N6thrust23THRUST_200600_302600_NS6detail15normal_iteratorINS8_10device_ptrIjEEEEPjNS0_8identityIjEEEE10hipError_tT2_T3_mT4_P12ihipStream_tbEUlT_E_NS1_11comp_targetILNS1_3genE2ELNS1_11target_archE906ELNS1_3gpuE6ELNS1_3repE0EEENS1_30default_config_static_selectorELNS0_4arch9wavefront6targetE0EEEvT1_.private_seg_size, 0
	.set _ZN7rocprim17ROCPRIM_400000_NS6detail17trampoline_kernelINS0_14default_configENS1_25transform_config_selectorIjLb0EEEZNS1_14transform_implILb0ES3_S5_N6thrust23THRUST_200600_302600_NS6detail15normal_iteratorINS8_10device_ptrIjEEEEPjNS0_8identityIjEEEE10hipError_tT2_T3_mT4_P12ihipStream_tbEUlT_E_NS1_11comp_targetILNS1_3genE2ELNS1_11target_archE906ELNS1_3gpuE6ELNS1_3repE0EEENS1_30default_config_static_selectorELNS0_4arch9wavefront6targetE0EEEvT1_.uses_vcc, 0
	.set _ZN7rocprim17ROCPRIM_400000_NS6detail17trampoline_kernelINS0_14default_configENS1_25transform_config_selectorIjLb0EEEZNS1_14transform_implILb0ES3_S5_N6thrust23THRUST_200600_302600_NS6detail15normal_iteratorINS8_10device_ptrIjEEEEPjNS0_8identityIjEEEE10hipError_tT2_T3_mT4_P12ihipStream_tbEUlT_E_NS1_11comp_targetILNS1_3genE2ELNS1_11target_archE906ELNS1_3gpuE6ELNS1_3repE0EEENS1_30default_config_static_selectorELNS0_4arch9wavefront6targetE0EEEvT1_.uses_flat_scratch, 0
	.set _ZN7rocprim17ROCPRIM_400000_NS6detail17trampoline_kernelINS0_14default_configENS1_25transform_config_selectorIjLb0EEEZNS1_14transform_implILb0ES3_S5_N6thrust23THRUST_200600_302600_NS6detail15normal_iteratorINS8_10device_ptrIjEEEEPjNS0_8identityIjEEEE10hipError_tT2_T3_mT4_P12ihipStream_tbEUlT_E_NS1_11comp_targetILNS1_3genE2ELNS1_11target_archE906ELNS1_3gpuE6ELNS1_3repE0EEENS1_30default_config_static_selectorELNS0_4arch9wavefront6targetE0EEEvT1_.has_dyn_sized_stack, 0
	.set _ZN7rocprim17ROCPRIM_400000_NS6detail17trampoline_kernelINS0_14default_configENS1_25transform_config_selectorIjLb0EEEZNS1_14transform_implILb0ES3_S5_N6thrust23THRUST_200600_302600_NS6detail15normal_iteratorINS8_10device_ptrIjEEEEPjNS0_8identityIjEEEE10hipError_tT2_T3_mT4_P12ihipStream_tbEUlT_E_NS1_11comp_targetILNS1_3genE2ELNS1_11target_archE906ELNS1_3gpuE6ELNS1_3repE0EEENS1_30default_config_static_selectorELNS0_4arch9wavefront6targetE0EEEvT1_.has_recursion, 0
	.set _ZN7rocprim17ROCPRIM_400000_NS6detail17trampoline_kernelINS0_14default_configENS1_25transform_config_selectorIjLb0EEEZNS1_14transform_implILb0ES3_S5_N6thrust23THRUST_200600_302600_NS6detail15normal_iteratorINS8_10device_ptrIjEEEEPjNS0_8identityIjEEEE10hipError_tT2_T3_mT4_P12ihipStream_tbEUlT_E_NS1_11comp_targetILNS1_3genE2ELNS1_11target_archE906ELNS1_3gpuE6ELNS1_3repE0EEENS1_30default_config_static_selectorELNS0_4arch9wavefront6targetE0EEEvT1_.has_indirect_call, 0
	.section	.AMDGPU.csdata,"",@progbits
; Kernel info:
; codeLenInByte = 0
; TotalNumSgprs: 0
; NumVgprs: 0
; ScratchSize: 0
; MemoryBound: 0
; FloatMode: 240
; IeeeMode: 1
; LDSByteSize: 0 bytes/workgroup (compile time only)
; SGPRBlocks: 0
; VGPRBlocks: 0
; NumSGPRsForWavesPerEU: 1
; NumVGPRsForWavesPerEU: 1
; Occupancy: 16
; WaveLimiterHint : 0
; COMPUTE_PGM_RSRC2:SCRATCH_EN: 0
; COMPUTE_PGM_RSRC2:USER_SGPR: 6
; COMPUTE_PGM_RSRC2:TRAP_HANDLER: 0
; COMPUTE_PGM_RSRC2:TGID_X_EN: 1
; COMPUTE_PGM_RSRC2:TGID_Y_EN: 0
; COMPUTE_PGM_RSRC2:TGID_Z_EN: 0
; COMPUTE_PGM_RSRC2:TIDIG_COMP_CNT: 0
	.section	.text._ZN7rocprim17ROCPRIM_400000_NS6detail17trampoline_kernelINS0_14default_configENS1_25transform_config_selectorIjLb0EEEZNS1_14transform_implILb0ES3_S5_N6thrust23THRUST_200600_302600_NS6detail15normal_iteratorINS8_10device_ptrIjEEEEPjNS0_8identityIjEEEE10hipError_tT2_T3_mT4_P12ihipStream_tbEUlT_E_NS1_11comp_targetILNS1_3genE10ELNS1_11target_archE1201ELNS1_3gpuE5ELNS1_3repE0EEENS1_30default_config_static_selectorELNS0_4arch9wavefront6targetE0EEEvT1_,"axG",@progbits,_ZN7rocprim17ROCPRIM_400000_NS6detail17trampoline_kernelINS0_14default_configENS1_25transform_config_selectorIjLb0EEEZNS1_14transform_implILb0ES3_S5_N6thrust23THRUST_200600_302600_NS6detail15normal_iteratorINS8_10device_ptrIjEEEEPjNS0_8identityIjEEEE10hipError_tT2_T3_mT4_P12ihipStream_tbEUlT_E_NS1_11comp_targetILNS1_3genE10ELNS1_11target_archE1201ELNS1_3gpuE5ELNS1_3repE0EEENS1_30default_config_static_selectorELNS0_4arch9wavefront6targetE0EEEvT1_,comdat
	.protected	_ZN7rocprim17ROCPRIM_400000_NS6detail17trampoline_kernelINS0_14default_configENS1_25transform_config_selectorIjLb0EEEZNS1_14transform_implILb0ES3_S5_N6thrust23THRUST_200600_302600_NS6detail15normal_iteratorINS8_10device_ptrIjEEEEPjNS0_8identityIjEEEE10hipError_tT2_T3_mT4_P12ihipStream_tbEUlT_E_NS1_11comp_targetILNS1_3genE10ELNS1_11target_archE1201ELNS1_3gpuE5ELNS1_3repE0EEENS1_30default_config_static_selectorELNS0_4arch9wavefront6targetE0EEEvT1_ ; -- Begin function _ZN7rocprim17ROCPRIM_400000_NS6detail17trampoline_kernelINS0_14default_configENS1_25transform_config_selectorIjLb0EEEZNS1_14transform_implILb0ES3_S5_N6thrust23THRUST_200600_302600_NS6detail15normal_iteratorINS8_10device_ptrIjEEEEPjNS0_8identityIjEEEE10hipError_tT2_T3_mT4_P12ihipStream_tbEUlT_E_NS1_11comp_targetILNS1_3genE10ELNS1_11target_archE1201ELNS1_3gpuE5ELNS1_3repE0EEENS1_30default_config_static_selectorELNS0_4arch9wavefront6targetE0EEEvT1_
	.globl	_ZN7rocprim17ROCPRIM_400000_NS6detail17trampoline_kernelINS0_14default_configENS1_25transform_config_selectorIjLb0EEEZNS1_14transform_implILb0ES3_S5_N6thrust23THRUST_200600_302600_NS6detail15normal_iteratorINS8_10device_ptrIjEEEEPjNS0_8identityIjEEEE10hipError_tT2_T3_mT4_P12ihipStream_tbEUlT_E_NS1_11comp_targetILNS1_3genE10ELNS1_11target_archE1201ELNS1_3gpuE5ELNS1_3repE0EEENS1_30default_config_static_selectorELNS0_4arch9wavefront6targetE0EEEvT1_
	.p2align	8
	.type	_ZN7rocprim17ROCPRIM_400000_NS6detail17trampoline_kernelINS0_14default_configENS1_25transform_config_selectorIjLb0EEEZNS1_14transform_implILb0ES3_S5_N6thrust23THRUST_200600_302600_NS6detail15normal_iteratorINS8_10device_ptrIjEEEEPjNS0_8identityIjEEEE10hipError_tT2_T3_mT4_P12ihipStream_tbEUlT_E_NS1_11comp_targetILNS1_3genE10ELNS1_11target_archE1201ELNS1_3gpuE5ELNS1_3repE0EEENS1_30default_config_static_selectorELNS0_4arch9wavefront6targetE0EEEvT1_,@function
_ZN7rocprim17ROCPRIM_400000_NS6detail17trampoline_kernelINS0_14default_configENS1_25transform_config_selectorIjLb0EEEZNS1_14transform_implILb0ES3_S5_N6thrust23THRUST_200600_302600_NS6detail15normal_iteratorINS8_10device_ptrIjEEEEPjNS0_8identityIjEEEE10hipError_tT2_T3_mT4_P12ihipStream_tbEUlT_E_NS1_11comp_targetILNS1_3genE10ELNS1_11target_archE1201ELNS1_3gpuE5ELNS1_3repE0EEENS1_30default_config_static_selectorELNS0_4arch9wavefront6targetE0EEEvT1_: ; @_ZN7rocprim17ROCPRIM_400000_NS6detail17trampoline_kernelINS0_14default_configENS1_25transform_config_selectorIjLb0EEEZNS1_14transform_implILb0ES3_S5_N6thrust23THRUST_200600_302600_NS6detail15normal_iteratorINS8_10device_ptrIjEEEEPjNS0_8identityIjEEEE10hipError_tT2_T3_mT4_P12ihipStream_tbEUlT_E_NS1_11comp_targetILNS1_3genE10ELNS1_11target_archE1201ELNS1_3gpuE5ELNS1_3repE0EEENS1_30default_config_static_selectorELNS0_4arch9wavefront6targetE0EEEvT1_
; %bb.0:
	.section	.rodata,"a",@progbits
	.p2align	6, 0x0
	.amdhsa_kernel _ZN7rocprim17ROCPRIM_400000_NS6detail17trampoline_kernelINS0_14default_configENS1_25transform_config_selectorIjLb0EEEZNS1_14transform_implILb0ES3_S5_N6thrust23THRUST_200600_302600_NS6detail15normal_iteratorINS8_10device_ptrIjEEEEPjNS0_8identityIjEEEE10hipError_tT2_T3_mT4_P12ihipStream_tbEUlT_E_NS1_11comp_targetILNS1_3genE10ELNS1_11target_archE1201ELNS1_3gpuE5ELNS1_3repE0EEENS1_30default_config_static_selectorELNS0_4arch9wavefront6targetE0EEEvT1_
		.amdhsa_group_segment_fixed_size 0
		.amdhsa_private_segment_fixed_size 0
		.amdhsa_kernarg_size 40
		.amdhsa_user_sgpr_count 6
		.amdhsa_user_sgpr_private_segment_buffer 1
		.amdhsa_user_sgpr_dispatch_ptr 0
		.amdhsa_user_sgpr_queue_ptr 0
		.amdhsa_user_sgpr_kernarg_segment_ptr 1
		.amdhsa_user_sgpr_dispatch_id 0
		.amdhsa_user_sgpr_flat_scratch_init 0
		.amdhsa_user_sgpr_private_segment_size 0
		.amdhsa_wavefront_size32 1
		.amdhsa_uses_dynamic_stack 0
		.amdhsa_system_sgpr_private_segment_wavefront_offset 0
		.amdhsa_system_sgpr_workgroup_id_x 1
		.amdhsa_system_sgpr_workgroup_id_y 0
		.amdhsa_system_sgpr_workgroup_id_z 0
		.amdhsa_system_sgpr_workgroup_info 0
		.amdhsa_system_vgpr_workitem_id 0
		.amdhsa_next_free_vgpr 1
		.amdhsa_next_free_sgpr 1
		.amdhsa_reserve_vcc 0
		.amdhsa_reserve_flat_scratch 0
		.amdhsa_float_round_mode_32 0
		.amdhsa_float_round_mode_16_64 0
		.amdhsa_float_denorm_mode_32 3
		.amdhsa_float_denorm_mode_16_64 3
		.amdhsa_dx10_clamp 1
		.amdhsa_ieee_mode 1
		.amdhsa_fp16_overflow 0
		.amdhsa_workgroup_processor_mode 1
		.amdhsa_memory_ordered 1
		.amdhsa_forward_progress 1
		.amdhsa_shared_vgpr_count 0
		.amdhsa_exception_fp_ieee_invalid_op 0
		.amdhsa_exception_fp_denorm_src 0
		.amdhsa_exception_fp_ieee_div_zero 0
		.amdhsa_exception_fp_ieee_overflow 0
		.amdhsa_exception_fp_ieee_underflow 0
		.amdhsa_exception_fp_ieee_inexact 0
		.amdhsa_exception_int_div_zero 0
	.end_amdhsa_kernel
	.section	.text._ZN7rocprim17ROCPRIM_400000_NS6detail17trampoline_kernelINS0_14default_configENS1_25transform_config_selectorIjLb0EEEZNS1_14transform_implILb0ES3_S5_N6thrust23THRUST_200600_302600_NS6detail15normal_iteratorINS8_10device_ptrIjEEEEPjNS0_8identityIjEEEE10hipError_tT2_T3_mT4_P12ihipStream_tbEUlT_E_NS1_11comp_targetILNS1_3genE10ELNS1_11target_archE1201ELNS1_3gpuE5ELNS1_3repE0EEENS1_30default_config_static_selectorELNS0_4arch9wavefront6targetE0EEEvT1_,"axG",@progbits,_ZN7rocprim17ROCPRIM_400000_NS6detail17trampoline_kernelINS0_14default_configENS1_25transform_config_selectorIjLb0EEEZNS1_14transform_implILb0ES3_S5_N6thrust23THRUST_200600_302600_NS6detail15normal_iteratorINS8_10device_ptrIjEEEEPjNS0_8identityIjEEEE10hipError_tT2_T3_mT4_P12ihipStream_tbEUlT_E_NS1_11comp_targetILNS1_3genE10ELNS1_11target_archE1201ELNS1_3gpuE5ELNS1_3repE0EEENS1_30default_config_static_selectorELNS0_4arch9wavefront6targetE0EEEvT1_,comdat
.Lfunc_end162:
	.size	_ZN7rocprim17ROCPRIM_400000_NS6detail17trampoline_kernelINS0_14default_configENS1_25transform_config_selectorIjLb0EEEZNS1_14transform_implILb0ES3_S5_N6thrust23THRUST_200600_302600_NS6detail15normal_iteratorINS8_10device_ptrIjEEEEPjNS0_8identityIjEEEE10hipError_tT2_T3_mT4_P12ihipStream_tbEUlT_E_NS1_11comp_targetILNS1_3genE10ELNS1_11target_archE1201ELNS1_3gpuE5ELNS1_3repE0EEENS1_30default_config_static_selectorELNS0_4arch9wavefront6targetE0EEEvT1_, .Lfunc_end162-_ZN7rocprim17ROCPRIM_400000_NS6detail17trampoline_kernelINS0_14default_configENS1_25transform_config_selectorIjLb0EEEZNS1_14transform_implILb0ES3_S5_N6thrust23THRUST_200600_302600_NS6detail15normal_iteratorINS8_10device_ptrIjEEEEPjNS0_8identityIjEEEE10hipError_tT2_T3_mT4_P12ihipStream_tbEUlT_E_NS1_11comp_targetILNS1_3genE10ELNS1_11target_archE1201ELNS1_3gpuE5ELNS1_3repE0EEENS1_30default_config_static_selectorELNS0_4arch9wavefront6targetE0EEEvT1_
                                        ; -- End function
	.set _ZN7rocprim17ROCPRIM_400000_NS6detail17trampoline_kernelINS0_14default_configENS1_25transform_config_selectorIjLb0EEEZNS1_14transform_implILb0ES3_S5_N6thrust23THRUST_200600_302600_NS6detail15normal_iteratorINS8_10device_ptrIjEEEEPjNS0_8identityIjEEEE10hipError_tT2_T3_mT4_P12ihipStream_tbEUlT_E_NS1_11comp_targetILNS1_3genE10ELNS1_11target_archE1201ELNS1_3gpuE5ELNS1_3repE0EEENS1_30default_config_static_selectorELNS0_4arch9wavefront6targetE0EEEvT1_.num_vgpr, 0
	.set _ZN7rocprim17ROCPRIM_400000_NS6detail17trampoline_kernelINS0_14default_configENS1_25transform_config_selectorIjLb0EEEZNS1_14transform_implILb0ES3_S5_N6thrust23THRUST_200600_302600_NS6detail15normal_iteratorINS8_10device_ptrIjEEEEPjNS0_8identityIjEEEE10hipError_tT2_T3_mT4_P12ihipStream_tbEUlT_E_NS1_11comp_targetILNS1_3genE10ELNS1_11target_archE1201ELNS1_3gpuE5ELNS1_3repE0EEENS1_30default_config_static_selectorELNS0_4arch9wavefront6targetE0EEEvT1_.num_agpr, 0
	.set _ZN7rocprim17ROCPRIM_400000_NS6detail17trampoline_kernelINS0_14default_configENS1_25transform_config_selectorIjLb0EEEZNS1_14transform_implILb0ES3_S5_N6thrust23THRUST_200600_302600_NS6detail15normal_iteratorINS8_10device_ptrIjEEEEPjNS0_8identityIjEEEE10hipError_tT2_T3_mT4_P12ihipStream_tbEUlT_E_NS1_11comp_targetILNS1_3genE10ELNS1_11target_archE1201ELNS1_3gpuE5ELNS1_3repE0EEENS1_30default_config_static_selectorELNS0_4arch9wavefront6targetE0EEEvT1_.numbered_sgpr, 0
	.set _ZN7rocprim17ROCPRIM_400000_NS6detail17trampoline_kernelINS0_14default_configENS1_25transform_config_selectorIjLb0EEEZNS1_14transform_implILb0ES3_S5_N6thrust23THRUST_200600_302600_NS6detail15normal_iteratorINS8_10device_ptrIjEEEEPjNS0_8identityIjEEEE10hipError_tT2_T3_mT4_P12ihipStream_tbEUlT_E_NS1_11comp_targetILNS1_3genE10ELNS1_11target_archE1201ELNS1_3gpuE5ELNS1_3repE0EEENS1_30default_config_static_selectorELNS0_4arch9wavefront6targetE0EEEvT1_.num_named_barrier, 0
	.set _ZN7rocprim17ROCPRIM_400000_NS6detail17trampoline_kernelINS0_14default_configENS1_25transform_config_selectorIjLb0EEEZNS1_14transform_implILb0ES3_S5_N6thrust23THRUST_200600_302600_NS6detail15normal_iteratorINS8_10device_ptrIjEEEEPjNS0_8identityIjEEEE10hipError_tT2_T3_mT4_P12ihipStream_tbEUlT_E_NS1_11comp_targetILNS1_3genE10ELNS1_11target_archE1201ELNS1_3gpuE5ELNS1_3repE0EEENS1_30default_config_static_selectorELNS0_4arch9wavefront6targetE0EEEvT1_.private_seg_size, 0
	.set _ZN7rocprim17ROCPRIM_400000_NS6detail17trampoline_kernelINS0_14default_configENS1_25transform_config_selectorIjLb0EEEZNS1_14transform_implILb0ES3_S5_N6thrust23THRUST_200600_302600_NS6detail15normal_iteratorINS8_10device_ptrIjEEEEPjNS0_8identityIjEEEE10hipError_tT2_T3_mT4_P12ihipStream_tbEUlT_E_NS1_11comp_targetILNS1_3genE10ELNS1_11target_archE1201ELNS1_3gpuE5ELNS1_3repE0EEENS1_30default_config_static_selectorELNS0_4arch9wavefront6targetE0EEEvT1_.uses_vcc, 0
	.set _ZN7rocprim17ROCPRIM_400000_NS6detail17trampoline_kernelINS0_14default_configENS1_25transform_config_selectorIjLb0EEEZNS1_14transform_implILb0ES3_S5_N6thrust23THRUST_200600_302600_NS6detail15normal_iteratorINS8_10device_ptrIjEEEEPjNS0_8identityIjEEEE10hipError_tT2_T3_mT4_P12ihipStream_tbEUlT_E_NS1_11comp_targetILNS1_3genE10ELNS1_11target_archE1201ELNS1_3gpuE5ELNS1_3repE0EEENS1_30default_config_static_selectorELNS0_4arch9wavefront6targetE0EEEvT1_.uses_flat_scratch, 0
	.set _ZN7rocprim17ROCPRIM_400000_NS6detail17trampoline_kernelINS0_14default_configENS1_25transform_config_selectorIjLb0EEEZNS1_14transform_implILb0ES3_S5_N6thrust23THRUST_200600_302600_NS6detail15normal_iteratorINS8_10device_ptrIjEEEEPjNS0_8identityIjEEEE10hipError_tT2_T3_mT4_P12ihipStream_tbEUlT_E_NS1_11comp_targetILNS1_3genE10ELNS1_11target_archE1201ELNS1_3gpuE5ELNS1_3repE0EEENS1_30default_config_static_selectorELNS0_4arch9wavefront6targetE0EEEvT1_.has_dyn_sized_stack, 0
	.set _ZN7rocprim17ROCPRIM_400000_NS6detail17trampoline_kernelINS0_14default_configENS1_25transform_config_selectorIjLb0EEEZNS1_14transform_implILb0ES3_S5_N6thrust23THRUST_200600_302600_NS6detail15normal_iteratorINS8_10device_ptrIjEEEEPjNS0_8identityIjEEEE10hipError_tT2_T3_mT4_P12ihipStream_tbEUlT_E_NS1_11comp_targetILNS1_3genE10ELNS1_11target_archE1201ELNS1_3gpuE5ELNS1_3repE0EEENS1_30default_config_static_selectorELNS0_4arch9wavefront6targetE0EEEvT1_.has_recursion, 0
	.set _ZN7rocprim17ROCPRIM_400000_NS6detail17trampoline_kernelINS0_14default_configENS1_25transform_config_selectorIjLb0EEEZNS1_14transform_implILb0ES3_S5_N6thrust23THRUST_200600_302600_NS6detail15normal_iteratorINS8_10device_ptrIjEEEEPjNS0_8identityIjEEEE10hipError_tT2_T3_mT4_P12ihipStream_tbEUlT_E_NS1_11comp_targetILNS1_3genE10ELNS1_11target_archE1201ELNS1_3gpuE5ELNS1_3repE0EEENS1_30default_config_static_selectorELNS0_4arch9wavefront6targetE0EEEvT1_.has_indirect_call, 0
	.section	.AMDGPU.csdata,"",@progbits
; Kernel info:
; codeLenInByte = 0
; TotalNumSgprs: 0
; NumVgprs: 0
; ScratchSize: 0
; MemoryBound: 0
; FloatMode: 240
; IeeeMode: 1
; LDSByteSize: 0 bytes/workgroup (compile time only)
; SGPRBlocks: 0
; VGPRBlocks: 0
; NumSGPRsForWavesPerEU: 1
; NumVGPRsForWavesPerEU: 1
; Occupancy: 16
; WaveLimiterHint : 0
; COMPUTE_PGM_RSRC2:SCRATCH_EN: 0
; COMPUTE_PGM_RSRC2:USER_SGPR: 6
; COMPUTE_PGM_RSRC2:TRAP_HANDLER: 0
; COMPUTE_PGM_RSRC2:TGID_X_EN: 1
; COMPUTE_PGM_RSRC2:TGID_Y_EN: 0
; COMPUTE_PGM_RSRC2:TGID_Z_EN: 0
; COMPUTE_PGM_RSRC2:TIDIG_COMP_CNT: 0
	.section	.text._ZN7rocprim17ROCPRIM_400000_NS6detail17trampoline_kernelINS0_14default_configENS1_25transform_config_selectorIjLb0EEEZNS1_14transform_implILb0ES3_S5_N6thrust23THRUST_200600_302600_NS6detail15normal_iteratorINS8_10device_ptrIjEEEEPjNS0_8identityIjEEEE10hipError_tT2_T3_mT4_P12ihipStream_tbEUlT_E_NS1_11comp_targetILNS1_3genE10ELNS1_11target_archE1200ELNS1_3gpuE4ELNS1_3repE0EEENS1_30default_config_static_selectorELNS0_4arch9wavefront6targetE0EEEvT1_,"axG",@progbits,_ZN7rocprim17ROCPRIM_400000_NS6detail17trampoline_kernelINS0_14default_configENS1_25transform_config_selectorIjLb0EEEZNS1_14transform_implILb0ES3_S5_N6thrust23THRUST_200600_302600_NS6detail15normal_iteratorINS8_10device_ptrIjEEEEPjNS0_8identityIjEEEE10hipError_tT2_T3_mT4_P12ihipStream_tbEUlT_E_NS1_11comp_targetILNS1_3genE10ELNS1_11target_archE1200ELNS1_3gpuE4ELNS1_3repE0EEENS1_30default_config_static_selectorELNS0_4arch9wavefront6targetE0EEEvT1_,comdat
	.protected	_ZN7rocprim17ROCPRIM_400000_NS6detail17trampoline_kernelINS0_14default_configENS1_25transform_config_selectorIjLb0EEEZNS1_14transform_implILb0ES3_S5_N6thrust23THRUST_200600_302600_NS6detail15normal_iteratorINS8_10device_ptrIjEEEEPjNS0_8identityIjEEEE10hipError_tT2_T3_mT4_P12ihipStream_tbEUlT_E_NS1_11comp_targetILNS1_3genE10ELNS1_11target_archE1200ELNS1_3gpuE4ELNS1_3repE0EEENS1_30default_config_static_selectorELNS0_4arch9wavefront6targetE0EEEvT1_ ; -- Begin function _ZN7rocprim17ROCPRIM_400000_NS6detail17trampoline_kernelINS0_14default_configENS1_25transform_config_selectorIjLb0EEEZNS1_14transform_implILb0ES3_S5_N6thrust23THRUST_200600_302600_NS6detail15normal_iteratorINS8_10device_ptrIjEEEEPjNS0_8identityIjEEEE10hipError_tT2_T3_mT4_P12ihipStream_tbEUlT_E_NS1_11comp_targetILNS1_3genE10ELNS1_11target_archE1200ELNS1_3gpuE4ELNS1_3repE0EEENS1_30default_config_static_selectorELNS0_4arch9wavefront6targetE0EEEvT1_
	.globl	_ZN7rocprim17ROCPRIM_400000_NS6detail17trampoline_kernelINS0_14default_configENS1_25transform_config_selectorIjLb0EEEZNS1_14transform_implILb0ES3_S5_N6thrust23THRUST_200600_302600_NS6detail15normal_iteratorINS8_10device_ptrIjEEEEPjNS0_8identityIjEEEE10hipError_tT2_T3_mT4_P12ihipStream_tbEUlT_E_NS1_11comp_targetILNS1_3genE10ELNS1_11target_archE1200ELNS1_3gpuE4ELNS1_3repE0EEENS1_30default_config_static_selectorELNS0_4arch9wavefront6targetE0EEEvT1_
	.p2align	8
	.type	_ZN7rocprim17ROCPRIM_400000_NS6detail17trampoline_kernelINS0_14default_configENS1_25transform_config_selectorIjLb0EEEZNS1_14transform_implILb0ES3_S5_N6thrust23THRUST_200600_302600_NS6detail15normal_iteratorINS8_10device_ptrIjEEEEPjNS0_8identityIjEEEE10hipError_tT2_T3_mT4_P12ihipStream_tbEUlT_E_NS1_11comp_targetILNS1_3genE10ELNS1_11target_archE1200ELNS1_3gpuE4ELNS1_3repE0EEENS1_30default_config_static_selectorELNS0_4arch9wavefront6targetE0EEEvT1_,@function
_ZN7rocprim17ROCPRIM_400000_NS6detail17trampoline_kernelINS0_14default_configENS1_25transform_config_selectorIjLb0EEEZNS1_14transform_implILb0ES3_S5_N6thrust23THRUST_200600_302600_NS6detail15normal_iteratorINS8_10device_ptrIjEEEEPjNS0_8identityIjEEEE10hipError_tT2_T3_mT4_P12ihipStream_tbEUlT_E_NS1_11comp_targetILNS1_3genE10ELNS1_11target_archE1200ELNS1_3gpuE4ELNS1_3repE0EEENS1_30default_config_static_selectorELNS0_4arch9wavefront6targetE0EEEvT1_: ; @_ZN7rocprim17ROCPRIM_400000_NS6detail17trampoline_kernelINS0_14default_configENS1_25transform_config_selectorIjLb0EEEZNS1_14transform_implILb0ES3_S5_N6thrust23THRUST_200600_302600_NS6detail15normal_iteratorINS8_10device_ptrIjEEEEPjNS0_8identityIjEEEE10hipError_tT2_T3_mT4_P12ihipStream_tbEUlT_E_NS1_11comp_targetILNS1_3genE10ELNS1_11target_archE1200ELNS1_3gpuE4ELNS1_3repE0EEENS1_30default_config_static_selectorELNS0_4arch9wavefront6targetE0EEEvT1_
; %bb.0:
	.section	.rodata,"a",@progbits
	.p2align	6, 0x0
	.amdhsa_kernel _ZN7rocprim17ROCPRIM_400000_NS6detail17trampoline_kernelINS0_14default_configENS1_25transform_config_selectorIjLb0EEEZNS1_14transform_implILb0ES3_S5_N6thrust23THRUST_200600_302600_NS6detail15normal_iteratorINS8_10device_ptrIjEEEEPjNS0_8identityIjEEEE10hipError_tT2_T3_mT4_P12ihipStream_tbEUlT_E_NS1_11comp_targetILNS1_3genE10ELNS1_11target_archE1200ELNS1_3gpuE4ELNS1_3repE0EEENS1_30default_config_static_selectorELNS0_4arch9wavefront6targetE0EEEvT1_
		.amdhsa_group_segment_fixed_size 0
		.amdhsa_private_segment_fixed_size 0
		.amdhsa_kernarg_size 40
		.amdhsa_user_sgpr_count 6
		.amdhsa_user_sgpr_private_segment_buffer 1
		.amdhsa_user_sgpr_dispatch_ptr 0
		.amdhsa_user_sgpr_queue_ptr 0
		.amdhsa_user_sgpr_kernarg_segment_ptr 1
		.amdhsa_user_sgpr_dispatch_id 0
		.amdhsa_user_sgpr_flat_scratch_init 0
		.amdhsa_user_sgpr_private_segment_size 0
		.amdhsa_wavefront_size32 1
		.amdhsa_uses_dynamic_stack 0
		.amdhsa_system_sgpr_private_segment_wavefront_offset 0
		.amdhsa_system_sgpr_workgroup_id_x 1
		.amdhsa_system_sgpr_workgroup_id_y 0
		.amdhsa_system_sgpr_workgroup_id_z 0
		.amdhsa_system_sgpr_workgroup_info 0
		.amdhsa_system_vgpr_workitem_id 0
		.amdhsa_next_free_vgpr 1
		.amdhsa_next_free_sgpr 1
		.amdhsa_reserve_vcc 0
		.amdhsa_reserve_flat_scratch 0
		.amdhsa_float_round_mode_32 0
		.amdhsa_float_round_mode_16_64 0
		.amdhsa_float_denorm_mode_32 3
		.amdhsa_float_denorm_mode_16_64 3
		.amdhsa_dx10_clamp 1
		.amdhsa_ieee_mode 1
		.amdhsa_fp16_overflow 0
		.amdhsa_workgroup_processor_mode 1
		.amdhsa_memory_ordered 1
		.amdhsa_forward_progress 1
		.amdhsa_shared_vgpr_count 0
		.amdhsa_exception_fp_ieee_invalid_op 0
		.amdhsa_exception_fp_denorm_src 0
		.amdhsa_exception_fp_ieee_div_zero 0
		.amdhsa_exception_fp_ieee_overflow 0
		.amdhsa_exception_fp_ieee_underflow 0
		.amdhsa_exception_fp_ieee_inexact 0
		.amdhsa_exception_int_div_zero 0
	.end_amdhsa_kernel
	.section	.text._ZN7rocprim17ROCPRIM_400000_NS6detail17trampoline_kernelINS0_14default_configENS1_25transform_config_selectorIjLb0EEEZNS1_14transform_implILb0ES3_S5_N6thrust23THRUST_200600_302600_NS6detail15normal_iteratorINS8_10device_ptrIjEEEEPjNS0_8identityIjEEEE10hipError_tT2_T3_mT4_P12ihipStream_tbEUlT_E_NS1_11comp_targetILNS1_3genE10ELNS1_11target_archE1200ELNS1_3gpuE4ELNS1_3repE0EEENS1_30default_config_static_selectorELNS0_4arch9wavefront6targetE0EEEvT1_,"axG",@progbits,_ZN7rocprim17ROCPRIM_400000_NS6detail17trampoline_kernelINS0_14default_configENS1_25transform_config_selectorIjLb0EEEZNS1_14transform_implILb0ES3_S5_N6thrust23THRUST_200600_302600_NS6detail15normal_iteratorINS8_10device_ptrIjEEEEPjNS0_8identityIjEEEE10hipError_tT2_T3_mT4_P12ihipStream_tbEUlT_E_NS1_11comp_targetILNS1_3genE10ELNS1_11target_archE1200ELNS1_3gpuE4ELNS1_3repE0EEENS1_30default_config_static_selectorELNS0_4arch9wavefront6targetE0EEEvT1_,comdat
.Lfunc_end163:
	.size	_ZN7rocprim17ROCPRIM_400000_NS6detail17trampoline_kernelINS0_14default_configENS1_25transform_config_selectorIjLb0EEEZNS1_14transform_implILb0ES3_S5_N6thrust23THRUST_200600_302600_NS6detail15normal_iteratorINS8_10device_ptrIjEEEEPjNS0_8identityIjEEEE10hipError_tT2_T3_mT4_P12ihipStream_tbEUlT_E_NS1_11comp_targetILNS1_3genE10ELNS1_11target_archE1200ELNS1_3gpuE4ELNS1_3repE0EEENS1_30default_config_static_selectorELNS0_4arch9wavefront6targetE0EEEvT1_, .Lfunc_end163-_ZN7rocprim17ROCPRIM_400000_NS6detail17trampoline_kernelINS0_14default_configENS1_25transform_config_selectorIjLb0EEEZNS1_14transform_implILb0ES3_S5_N6thrust23THRUST_200600_302600_NS6detail15normal_iteratorINS8_10device_ptrIjEEEEPjNS0_8identityIjEEEE10hipError_tT2_T3_mT4_P12ihipStream_tbEUlT_E_NS1_11comp_targetILNS1_3genE10ELNS1_11target_archE1200ELNS1_3gpuE4ELNS1_3repE0EEENS1_30default_config_static_selectorELNS0_4arch9wavefront6targetE0EEEvT1_
                                        ; -- End function
	.set _ZN7rocprim17ROCPRIM_400000_NS6detail17trampoline_kernelINS0_14default_configENS1_25transform_config_selectorIjLb0EEEZNS1_14transform_implILb0ES3_S5_N6thrust23THRUST_200600_302600_NS6detail15normal_iteratorINS8_10device_ptrIjEEEEPjNS0_8identityIjEEEE10hipError_tT2_T3_mT4_P12ihipStream_tbEUlT_E_NS1_11comp_targetILNS1_3genE10ELNS1_11target_archE1200ELNS1_3gpuE4ELNS1_3repE0EEENS1_30default_config_static_selectorELNS0_4arch9wavefront6targetE0EEEvT1_.num_vgpr, 0
	.set _ZN7rocprim17ROCPRIM_400000_NS6detail17trampoline_kernelINS0_14default_configENS1_25transform_config_selectorIjLb0EEEZNS1_14transform_implILb0ES3_S5_N6thrust23THRUST_200600_302600_NS6detail15normal_iteratorINS8_10device_ptrIjEEEEPjNS0_8identityIjEEEE10hipError_tT2_T3_mT4_P12ihipStream_tbEUlT_E_NS1_11comp_targetILNS1_3genE10ELNS1_11target_archE1200ELNS1_3gpuE4ELNS1_3repE0EEENS1_30default_config_static_selectorELNS0_4arch9wavefront6targetE0EEEvT1_.num_agpr, 0
	.set _ZN7rocprim17ROCPRIM_400000_NS6detail17trampoline_kernelINS0_14default_configENS1_25transform_config_selectorIjLb0EEEZNS1_14transform_implILb0ES3_S5_N6thrust23THRUST_200600_302600_NS6detail15normal_iteratorINS8_10device_ptrIjEEEEPjNS0_8identityIjEEEE10hipError_tT2_T3_mT4_P12ihipStream_tbEUlT_E_NS1_11comp_targetILNS1_3genE10ELNS1_11target_archE1200ELNS1_3gpuE4ELNS1_3repE0EEENS1_30default_config_static_selectorELNS0_4arch9wavefront6targetE0EEEvT1_.numbered_sgpr, 0
	.set _ZN7rocprim17ROCPRIM_400000_NS6detail17trampoline_kernelINS0_14default_configENS1_25transform_config_selectorIjLb0EEEZNS1_14transform_implILb0ES3_S5_N6thrust23THRUST_200600_302600_NS6detail15normal_iteratorINS8_10device_ptrIjEEEEPjNS0_8identityIjEEEE10hipError_tT2_T3_mT4_P12ihipStream_tbEUlT_E_NS1_11comp_targetILNS1_3genE10ELNS1_11target_archE1200ELNS1_3gpuE4ELNS1_3repE0EEENS1_30default_config_static_selectorELNS0_4arch9wavefront6targetE0EEEvT1_.num_named_barrier, 0
	.set _ZN7rocprim17ROCPRIM_400000_NS6detail17trampoline_kernelINS0_14default_configENS1_25transform_config_selectorIjLb0EEEZNS1_14transform_implILb0ES3_S5_N6thrust23THRUST_200600_302600_NS6detail15normal_iteratorINS8_10device_ptrIjEEEEPjNS0_8identityIjEEEE10hipError_tT2_T3_mT4_P12ihipStream_tbEUlT_E_NS1_11comp_targetILNS1_3genE10ELNS1_11target_archE1200ELNS1_3gpuE4ELNS1_3repE0EEENS1_30default_config_static_selectorELNS0_4arch9wavefront6targetE0EEEvT1_.private_seg_size, 0
	.set _ZN7rocprim17ROCPRIM_400000_NS6detail17trampoline_kernelINS0_14default_configENS1_25transform_config_selectorIjLb0EEEZNS1_14transform_implILb0ES3_S5_N6thrust23THRUST_200600_302600_NS6detail15normal_iteratorINS8_10device_ptrIjEEEEPjNS0_8identityIjEEEE10hipError_tT2_T3_mT4_P12ihipStream_tbEUlT_E_NS1_11comp_targetILNS1_3genE10ELNS1_11target_archE1200ELNS1_3gpuE4ELNS1_3repE0EEENS1_30default_config_static_selectorELNS0_4arch9wavefront6targetE0EEEvT1_.uses_vcc, 0
	.set _ZN7rocprim17ROCPRIM_400000_NS6detail17trampoline_kernelINS0_14default_configENS1_25transform_config_selectorIjLb0EEEZNS1_14transform_implILb0ES3_S5_N6thrust23THRUST_200600_302600_NS6detail15normal_iteratorINS8_10device_ptrIjEEEEPjNS0_8identityIjEEEE10hipError_tT2_T3_mT4_P12ihipStream_tbEUlT_E_NS1_11comp_targetILNS1_3genE10ELNS1_11target_archE1200ELNS1_3gpuE4ELNS1_3repE0EEENS1_30default_config_static_selectorELNS0_4arch9wavefront6targetE0EEEvT1_.uses_flat_scratch, 0
	.set _ZN7rocprim17ROCPRIM_400000_NS6detail17trampoline_kernelINS0_14default_configENS1_25transform_config_selectorIjLb0EEEZNS1_14transform_implILb0ES3_S5_N6thrust23THRUST_200600_302600_NS6detail15normal_iteratorINS8_10device_ptrIjEEEEPjNS0_8identityIjEEEE10hipError_tT2_T3_mT4_P12ihipStream_tbEUlT_E_NS1_11comp_targetILNS1_3genE10ELNS1_11target_archE1200ELNS1_3gpuE4ELNS1_3repE0EEENS1_30default_config_static_selectorELNS0_4arch9wavefront6targetE0EEEvT1_.has_dyn_sized_stack, 0
	.set _ZN7rocprim17ROCPRIM_400000_NS6detail17trampoline_kernelINS0_14default_configENS1_25transform_config_selectorIjLb0EEEZNS1_14transform_implILb0ES3_S5_N6thrust23THRUST_200600_302600_NS6detail15normal_iteratorINS8_10device_ptrIjEEEEPjNS0_8identityIjEEEE10hipError_tT2_T3_mT4_P12ihipStream_tbEUlT_E_NS1_11comp_targetILNS1_3genE10ELNS1_11target_archE1200ELNS1_3gpuE4ELNS1_3repE0EEENS1_30default_config_static_selectorELNS0_4arch9wavefront6targetE0EEEvT1_.has_recursion, 0
	.set _ZN7rocprim17ROCPRIM_400000_NS6detail17trampoline_kernelINS0_14default_configENS1_25transform_config_selectorIjLb0EEEZNS1_14transform_implILb0ES3_S5_N6thrust23THRUST_200600_302600_NS6detail15normal_iteratorINS8_10device_ptrIjEEEEPjNS0_8identityIjEEEE10hipError_tT2_T3_mT4_P12ihipStream_tbEUlT_E_NS1_11comp_targetILNS1_3genE10ELNS1_11target_archE1200ELNS1_3gpuE4ELNS1_3repE0EEENS1_30default_config_static_selectorELNS0_4arch9wavefront6targetE0EEEvT1_.has_indirect_call, 0
	.section	.AMDGPU.csdata,"",@progbits
; Kernel info:
; codeLenInByte = 0
; TotalNumSgprs: 0
; NumVgprs: 0
; ScratchSize: 0
; MemoryBound: 0
; FloatMode: 240
; IeeeMode: 1
; LDSByteSize: 0 bytes/workgroup (compile time only)
; SGPRBlocks: 0
; VGPRBlocks: 0
; NumSGPRsForWavesPerEU: 1
; NumVGPRsForWavesPerEU: 1
; Occupancy: 16
; WaveLimiterHint : 0
; COMPUTE_PGM_RSRC2:SCRATCH_EN: 0
; COMPUTE_PGM_RSRC2:USER_SGPR: 6
; COMPUTE_PGM_RSRC2:TRAP_HANDLER: 0
; COMPUTE_PGM_RSRC2:TGID_X_EN: 1
; COMPUTE_PGM_RSRC2:TGID_Y_EN: 0
; COMPUTE_PGM_RSRC2:TGID_Z_EN: 0
; COMPUTE_PGM_RSRC2:TIDIG_COMP_CNT: 0
	.section	.text._ZN7rocprim17ROCPRIM_400000_NS6detail17trampoline_kernelINS0_14default_configENS1_25transform_config_selectorIjLb0EEEZNS1_14transform_implILb0ES3_S5_N6thrust23THRUST_200600_302600_NS6detail15normal_iteratorINS8_10device_ptrIjEEEEPjNS0_8identityIjEEEE10hipError_tT2_T3_mT4_P12ihipStream_tbEUlT_E_NS1_11comp_targetILNS1_3genE9ELNS1_11target_archE1100ELNS1_3gpuE3ELNS1_3repE0EEENS1_30default_config_static_selectorELNS0_4arch9wavefront6targetE0EEEvT1_,"axG",@progbits,_ZN7rocprim17ROCPRIM_400000_NS6detail17trampoline_kernelINS0_14default_configENS1_25transform_config_selectorIjLb0EEEZNS1_14transform_implILb0ES3_S5_N6thrust23THRUST_200600_302600_NS6detail15normal_iteratorINS8_10device_ptrIjEEEEPjNS0_8identityIjEEEE10hipError_tT2_T3_mT4_P12ihipStream_tbEUlT_E_NS1_11comp_targetILNS1_3genE9ELNS1_11target_archE1100ELNS1_3gpuE3ELNS1_3repE0EEENS1_30default_config_static_selectorELNS0_4arch9wavefront6targetE0EEEvT1_,comdat
	.protected	_ZN7rocprim17ROCPRIM_400000_NS6detail17trampoline_kernelINS0_14default_configENS1_25transform_config_selectorIjLb0EEEZNS1_14transform_implILb0ES3_S5_N6thrust23THRUST_200600_302600_NS6detail15normal_iteratorINS8_10device_ptrIjEEEEPjNS0_8identityIjEEEE10hipError_tT2_T3_mT4_P12ihipStream_tbEUlT_E_NS1_11comp_targetILNS1_3genE9ELNS1_11target_archE1100ELNS1_3gpuE3ELNS1_3repE0EEENS1_30default_config_static_selectorELNS0_4arch9wavefront6targetE0EEEvT1_ ; -- Begin function _ZN7rocprim17ROCPRIM_400000_NS6detail17trampoline_kernelINS0_14default_configENS1_25transform_config_selectorIjLb0EEEZNS1_14transform_implILb0ES3_S5_N6thrust23THRUST_200600_302600_NS6detail15normal_iteratorINS8_10device_ptrIjEEEEPjNS0_8identityIjEEEE10hipError_tT2_T3_mT4_P12ihipStream_tbEUlT_E_NS1_11comp_targetILNS1_3genE9ELNS1_11target_archE1100ELNS1_3gpuE3ELNS1_3repE0EEENS1_30default_config_static_selectorELNS0_4arch9wavefront6targetE0EEEvT1_
	.globl	_ZN7rocprim17ROCPRIM_400000_NS6detail17trampoline_kernelINS0_14default_configENS1_25transform_config_selectorIjLb0EEEZNS1_14transform_implILb0ES3_S5_N6thrust23THRUST_200600_302600_NS6detail15normal_iteratorINS8_10device_ptrIjEEEEPjNS0_8identityIjEEEE10hipError_tT2_T3_mT4_P12ihipStream_tbEUlT_E_NS1_11comp_targetILNS1_3genE9ELNS1_11target_archE1100ELNS1_3gpuE3ELNS1_3repE0EEENS1_30default_config_static_selectorELNS0_4arch9wavefront6targetE0EEEvT1_
	.p2align	8
	.type	_ZN7rocprim17ROCPRIM_400000_NS6detail17trampoline_kernelINS0_14default_configENS1_25transform_config_selectorIjLb0EEEZNS1_14transform_implILb0ES3_S5_N6thrust23THRUST_200600_302600_NS6detail15normal_iteratorINS8_10device_ptrIjEEEEPjNS0_8identityIjEEEE10hipError_tT2_T3_mT4_P12ihipStream_tbEUlT_E_NS1_11comp_targetILNS1_3genE9ELNS1_11target_archE1100ELNS1_3gpuE3ELNS1_3repE0EEENS1_30default_config_static_selectorELNS0_4arch9wavefront6targetE0EEEvT1_,@function
_ZN7rocprim17ROCPRIM_400000_NS6detail17trampoline_kernelINS0_14default_configENS1_25transform_config_selectorIjLb0EEEZNS1_14transform_implILb0ES3_S5_N6thrust23THRUST_200600_302600_NS6detail15normal_iteratorINS8_10device_ptrIjEEEEPjNS0_8identityIjEEEE10hipError_tT2_T3_mT4_P12ihipStream_tbEUlT_E_NS1_11comp_targetILNS1_3genE9ELNS1_11target_archE1100ELNS1_3gpuE3ELNS1_3repE0EEENS1_30default_config_static_selectorELNS0_4arch9wavefront6targetE0EEEvT1_: ; @_ZN7rocprim17ROCPRIM_400000_NS6detail17trampoline_kernelINS0_14default_configENS1_25transform_config_selectorIjLb0EEEZNS1_14transform_implILb0ES3_S5_N6thrust23THRUST_200600_302600_NS6detail15normal_iteratorINS8_10device_ptrIjEEEEPjNS0_8identityIjEEEE10hipError_tT2_T3_mT4_P12ihipStream_tbEUlT_E_NS1_11comp_targetILNS1_3genE9ELNS1_11target_archE1100ELNS1_3gpuE3ELNS1_3repE0EEENS1_30default_config_static_selectorELNS0_4arch9wavefront6targetE0EEEvT1_
; %bb.0:
	.section	.rodata,"a",@progbits
	.p2align	6, 0x0
	.amdhsa_kernel _ZN7rocprim17ROCPRIM_400000_NS6detail17trampoline_kernelINS0_14default_configENS1_25transform_config_selectorIjLb0EEEZNS1_14transform_implILb0ES3_S5_N6thrust23THRUST_200600_302600_NS6detail15normal_iteratorINS8_10device_ptrIjEEEEPjNS0_8identityIjEEEE10hipError_tT2_T3_mT4_P12ihipStream_tbEUlT_E_NS1_11comp_targetILNS1_3genE9ELNS1_11target_archE1100ELNS1_3gpuE3ELNS1_3repE0EEENS1_30default_config_static_selectorELNS0_4arch9wavefront6targetE0EEEvT1_
		.amdhsa_group_segment_fixed_size 0
		.amdhsa_private_segment_fixed_size 0
		.amdhsa_kernarg_size 40
		.amdhsa_user_sgpr_count 6
		.amdhsa_user_sgpr_private_segment_buffer 1
		.amdhsa_user_sgpr_dispatch_ptr 0
		.amdhsa_user_sgpr_queue_ptr 0
		.amdhsa_user_sgpr_kernarg_segment_ptr 1
		.amdhsa_user_sgpr_dispatch_id 0
		.amdhsa_user_sgpr_flat_scratch_init 0
		.amdhsa_user_sgpr_private_segment_size 0
		.amdhsa_wavefront_size32 1
		.amdhsa_uses_dynamic_stack 0
		.amdhsa_system_sgpr_private_segment_wavefront_offset 0
		.amdhsa_system_sgpr_workgroup_id_x 1
		.amdhsa_system_sgpr_workgroup_id_y 0
		.amdhsa_system_sgpr_workgroup_id_z 0
		.amdhsa_system_sgpr_workgroup_info 0
		.amdhsa_system_vgpr_workitem_id 0
		.amdhsa_next_free_vgpr 1
		.amdhsa_next_free_sgpr 1
		.amdhsa_reserve_vcc 0
		.amdhsa_reserve_flat_scratch 0
		.amdhsa_float_round_mode_32 0
		.amdhsa_float_round_mode_16_64 0
		.amdhsa_float_denorm_mode_32 3
		.amdhsa_float_denorm_mode_16_64 3
		.amdhsa_dx10_clamp 1
		.amdhsa_ieee_mode 1
		.amdhsa_fp16_overflow 0
		.amdhsa_workgroup_processor_mode 1
		.amdhsa_memory_ordered 1
		.amdhsa_forward_progress 1
		.amdhsa_shared_vgpr_count 0
		.amdhsa_exception_fp_ieee_invalid_op 0
		.amdhsa_exception_fp_denorm_src 0
		.amdhsa_exception_fp_ieee_div_zero 0
		.amdhsa_exception_fp_ieee_overflow 0
		.amdhsa_exception_fp_ieee_underflow 0
		.amdhsa_exception_fp_ieee_inexact 0
		.amdhsa_exception_int_div_zero 0
	.end_amdhsa_kernel
	.section	.text._ZN7rocprim17ROCPRIM_400000_NS6detail17trampoline_kernelINS0_14default_configENS1_25transform_config_selectorIjLb0EEEZNS1_14transform_implILb0ES3_S5_N6thrust23THRUST_200600_302600_NS6detail15normal_iteratorINS8_10device_ptrIjEEEEPjNS0_8identityIjEEEE10hipError_tT2_T3_mT4_P12ihipStream_tbEUlT_E_NS1_11comp_targetILNS1_3genE9ELNS1_11target_archE1100ELNS1_3gpuE3ELNS1_3repE0EEENS1_30default_config_static_selectorELNS0_4arch9wavefront6targetE0EEEvT1_,"axG",@progbits,_ZN7rocprim17ROCPRIM_400000_NS6detail17trampoline_kernelINS0_14default_configENS1_25transform_config_selectorIjLb0EEEZNS1_14transform_implILb0ES3_S5_N6thrust23THRUST_200600_302600_NS6detail15normal_iteratorINS8_10device_ptrIjEEEEPjNS0_8identityIjEEEE10hipError_tT2_T3_mT4_P12ihipStream_tbEUlT_E_NS1_11comp_targetILNS1_3genE9ELNS1_11target_archE1100ELNS1_3gpuE3ELNS1_3repE0EEENS1_30default_config_static_selectorELNS0_4arch9wavefront6targetE0EEEvT1_,comdat
.Lfunc_end164:
	.size	_ZN7rocprim17ROCPRIM_400000_NS6detail17trampoline_kernelINS0_14default_configENS1_25transform_config_selectorIjLb0EEEZNS1_14transform_implILb0ES3_S5_N6thrust23THRUST_200600_302600_NS6detail15normal_iteratorINS8_10device_ptrIjEEEEPjNS0_8identityIjEEEE10hipError_tT2_T3_mT4_P12ihipStream_tbEUlT_E_NS1_11comp_targetILNS1_3genE9ELNS1_11target_archE1100ELNS1_3gpuE3ELNS1_3repE0EEENS1_30default_config_static_selectorELNS0_4arch9wavefront6targetE0EEEvT1_, .Lfunc_end164-_ZN7rocprim17ROCPRIM_400000_NS6detail17trampoline_kernelINS0_14default_configENS1_25transform_config_selectorIjLb0EEEZNS1_14transform_implILb0ES3_S5_N6thrust23THRUST_200600_302600_NS6detail15normal_iteratorINS8_10device_ptrIjEEEEPjNS0_8identityIjEEEE10hipError_tT2_T3_mT4_P12ihipStream_tbEUlT_E_NS1_11comp_targetILNS1_3genE9ELNS1_11target_archE1100ELNS1_3gpuE3ELNS1_3repE0EEENS1_30default_config_static_selectorELNS0_4arch9wavefront6targetE0EEEvT1_
                                        ; -- End function
	.set _ZN7rocprim17ROCPRIM_400000_NS6detail17trampoline_kernelINS0_14default_configENS1_25transform_config_selectorIjLb0EEEZNS1_14transform_implILb0ES3_S5_N6thrust23THRUST_200600_302600_NS6detail15normal_iteratorINS8_10device_ptrIjEEEEPjNS0_8identityIjEEEE10hipError_tT2_T3_mT4_P12ihipStream_tbEUlT_E_NS1_11comp_targetILNS1_3genE9ELNS1_11target_archE1100ELNS1_3gpuE3ELNS1_3repE0EEENS1_30default_config_static_selectorELNS0_4arch9wavefront6targetE0EEEvT1_.num_vgpr, 0
	.set _ZN7rocprim17ROCPRIM_400000_NS6detail17trampoline_kernelINS0_14default_configENS1_25transform_config_selectorIjLb0EEEZNS1_14transform_implILb0ES3_S5_N6thrust23THRUST_200600_302600_NS6detail15normal_iteratorINS8_10device_ptrIjEEEEPjNS0_8identityIjEEEE10hipError_tT2_T3_mT4_P12ihipStream_tbEUlT_E_NS1_11comp_targetILNS1_3genE9ELNS1_11target_archE1100ELNS1_3gpuE3ELNS1_3repE0EEENS1_30default_config_static_selectorELNS0_4arch9wavefront6targetE0EEEvT1_.num_agpr, 0
	.set _ZN7rocprim17ROCPRIM_400000_NS6detail17trampoline_kernelINS0_14default_configENS1_25transform_config_selectorIjLb0EEEZNS1_14transform_implILb0ES3_S5_N6thrust23THRUST_200600_302600_NS6detail15normal_iteratorINS8_10device_ptrIjEEEEPjNS0_8identityIjEEEE10hipError_tT2_T3_mT4_P12ihipStream_tbEUlT_E_NS1_11comp_targetILNS1_3genE9ELNS1_11target_archE1100ELNS1_3gpuE3ELNS1_3repE0EEENS1_30default_config_static_selectorELNS0_4arch9wavefront6targetE0EEEvT1_.numbered_sgpr, 0
	.set _ZN7rocprim17ROCPRIM_400000_NS6detail17trampoline_kernelINS0_14default_configENS1_25transform_config_selectorIjLb0EEEZNS1_14transform_implILb0ES3_S5_N6thrust23THRUST_200600_302600_NS6detail15normal_iteratorINS8_10device_ptrIjEEEEPjNS0_8identityIjEEEE10hipError_tT2_T3_mT4_P12ihipStream_tbEUlT_E_NS1_11comp_targetILNS1_3genE9ELNS1_11target_archE1100ELNS1_3gpuE3ELNS1_3repE0EEENS1_30default_config_static_selectorELNS0_4arch9wavefront6targetE0EEEvT1_.num_named_barrier, 0
	.set _ZN7rocprim17ROCPRIM_400000_NS6detail17trampoline_kernelINS0_14default_configENS1_25transform_config_selectorIjLb0EEEZNS1_14transform_implILb0ES3_S5_N6thrust23THRUST_200600_302600_NS6detail15normal_iteratorINS8_10device_ptrIjEEEEPjNS0_8identityIjEEEE10hipError_tT2_T3_mT4_P12ihipStream_tbEUlT_E_NS1_11comp_targetILNS1_3genE9ELNS1_11target_archE1100ELNS1_3gpuE3ELNS1_3repE0EEENS1_30default_config_static_selectorELNS0_4arch9wavefront6targetE0EEEvT1_.private_seg_size, 0
	.set _ZN7rocprim17ROCPRIM_400000_NS6detail17trampoline_kernelINS0_14default_configENS1_25transform_config_selectorIjLb0EEEZNS1_14transform_implILb0ES3_S5_N6thrust23THRUST_200600_302600_NS6detail15normal_iteratorINS8_10device_ptrIjEEEEPjNS0_8identityIjEEEE10hipError_tT2_T3_mT4_P12ihipStream_tbEUlT_E_NS1_11comp_targetILNS1_3genE9ELNS1_11target_archE1100ELNS1_3gpuE3ELNS1_3repE0EEENS1_30default_config_static_selectorELNS0_4arch9wavefront6targetE0EEEvT1_.uses_vcc, 0
	.set _ZN7rocprim17ROCPRIM_400000_NS6detail17trampoline_kernelINS0_14default_configENS1_25transform_config_selectorIjLb0EEEZNS1_14transform_implILb0ES3_S5_N6thrust23THRUST_200600_302600_NS6detail15normal_iteratorINS8_10device_ptrIjEEEEPjNS0_8identityIjEEEE10hipError_tT2_T3_mT4_P12ihipStream_tbEUlT_E_NS1_11comp_targetILNS1_3genE9ELNS1_11target_archE1100ELNS1_3gpuE3ELNS1_3repE0EEENS1_30default_config_static_selectorELNS0_4arch9wavefront6targetE0EEEvT1_.uses_flat_scratch, 0
	.set _ZN7rocprim17ROCPRIM_400000_NS6detail17trampoline_kernelINS0_14default_configENS1_25transform_config_selectorIjLb0EEEZNS1_14transform_implILb0ES3_S5_N6thrust23THRUST_200600_302600_NS6detail15normal_iteratorINS8_10device_ptrIjEEEEPjNS0_8identityIjEEEE10hipError_tT2_T3_mT4_P12ihipStream_tbEUlT_E_NS1_11comp_targetILNS1_3genE9ELNS1_11target_archE1100ELNS1_3gpuE3ELNS1_3repE0EEENS1_30default_config_static_selectorELNS0_4arch9wavefront6targetE0EEEvT1_.has_dyn_sized_stack, 0
	.set _ZN7rocprim17ROCPRIM_400000_NS6detail17trampoline_kernelINS0_14default_configENS1_25transform_config_selectorIjLb0EEEZNS1_14transform_implILb0ES3_S5_N6thrust23THRUST_200600_302600_NS6detail15normal_iteratorINS8_10device_ptrIjEEEEPjNS0_8identityIjEEEE10hipError_tT2_T3_mT4_P12ihipStream_tbEUlT_E_NS1_11comp_targetILNS1_3genE9ELNS1_11target_archE1100ELNS1_3gpuE3ELNS1_3repE0EEENS1_30default_config_static_selectorELNS0_4arch9wavefront6targetE0EEEvT1_.has_recursion, 0
	.set _ZN7rocprim17ROCPRIM_400000_NS6detail17trampoline_kernelINS0_14default_configENS1_25transform_config_selectorIjLb0EEEZNS1_14transform_implILb0ES3_S5_N6thrust23THRUST_200600_302600_NS6detail15normal_iteratorINS8_10device_ptrIjEEEEPjNS0_8identityIjEEEE10hipError_tT2_T3_mT4_P12ihipStream_tbEUlT_E_NS1_11comp_targetILNS1_3genE9ELNS1_11target_archE1100ELNS1_3gpuE3ELNS1_3repE0EEENS1_30default_config_static_selectorELNS0_4arch9wavefront6targetE0EEEvT1_.has_indirect_call, 0
	.section	.AMDGPU.csdata,"",@progbits
; Kernel info:
; codeLenInByte = 0
; TotalNumSgprs: 0
; NumVgprs: 0
; ScratchSize: 0
; MemoryBound: 0
; FloatMode: 240
; IeeeMode: 1
; LDSByteSize: 0 bytes/workgroup (compile time only)
; SGPRBlocks: 0
; VGPRBlocks: 0
; NumSGPRsForWavesPerEU: 1
; NumVGPRsForWavesPerEU: 1
; Occupancy: 16
; WaveLimiterHint : 0
; COMPUTE_PGM_RSRC2:SCRATCH_EN: 0
; COMPUTE_PGM_RSRC2:USER_SGPR: 6
; COMPUTE_PGM_RSRC2:TRAP_HANDLER: 0
; COMPUTE_PGM_RSRC2:TGID_X_EN: 1
; COMPUTE_PGM_RSRC2:TGID_Y_EN: 0
; COMPUTE_PGM_RSRC2:TGID_Z_EN: 0
; COMPUTE_PGM_RSRC2:TIDIG_COMP_CNT: 0
	.section	.text._ZN7rocprim17ROCPRIM_400000_NS6detail17trampoline_kernelINS0_14default_configENS1_25transform_config_selectorIjLb0EEEZNS1_14transform_implILb0ES3_S5_N6thrust23THRUST_200600_302600_NS6detail15normal_iteratorINS8_10device_ptrIjEEEEPjNS0_8identityIjEEEE10hipError_tT2_T3_mT4_P12ihipStream_tbEUlT_E_NS1_11comp_targetILNS1_3genE8ELNS1_11target_archE1030ELNS1_3gpuE2ELNS1_3repE0EEENS1_30default_config_static_selectorELNS0_4arch9wavefront6targetE0EEEvT1_,"axG",@progbits,_ZN7rocprim17ROCPRIM_400000_NS6detail17trampoline_kernelINS0_14default_configENS1_25transform_config_selectorIjLb0EEEZNS1_14transform_implILb0ES3_S5_N6thrust23THRUST_200600_302600_NS6detail15normal_iteratorINS8_10device_ptrIjEEEEPjNS0_8identityIjEEEE10hipError_tT2_T3_mT4_P12ihipStream_tbEUlT_E_NS1_11comp_targetILNS1_3genE8ELNS1_11target_archE1030ELNS1_3gpuE2ELNS1_3repE0EEENS1_30default_config_static_selectorELNS0_4arch9wavefront6targetE0EEEvT1_,comdat
	.protected	_ZN7rocprim17ROCPRIM_400000_NS6detail17trampoline_kernelINS0_14default_configENS1_25transform_config_selectorIjLb0EEEZNS1_14transform_implILb0ES3_S5_N6thrust23THRUST_200600_302600_NS6detail15normal_iteratorINS8_10device_ptrIjEEEEPjNS0_8identityIjEEEE10hipError_tT2_T3_mT4_P12ihipStream_tbEUlT_E_NS1_11comp_targetILNS1_3genE8ELNS1_11target_archE1030ELNS1_3gpuE2ELNS1_3repE0EEENS1_30default_config_static_selectorELNS0_4arch9wavefront6targetE0EEEvT1_ ; -- Begin function _ZN7rocprim17ROCPRIM_400000_NS6detail17trampoline_kernelINS0_14default_configENS1_25transform_config_selectorIjLb0EEEZNS1_14transform_implILb0ES3_S5_N6thrust23THRUST_200600_302600_NS6detail15normal_iteratorINS8_10device_ptrIjEEEEPjNS0_8identityIjEEEE10hipError_tT2_T3_mT4_P12ihipStream_tbEUlT_E_NS1_11comp_targetILNS1_3genE8ELNS1_11target_archE1030ELNS1_3gpuE2ELNS1_3repE0EEENS1_30default_config_static_selectorELNS0_4arch9wavefront6targetE0EEEvT1_
	.globl	_ZN7rocprim17ROCPRIM_400000_NS6detail17trampoline_kernelINS0_14default_configENS1_25transform_config_selectorIjLb0EEEZNS1_14transform_implILb0ES3_S5_N6thrust23THRUST_200600_302600_NS6detail15normal_iteratorINS8_10device_ptrIjEEEEPjNS0_8identityIjEEEE10hipError_tT2_T3_mT4_P12ihipStream_tbEUlT_E_NS1_11comp_targetILNS1_3genE8ELNS1_11target_archE1030ELNS1_3gpuE2ELNS1_3repE0EEENS1_30default_config_static_selectorELNS0_4arch9wavefront6targetE0EEEvT1_
	.p2align	8
	.type	_ZN7rocprim17ROCPRIM_400000_NS6detail17trampoline_kernelINS0_14default_configENS1_25transform_config_selectorIjLb0EEEZNS1_14transform_implILb0ES3_S5_N6thrust23THRUST_200600_302600_NS6detail15normal_iteratorINS8_10device_ptrIjEEEEPjNS0_8identityIjEEEE10hipError_tT2_T3_mT4_P12ihipStream_tbEUlT_E_NS1_11comp_targetILNS1_3genE8ELNS1_11target_archE1030ELNS1_3gpuE2ELNS1_3repE0EEENS1_30default_config_static_selectorELNS0_4arch9wavefront6targetE0EEEvT1_,@function
_ZN7rocprim17ROCPRIM_400000_NS6detail17trampoline_kernelINS0_14default_configENS1_25transform_config_selectorIjLb0EEEZNS1_14transform_implILb0ES3_S5_N6thrust23THRUST_200600_302600_NS6detail15normal_iteratorINS8_10device_ptrIjEEEEPjNS0_8identityIjEEEE10hipError_tT2_T3_mT4_P12ihipStream_tbEUlT_E_NS1_11comp_targetILNS1_3genE8ELNS1_11target_archE1030ELNS1_3gpuE2ELNS1_3repE0EEENS1_30default_config_static_selectorELNS0_4arch9wavefront6targetE0EEEvT1_: ; @_ZN7rocprim17ROCPRIM_400000_NS6detail17trampoline_kernelINS0_14default_configENS1_25transform_config_selectorIjLb0EEEZNS1_14transform_implILb0ES3_S5_N6thrust23THRUST_200600_302600_NS6detail15normal_iteratorINS8_10device_ptrIjEEEEPjNS0_8identityIjEEEE10hipError_tT2_T3_mT4_P12ihipStream_tbEUlT_E_NS1_11comp_targetILNS1_3genE8ELNS1_11target_archE1030ELNS1_3gpuE2ELNS1_3repE0EEENS1_30default_config_static_selectorELNS0_4arch9wavefront6targetE0EEEvT1_
; %bb.0:
	s_clause 0x1
	s_load_dword s0, s[4:5], 0x28
	s_load_dword s1, s[4:5], 0x10
	s_waitcnt lgkmcnt(0)
	s_add_i32 s2, s0, -1
	s_lshl_b32 s0, s6, 8
	s_cmp_lg_u32 s6, s2
	s_cselect_b32 s2, -1, 0
	s_sub_i32 s1, s1, s0
	v_cmp_gt_u32_e32 vcc_lo, s1, v0
	s_or_b32 s1, vcc_lo, s2
	s_and_saveexec_b32 s2, s1
	s_cbranch_execz .LBB165_2
; %bb.1:
	s_clause 0x1
	s_load_dwordx4 s[8:11], s[4:5], 0x0
	s_load_dwordx2 s[2:3], s[4:5], 0x18
	s_mov_b32 s1, 0
	v_lshlrev_b32_e32 v2, 2, v0
	s_waitcnt lgkmcnt(0)
	s_lshl_b64 s[4:5], s[10:11], 2
	s_add_u32 s6, s8, s4
	s_addc_u32 s7, s9, s5
	s_lshl_b64 s[0:1], s[0:1], 2
	s_add_u32 s6, s6, s0
	s_addc_u32 s7, s7, s1
	v_add_co_u32 v0, s6, s6, v2
	v_add_co_ci_u32_e64 v1, null, s7, 0, s6
	s_add_u32 s2, s2, s4
	s_addc_u32 s3, s3, s5
	s_add_u32 s0, s2, s0
	flat_load_dword v0, v[0:1]
	s_addc_u32 s1, s3, s1
	s_waitcnt vmcnt(0) lgkmcnt(0)
	global_store_dword v2, v0, s[0:1]
.LBB165_2:
	s_endpgm
	.section	.rodata,"a",@progbits
	.p2align	6, 0x0
	.amdhsa_kernel _ZN7rocprim17ROCPRIM_400000_NS6detail17trampoline_kernelINS0_14default_configENS1_25transform_config_selectorIjLb0EEEZNS1_14transform_implILb0ES3_S5_N6thrust23THRUST_200600_302600_NS6detail15normal_iteratorINS8_10device_ptrIjEEEEPjNS0_8identityIjEEEE10hipError_tT2_T3_mT4_P12ihipStream_tbEUlT_E_NS1_11comp_targetILNS1_3genE8ELNS1_11target_archE1030ELNS1_3gpuE2ELNS1_3repE0EEENS1_30default_config_static_selectorELNS0_4arch9wavefront6targetE0EEEvT1_
		.amdhsa_group_segment_fixed_size 0
		.amdhsa_private_segment_fixed_size 0
		.amdhsa_kernarg_size 296
		.amdhsa_user_sgpr_count 6
		.amdhsa_user_sgpr_private_segment_buffer 1
		.amdhsa_user_sgpr_dispatch_ptr 0
		.amdhsa_user_sgpr_queue_ptr 0
		.amdhsa_user_sgpr_kernarg_segment_ptr 1
		.amdhsa_user_sgpr_dispatch_id 0
		.amdhsa_user_sgpr_flat_scratch_init 0
		.amdhsa_user_sgpr_private_segment_size 0
		.amdhsa_wavefront_size32 1
		.amdhsa_uses_dynamic_stack 0
		.amdhsa_system_sgpr_private_segment_wavefront_offset 0
		.amdhsa_system_sgpr_workgroup_id_x 1
		.amdhsa_system_sgpr_workgroup_id_y 0
		.amdhsa_system_sgpr_workgroup_id_z 0
		.amdhsa_system_sgpr_workgroup_info 0
		.amdhsa_system_vgpr_workitem_id 0
		.amdhsa_next_free_vgpr 3
		.amdhsa_next_free_sgpr 12
		.amdhsa_reserve_vcc 1
		.amdhsa_reserve_flat_scratch 0
		.amdhsa_float_round_mode_32 0
		.amdhsa_float_round_mode_16_64 0
		.amdhsa_float_denorm_mode_32 3
		.amdhsa_float_denorm_mode_16_64 3
		.amdhsa_dx10_clamp 1
		.amdhsa_ieee_mode 1
		.amdhsa_fp16_overflow 0
		.amdhsa_workgroup_processor_mode 1
		.amdhsa_memory_ordered 1
		.amdhsa_forward_progress 1
		.amdhsa_shared_vgpr_count 0
		.amdhsa_exception_fp_ieee_invalid_op 0
		.amdhsa_exception_fp_denorm_src 0
		.amdhsa_exception_fp_ieee_div_zero 0
		.amdhsa_exception_fp_ieee_overflow 0
		.amdhsa_exception_fp_ieee_underflow 0
		.amdhsa_exception_fp_ieee_inexact 0
		.amdhsa_exception_int_div_zero 0
	.end_amdhsa_kernel
	.section	.text._ZN7rocprim17ROCPRIM_400000_NS6detail17trampoline_kernelINS0_14default_configENS1_25transform_config_selectorIjLb0EEEZNS1_14transform_implILb0ES3_S5_N6thrust23THRUST_200600_302600_NS6detail15normal_iteratorINS8_10device_ptrIjEEEEPjNS0_8identityIjEEEE10hipError_tT2_T3_mT4_P12ihipStream_tbEUlT_E_NS1_11comp_targetILNS1_3genE8ELNS1_11target_archE1030ELNS1_3gpuE2ELNS1_3repE0EEENS1_30default_config_static_selectorELNS0_4arch9wavefront6targetE0EEEvT1_,"axG",@progbits,_ZN7rocprim17ROCPRIM_400000_NS6detail17trampoline_kernelINS0_14default_configENS1_25transform_config_selectorIjLb0EEEZNS1_14transform_implILb0ES3_S5_N6thrust23THRUST_200600_302600_NS6detail15normal_iteratorINS8_10device_ptrIjEEEEPjNS0_8identityIjEEEE10hipError_tT2_T3_mT4_P12ihipStream_tbEUlT_E_NS1_11comp_targetILNS1_3genE8ELNS1_11target_archE1030ELNS1_3gpuE2ELNS1_3repE0EEENS1_30default_config_static_selectorELNS0_4arch9wavefront6targetE0EEEvT1_,comdat
.Lfunc_end165:
	.size	_ZN7rocprim17ROCPRIM_400000_NS6detail17trampoline_kernelINS0_14default_configENS1_25transform_config_selectorIjLb0EEEZNS1_14transform_implILb0ES3_S5_N6thrust23THRUST_200600_302600_NS6detail15normal_iteratorINS8_10device_ptrIjEEEEPjNS0_8identityIjEEEE10hipError_tT2_T3_mT4_P12ihipStream_tbEUlT_E_NS1_11comp_targetILNS1_3genE8ELNS1_11target_archE1030ELNS1_3gpuE2ELNS1_3repE0EEENS1_30default_config_static_selectorELNS0_4arch9wavefront6targetE0EEEvT1_, .Lfunc_end165-_ZN7rocprim17ROCPRIM_400000_NS6detail17trampoline_kernelINS0_14default_configENS1_25transform_config_selectorIjLb0EEEZNS1_14transform_implILb0ES3_S5_N6thrust23THRUST_200600_302600_NS6detail15normal_iteratorINS8_10device_ptrIjEEEEPjNS0_8identityIjEEEE10hipError_tT2_T3_mT4_P12ihipStream_tbEUlT_E_NS1_11comp_targetILNS1_3genE8ELNS1_11target_archE1030ELNS1_3gpuE2ELNS1_3repE0EEENS1_30default_config_static_selectorELNS0_4arch9wavefront6targetE0EEEvT1_
                                        ; -- End function
	.set _ZN7rocprim17ROCPRIM_400000_NS6detail17trampoline_kernelINS0_14default_configENS1_25transform_config_selectorIjLb0EEEZNS1_14transform_implILb0ES3_S5_N6thrust23THRUST_200600_302600_NS6detail15normal_iteratorINS8_10device_ptrIjEEEEPjNS0_8identityIjEEEE10hipError_tT2_T3_mT4_P12ihipStream_tbEUlT_E_NS1_11comp_targetILNS1_3genE8ELNS1_11target_archE1030ELNS1_3gpuE2ELNS1_3repE0EEENS1_30default_config_static_selectorELNS0_4arch9wavefront6targetE0EEEvT1_.num_vgpr, 3
	.set _ZN7rocprim17ROCPRIM_400000_NS6detail17trampoline_kernelINS0_14default_configENS1_25transform_config_selectorIjLb0EEEZNS1_14transform_implILb0ES3_S5_N6thrust23THRUST_200600_302600_NS6detail15normal_iteratorINS8_10device_ptrIjEEEEPjNS0_8identityIjEEEE10hipError_tT2_T3_mT4_P12ihipStream_tbEUlT_E_NS1_11comp_targetILNS1_3genE8ELNS1_11target_archE1030ELNS1_3gpuE2ELNS1_3repE0EEENS1_30default_config_static_selectorELNS0_4arch9wavefront6targetE0EEEvT1_.num_agpr, 0
	.set _ZN7rocprim17ROCPRIM_400000_NS6detail17trampoline_kernelINS0_14default_configENS1_25transform_config_selectorIjLb0EEEZNS1_14transform_implILb0ES3_S5_N6thrust23THRUST_200600_302600_NS6detail15normal_iteratorINS8_10device_ptrIjEEEEPjNS0_8identityIjEEEE10hipError_tT2_T3_mT4_P12ihipStream_tbEUlT_E_NS1_11comp_targetILNS1_3genE8ELNS1_11target_archE1030ELNS1_3gpuE2ELNS1_3repE0EEENS1_30default_config_static_selectorELNS0_4arch9wavefront6targetE0EEEvT1_.numbered_sgpr, 12
	.set _ZN7rocprim17ROCPRIM_400000_NS6detail17trampoline_kernelINS0_14default_configENS1_25transform_config_selectorIjLb0EEEZNS1_14transform_implILb0ES3_S5_N6thrust23THRUST_200600_302600_NS6detail15normal_iteratorINS8_10device_ptrIjEEEEPjNS0_8identityIjEEEE10hipError_tT2_T3_mT4_P12ihipStream_tbEUlT_E_NS1_11comp_targetILNS1_3genE8ELNS1_11target_archE1030ELNS1_3gpuE2ELNS1_3repE0EEENS1_30default_config_static_selectorELNS0_4arch9wavefront6targetE0EEEvT1_.num_named_barrier, 0
	.set _ZN7rocprim17ROCPRIM_400000_NS6detail17trampoline_kernelINS0_14default_configENS1_25transform_config_selectorIjLb0EEEZNS1_14transform_implILb0ES3_S5_N6thrust23THRUST_200600_302600_NS6detail15normal_iteratorINS8_10device_ptrIjEEEEPjNS0_8identityIjEEEE10hipError_tT2_T3_mT4_P12ihipStream_tbEUlT_E_NS1_11comp_targetILNS1_3genE8ELNS1_11target_archE1030ELNS1_3gpuE2ELNS1_3repE0EEENS1_30default_config_static_selectorELNS0_4arch9wavefront6targetE0EEEvT1_.private_seg_size, 0
	.set _ZN7rocprim17ROCPRIM_400000_NS6detail17trampoline_kernelINS0_14default_configENS1_25transform_config_selectorIjLb0EEEZNS1_14transform_implILb0ES3_S5_N6thrust23THRUST_200600_302600_NS6detail15normal_iteratorINS8_10device_ptrIjEEEEPjNS0_8identityIjEEEE10hipError_tT2_T3_mT4_P12ihipStream_tbEUlT_E_NS1_11comp_targetILNS1_3genE8ELNS1_11target_archE1030ELNS1_3gpuE2ELNS1_3repE0EEENS1_30default_config_static_selectorELNS0_4arch9wavefront6targetE0EEEvT1_.uses_vcc, 1
	.set _ZN7rocprim17ROCPRIM_400000_NS6detail17trampoline_kernelINS0_14default_configENS1_25transform_config_selectorIjLb0EEEZNS1_14transform_implILb0ES3_S5_N6thrust23THRUST_200600_302600_NS6detail15normal_iteratorINS8_10device_ptrIjEEEEPjNS0_8identityIjEEEE10hipError_tT2_T3_mT4_P12ihipStream_tbEUlT_E_NS1_11comp_targetILNS1_3genE8ELNS1_11target_archE1030ELNS1_3gpuE2ELNS1_3repE0EEENS1_30default_config_static_selectorELNS0_4arch9wavefront6targetE0EEEvT1_.uses_flat_scratch, 0
	.set _ZN7rocprim17ROCPRIM_400000_NS6detail17trampoline_kernelINS0_14default_configENS1_25transform_config_selectorIjLb0EEEZNS1_14transform_implILb0ES3_S5_N6thrust23THRUST_200600_302600_NS6detail15normal_iteratorINS8_10device_ptrIjEEEEPjNS0_8identityIjEEEE10hipError_tT2_T3_mT4_P12ihipStream_tbEUlT_E_NS1_11comp_targetILNS1_3genE8ELNS1_11target_archE1030ELNS1_3gpuE2ELNS1_3repE0EEENS1_30default_config_static_selectorELNS0_4arch9wavefront6targetE0EEEvT1_.has_dyn_sized_stack, 0
	.set _ZN7rocprim17ROCPRIM_400000_NS6detail17trampoline_kernelINS0_14default_configENS1_25transform_config_selectorIjLb0EEEZNS1_14transform_implILb0ES3_S5_N6thrust23THRUST_200600_302600_NS6detail15normal_iteratorINS8_10device_ptrIjEEEEPjNS0_8identityIjEEEE10hipError_tT2_T3_mT4_P12ihipStream_tbEUlT_E_NS1_11comp_targetILNS1_3genE8ELNS1_11target_archE1030ELNS1_3gpuE2ELNS1_3repE0EEENS1_30default_config_static_selectorELNS0_4arch9wavefront6targetE0EEEvT1_.has_recursion, 0
	.set _ZN7rocprim17ROCPRIM_400000_NS6detail17trampoline_kernelINS0_14default_configENS1_25transform_config_selectorIjLb0EEEZNS1_14transform_implILb0ES3_S5_N6thrust23THRUST_200600_302600_NS6detail15normal_iteratorINS8_10device_ptrIjEEEEPjNS0_8identityIjEEEE10hipError_tT2_T3_mT4_P12ihipStream_tbEUlT_E_NS1_11comp_targetILNS1_3genE8ELNS1_11target_archE1030ELNS1_3gpuE2ELNS1_3repE0EEENS1_30default_config_static_selectorELNS0_4arch9wavefront6targetE0EEEvT1_.has_indirect_call, 0
	.section	.AMDGPU.csdata,"",@progbits
; Kernel info:
; codeLenInByte = 172
; TotalNumSgprs: 14
; NumVgprs: 3
; ScratchSize: 0
; MemoryBound: 0
; FloatMode: 240
; IeeeMode: 1
; LDSByteSize: 0 bytes/workgroup (compile time only)
; SGPRBlocks: 0
; VGPRBlocks: 0
; NumSGPRsForWavesPerEU: 14
; NumVGPRsForWavesPerEU: 3
; Occupancy: 16
; WaveLimiterHint : 0
; COMPUTE_PGM_RSRC2:SCRATCH_EN: 0
; COMPUTE_PGM_RSRC2:USER_SGPR: 6
; COMPUTE_PGM_RSRC2:TRAP_HANDLER: 0
; COMPUTE_PGM_RSRC2:TGID_X_EN: 1
; COMPUTE_PGM_RSRC2:TGID_Y_EN: 0
; COMPUTE_PGM_RSRC2:TGID_Z_EN: 0
; COMPUTE_PGM_RSRC2:TIDIG_COMP_CNT: 0
	.section	.text._ZN7rocprim17ROCPRIM_400000_NS6detail17trampoline_kernelINS0_14default_configENS1_25transform_config_selectorIN6thrust23THRUST_200600_302600_NS5tupleIffNS6_9null_typeES8_S8_S8_S8_S8_S8_S8_EELb0EEEZNS1_14transform_implILb0ES3_SA_NS6_6detail15normal_iteratorINS6_10device_ptrIS9_EEEEPS9_NS0_8identityIS9_EEEE10hipError_tT2_T3_mT4_P12ihipStream_tbEUlT_E_NS1_11comp_targetILNS1_3genE0ELNS1_11target_archE4294967295ELNS1_3gpuE0ELNS1_3repE0EEENS1_30default_config_static_selectorELNS0_4arch9wavefront6targetE0EEEvT1_,"axG",@progbits,_ZN7rocprim17ROCPRIM_400000_NS6detail17trampoline_kernelINS0_14default_configENS1_25transform_config_selectorIN6thrust23THRUST_200600_302600_NS5tupleIffNS6_9null_typeES8_S8_S8_S8_S8_S8_S8_EELb0EEEZNS1_14transform_implILb0ES3_SA_NS6_6detail15normal_iteratorINS6_10device_ptrIS9_EEEEPS9_NS0_8identityIS9_EEEE10hipError_tT2_T3_mT4_P12ihipStream_tbEUlT_E_NS1_11comp_targetILNS1_3genE0ELNS1_11target_archE4294967295ELNS1_3gpuE0ELNS1_3repE0EEENS1_30default_config_static_selectorELNS0_4arch9wavefront6targetE0EEEvT1_,comdat
	.protected	_ZN7rocprim17ROCPRIM_400000_NS6detail17trampoline_kernelINS0_14default_configENS1_25transform_config_selectorIN6thrust23THRUST_200600_302600_NS5tupleIffNS6_9null_typeES8_S8_S8_S8_S8_S8_S8_EELb0EEEZNS1_14transform_implILb0ES3_SA_NS6_6detail15normal_iteratorINS6_10device_ptrIS9_EEEEPS9_NS0_8identityIS9_EEEE10hipError_tT2_T3_mT4_P12ihipStream_tbEUlT_E_NS1_11comp_targetILNS1_3genE0ELNS1_11target_archE4294967295ELNS1_3gpuE0ELNS1_3repE0EEENS1_30default_config_static_selectorELNS0_4arch9wavefront6targetE0EEEvT1_ ; -- Begin function _ZN7rocprim17ROCPRIM_400000_NS6detail17trampoline_kernelINS0_14default_configENS1_25transform_config_selectorIN6thrust23THRUST_200600_302600_NS5tupleIffNS6_9null_typeES8_S8_S8_S8_S8_S8_S8_EELb0EEEZNS1_14transform_implILb0ES3_SA_NS6_6detail15normal_iteratorINS6_10device_ptrIS9_EEEEPS9_NS0_8identityIS9_EEEE10hipError_tT2_T3_mT4_P12ihipStream_tbEUlT_E_NS1_11comp_targetILNS1_3genE0ELNS1_11target_archE4294967295ELNS1_3gpuE0ELNS1_3repE0EEENS1_30default_config_static_selectorELNS0_4arch9wavefront6targetE0EEEvT1_
	.globl	_ZN7rocprim17ROCPRIM_400000_NS6detail17trampoline_kernelINS0_14default_configENS1_25transform_config_selectorIN6thrust23THRUST_200600_302600_NS5tupleIffNS6_9null_typeES8_S8_S8_S8_S8_S8_S8_EELb0EEEZNS1_14transform_implILb0ES3_SA_NS6_6detail15normal_iteratorINS6_10device_ptrIS9_EEEEPS9_NS0_8identityIS9_EEEE10hipError_tT2_T3_mT4_P12ihipStream_tbEUlT_E_NS1_11comp_targetILNS1_3genE0ELNS1_11target_archE4294967295ELNS1_3gpuE0ELNS1_3repE0EEENS1_30default_config_static_selectorELNS0_4arch9wavefront6targetE0EEEvT1_
	.p2align	8
	.type	_ZN7rocprim17ROCPRIM_400000_NS6detail17trampoline_kernelINS0_14default_configENS1_25transform_config_selectorIN6thrust23THRUST_200600_302600_NS5tupleIffNS6_9null_typeES8_S8_S8_S8_S8_S8_S8_EELb0EEEZNS1_14transform_implILb0ES3_SA_NS6_6detail15normal_iteratorINS6_10device_ptrIS9_EEEEPS9_NS0_8identityIS9_EEEE10hipError_tT2_T3_mT4_P12ihipStream_tbEUlT_E_NS1_11comp_targetILNS1_3genE0ELNS1_11target_archE4294967295ELNS1_3gpuE0ELNS1_3repE0EEENS1_30default_config_static_selectorELNS0_4arch9wavefront6targetE0EEEvT1_,@function
_ZN7rocprim17ROCPRIM_400000_NS6detail17trampoline_kernelINS0_14default_configENS1_25transform_config_selectorIN6thrust23THRUST_200600_302600_NS5tupleIffNS6_9null_typeES8_S8_S8_S8_S8_S8_S8_EELb0EEEZNS1_14transform_implILb0ES3_SA_NS6_6detail15normal_iteratorINS6_10device_ptrIS9_EEEEPS9_NS0_8identityIS9_EEEE10hipError_tT2_T3_mT4_P12ihipStream_tbEUlT_E_NS1_11comp_targetILNS1_3genE0ELNS1_11target_archE4294967295ELNS1_3gpuE0ELNS1_3repE0EEENS1_30default_config_static_selectorELNS0_4arch9wavefront6targetE0EEEvT1_: ; @_ZN7rocprim17ROCPRIM_400000_NS6detail17trampoline_kernelINS0_14default_configENS1_25transform_config_selectorIN6thrust23THRUST_200600_302600_NS5tupleIffNS6_9null_typeES8_S8_S8_S8_S8_S8_S8_EELb0EEEZNS1_14transform_implILb0ES3_SA_NS6_6detail15normal_iteratorINS6_10device_ptrIS9_EEEEPS9_NS0_8identityIS9_EEEE10hipError_tT2_T3_mT4_P12ihipStream_tbEUlT_E_NS1_11comp_targetILNS1_3genE0ELNS1_11target_archE4294967295ELNS1_3gpuE0ELNS1_3repE0EEENS1_30default_config_static_selectorELNS0_4arch9wavefront6targetE0EEEvT1_
; %bb.0:
	.section	.rodata,"a",@progbits
	.p2align	6, 0x0
	.amdhsa_kernel _ZN7rocprim17ROCPRIM_400000_NS6detail17trampoline_kernelINS0_14default_configENS1_25transform_config_selectorIN6thrust23THRUST_200600_302600_NS5tupleIffNS6_9null_typeES8_S8_S8_S8_S8_S8_S8_EELb0EEEZNS1_14transform_implILb0ES3_SA_NS6_6detail15normal_iteratorINS6_10device_ptrIS9_EEEEPS9_NS0_8identityIS9_EEEE10hipError_tT2_T3_mT4_P12ihipStream_tbEUlT_E_NS1_11comp_targetILNS1_3genE0ELNS1_11target_archE4294967295ELNS1_3gpuE0ELNS1_3repE0EEENS1_30default_config_static_selectorELNS0_4arch9wavefront6targetE0EEEvT1_
		.amdhsa_group_segment_fixed_size 0
		.amdhsa_private_segment_fixed_size 0
		.amdhsa_kernarg_size 40
		.amdhsa_user_sgpr_count 6
		.amdhsa_user_sgpr_private_segment_buffer 1
		.amdhsa_user_sgpr_dispatch_ptr 0
		.amdhsa_user_sgpr_queue_ptr 0
		.amdhsa_user_sgpr_kernarg_segment_ptr 1
		.amdhsa_user_sgpr_dispatch_id 0
		.amdhsa_user_sgpr_flat_scratch_init 0
		.amdhsa_user_sgpr_private_segment_size 0
		.amdhsa_wavefront_size32 1
		.amdhsa_uses_dynamic_stack 0
		.amdhsa_system_sgpr_private_segment_wavefront_offset 0
		.amdhsa_system_sgpr_workgroup_id_x 1
		.amdhsa_system_sgpr_workgroup_id_y 0
		.amdhsa_system_sgpr_workgroup_id_z 0
		.amdhsa_system_sgpr_workgroup_info 0
		.amdhsa_system_vgpr_workitem_id 0
		.amdhsa_next_free_vgpr 1
		.amdhsa_next_free_sgpr 1
		.amdhsa_reserve_vcc 0
		.amdhsa_reserve_flat_scratch 0
		.amdhsa_float_round_mode_32 0
		.amdhsa_float_round_mode_16_64 0
		.amdhsa_float_denorm_mode_32 3
		.amdhsa_float_denorm_mode_16_64 3
		.amdhsa_dx10_clamp 1
		.amdhsa_ieee_mode 1
		.amdhsa_fp16_overflow 0
		.amdhsa_workgroup_processor_mode 1
		.amdhsa_memory_ordered 1
		.amdhsa_forward_progress 1
		.amdhsa_shared_vgpr_count 0
		.amdhsa_exception_fp_ieee_invalid_op 0
		.amdhsa_exception_fp_denorm_src 0
		.amdhsa_exception_fp_ieee_div_zero 0
		.amdhsa_exception_fp_ieee_overflow 0
		.amdhsa_exception_fp_ieee_underflow 0
		.amdhsa_exception_fp_ieee_inexact 0
		.amdhsa_exception_int_div_zero 0
	.end_amdhsa_kernel
	.section	.text._ZN7rocprim17ROCPRIM_400000_NS6detail17trampoline_kernelINS0_14default_configENS1_25transform_config_selectorIN6thrust23THRUST_200600_302600_NS5tupleIffNS6_9null_typeES8_S8_S8_S8_S8_S8_S8_EELb0EEEZNS1_14transform_implILb0ES3_SA_NS6_6detail15normal_iteratorINS6_10device_ptrIS9_EEEEPS9_NS0_8identityIS9_EEEE10hipError_tT2_T3_mT4_P12ihipStream_tbEUlT_E_NS1_11comp_targetILNS1_3genE0ELNS1_11target_archE4294967295ELNS1_3gpuE0ELNS1_3repE0EEENS1_30default_config_static_selectorELNS0_4arch9wavefront6targetE0EEEvT1_,"axG",@progbits,_ZN7rocprim17ROCPRIM_400000_NS6detail17trampoline_kernelINS0_14default_configENS1_25transform_config_selectorIN6thrust23THRUST_200600_302600_NS5tupleIffNS6_9null_typeES8_S8_S8_S8_S8_S8_S8_EELb0EEEZNS1_14transform_implILb0ES3_SA_NS6_6detail15normal_iteratorINS6_10device_ptrIS9_EEEEPS9_NS0_8identityIS9_EEEE10hipError_tT2_T3_mT4_P12ihipStream_tbEUlT_E_NS1_11comp_targetILNS1_3genE0ELNS1_11target_archE4294967295ELNS1_3gpuE0ELNS1_3repE0EEENS1_30default_config_static_selectorELNS0_4arch9wavefront6targetE0EEEvT1_,comdat
.Lfunc_end166:
	.size	_ZN7rocprim17ROCPRIM_400000_NS6detail17trampoline_kernelINS0_14default_configENS1_25transform_config_selectorIN6thrust23THRUST_200600_302600_NS5tupleIffNS6_9null_typeES8_S8_S8_S8_S8_S8_S8_EELb0EEEZNS1_14transform_implILb0ES3_SA_NS6_6detail15normal_iteratorINS6_10device_ptrIS9_EEEEPS9_NS0_8identityIS9_EEEE10hipError_tT2_T3_mT4_P12ihipStream_tbEUlT_E_NS1_11comp_targetILNS1_3genE0ELNS1_11target_archE4294967295ELNS1_3gpuE0ELNS1_3repE0EEENS1_30default_config_static_selectorELNS0_4arch9wavefront6targetE0EEEvT1_, .Lfunc_end166-_ZN7rocprim17ROCPRIM_400000_NS6detail17trampoline_kernelINS0_14default_configENS1_25transform_config_selectorIN6thrust23THRUST_200600_302600_NS5tupleIffNS6_9null_typeES8_S8_S8_S8_S8_S8_S8_EELb0EEEZNS1_14transform_implILb0ES3_SA_NS6_6detail15normal_iteratorINS6_10device_ptrIS9_EEEEPS9_NS0_8identityIS9_EEEE10hipError_tT2_T3_mT4_P12ihipStream_tbEUlT_E_NS1_11comp_targetILNS1_3genE0ELNS1_11target_archE4294967295ELNS1_3gpuE0ELNS1_3repE0EEENS1_30default_config_static_selectorELNS0_4arch9wavefront6targetE0EEEvT1_
                                        ; -- End function
	.set _ZN7rocprim17ROCPRIM_400000_NS6detail17trampoline_kernelINS0_14default_configENS1_25transform_config_selectorIN6thrust23THRUST_200600_302600_NS5tupleIffNS6_9null_typeES8_S8_S8_S8_S8_S8_S8_EELb0EEEZNS1_14transform_implILb0ES3_SA_NS6_6detail15normal_iteratorINS6_10device_ptrIS9_EEEEPS9_NS0_8identityIS9_EEEE10hipError_tT2_T3_mT4_P12ihipStream_tbEUlT_E_NS1_11comp_targetILNS1_3genE0ELNS1_11target_archE4294967295ELNS1_3gpuE0ELNS1_3repE0EEENS1_30default_config_static_selectorELNS0_4arch9wavefront6targetE0EEEvT1_.num_vgpr, 0
	.set _ZN7rocprim17ROCPRIM_400000_NS6detail17trampoline_kernelINS0_14default_configENS1_25transform_config_selectorIN6thrust23THRUST_200600_302600_NS5tupleIffNS6_9null_typeES8_S8_S8_S8_S8_S8_S8_EELb0EEEZNS1_14transform_implILb0ES3_SA_NS6_6detail15normal_iteratorINS6_10device_ptrIS9_EEEEPS9_NS0_8identityIS9_EEEE10hipError_tT2_T3_mT4_P12ihipStream_tbEUlT_E_NS1_11comp_targetILNS1_3genE0ELNS1_11target_archE4294967295ELNS1_3gpuE0ELNS1_3repE0EEENS1_30default_config_static_selectorELNS0_4arch9wavefront6targetE0EEEvT1_.num_agpr, 0
	.set _ZN7rocprim17ROCPRIM_400000_NS6detail17trampoline_kernelINS0_14default_configENS1_25transform_config_selectorIN6thrust23THRUST_200600_302600_NS5tupleIffNS6_9null_typeES8_S8_S8_S8_S8_S8_S8_EELb0EEEZNS1_14transform_implILb0ES3_SA_NS6_6detail15normal_iteratorINS6_10device_ptrIS9_EEEEPS9_NS0_8identityIS9_EEEE10hipError_tT2_T3_mT4_P12ihipStream_tbEUlT_E_NS1_11comp_targetILNS1_3genE0ELNS1_11target_archE4294967295ELNS1_3gpuE0ELNS1_3repE0EEENS1_30default_config_static_selectorELNS0_4arch9wavefront6targetE0EEEvT1_.numbered_sgpr, 0
	.set _ZN7rocprim17ROCPRIM_400000_NS6detail17trampoline_kernelINS0_14default_configENS1_25transform_config_selectorIN6thrust23THRUST_200600_302600_NS5tupleIffNS6_9null_typeES8_S8_S8_S8_S8_S8_S8_EELb0EEEZNS1_14transform_implILb0ES3_SA_NS6_6detail15normal_iteratorINS6_10device_ptrIS9_EEEEPS9_NS0_8identityIS9_EEEE10hipError_tT2_T3_mT4_P12ihipStream_tbEUlT_E_NS1_11comp_targetILNS1_3genE0ELNS1_11target_archE4294967295ELNS1_3gpuE0ELNS1_3repE0EEENS1_30default_config_static_selectorELNS0_4arch9wavefront6targetE0EEEvT1_.num_named_barrier, 0
	.set _ZN7rocprim17ROCPRIM_400000_NS6detail17trampoline_kernelINS0_14default_configENS1_25transform_config_selectorIN6thrust23THRUST_200600_302600_NS5tupleIffNS6_9null_typeES8_S8_S8_S8_S8_S8_S8_EELb0EEEZNS1_14transform_implILb0ES3_SA_NS6_6detail15normal_iteratorINS6_10device_ptrIS9_EEEEPS9_NS0_8identityIS9_EEEE10hipError_tT2_T3_mT4_P12ihipStream_tbEUlT_E_NS1_11comp_targetILNS1_3genE0ELNS1_11target_archE4294967295ELNS1_3gpuE0ELNS1_3repE0EEENS1_30default_config_static_selectorELNS0_4arch9wavefront6targetE0EEEvT1_.private_seg_size, 0
	.set _ZN7rocprim17ROCPRIM_400000_NS6detail17trampoline_kernelINS0_14default_configENS1_25transform_config_selectorIN6thrust23THRUST_200600_302600_NS5tupleIffNS6_9null_typeES8_S8_S8_S8_S8_S8_S8_EELb0EEEZNS1_14transform_implILb0ES3_SA_NS6_6detail15normal_iteratorINS6_10device_ptrIS9_EEEEPS9_NS0_8identityIS9_EEEE10hipError_tT2_T3_mT4_P12ihipStream_tbEUlT_E_NS1_11comp_targetILNS1_3genE0ELNS1_11target_archE4294967295ELNS1_3gpuE0ELNS1_3repE0EEENS1_30default_config_static_selectorELNS0_4arch9wavefront6targetE0EEEvT1_.uses_vcc, 0
	.set _ZN7rocprim17ROCPRIM_400000_NS6detail17trampoline_kernelINS0_14default_configENS1_25transform_config_selectorIN6thrust23THRUST_200600_302600_NS5tupleIffNS6_9null_typeES8_S8_S8_S8_S8_S8_S8_EELb0EEEZNS1_14transform_implILb0ES3_SA_NS6_6detail15normal_iteratorINS6_10device_ptrIS9_EEEEPS9_NS0_8identityIS9_EEEE10hipError_tT2_T3_mT4_P12ihipStream_tbEUlT_E_NS1_11comp_targetILNS1_3genE0ELNS1_11target_archE4294967295ELNS1_3gpuE0ELNS1_3repE0EEENS1_30default_config_static_selectorELNS0_4arch9wavefront6targetE0EEEvT1_.uses_flat_scratch, 0
	.set _ZN7rocprim17ROCPRIM_400000_NS6detail17trampoline_kernelINS0_14default_configENS1_25transform_config_selectorIN6thrust23THRUST_200600_302600_NS5tupleIffNS6_9null_typeES8_S8_S8_S8_S8_S8_S8_EELb0EEEZNS1_14transform_implILb0ES3_SA_NS6_6detail15normal_iteratorINS6_10device_ptrIS9_EEEEPS9_NS0_8identityIS9_EEEE10hipError_tT2_T3_mT4_P12ihipStream_tbEUlT_E_NS1_11comp_targetILNS1_3genE0ELNS1_11target_archE4294967295ELNS1_3gpuE0ELNS1_3repE0EEENS1_30default_config_static_selectorELNS0_4arch9wavefront6targetE0EEEvT1_.has_dyn_sized_stack, 0
	.set _ZN7rocprim17ROCPRIM_400000_NS6detail17trampoline_kernelINS0_14default_configENS1_25transform_config_selectorIN6thrust23THRUST_200600_302600_NS5tupleIffNS6_9null_typeES8_S8_S8_S8_S8_S8_S8_EELb0EEEZNS1_14transform_implILb0ES3_SA_NS6_6detail15normal_iteratorINS6_10device_ptrIS9_EEEEPS9_NS0_8identityIS9_EEEE10hipError_tT2_T3_mT4_P12ihipStream_tbEUlT_E_NS1_11comp_targetILNS1_3genE0ELNS1_11target_archE4294967295ELNS1_3gpuE0ELNS1_3repE0EEENS1_30default_config_static_selectorELNS0_4arch9wavefront6targetE0EEEvT1_.has_recursion, 0
	.set _ZN7rocprim17ROCPRIM_400000_NS6detail17trampoline_kernelINS0_14default_configENS1_25transform_config_selectorIN6thrust23THRUST_200600_302600_NS5tupleIffNS6_9null_typeES8_S8_S8_S8_S8_S8_S8_EELb0EEEZNS1_14transform_implILb0ES3_SA_NS6_6detail15normal_iteratorINS6_10device_ptrIS9_EEEEPS9_NS0_8identityIS9_EEEE10hipError_tT2_T3_mT4_P12ihipStream_tbEUlT_E_NS1_11comp_targetILNS1_3genE0ELNS1_11target_archE4294967295ELNS1_3gpuE0ELNS1_3repE0EEENS1_30default_config_static_selectorELNS0_4arch9wavefront6targetE0EEEvT1_.has_indirect_call, 0
	.section	.AMDGPU.csdata,"",@progbits
; Kernel info:
; codeLenInByte = 0
; TotalNumSgprs: 0
; NumVgprs: 0
; ScratchSize: 0
; MemoryBound: 0
; FloatMode: 240
; IeeeMode: 1
; LDSByteSize: 0 bytes/workgroup (compile time only)
; SGPRBlocks: 0
; VGPRBlocks: 0
; NumSGPRsForWavesPerEU: 1
; NumVGPRsForWavesPerEU: 1
; Occupancy: 16
; WaveLimiterHint : 0
; COMPUTE_PGM_RSRC2:SCRATCH_EN: 0
; COMPUTE_PGM_RSRC2:USER_SGPR: 6
; COMPUTE_PGM_RSRC2:TRAP_HANDLER: 0
; COMPUTE_PGM_RSRC2:TGID_X_EN: 1
; COMPUTE_PGM_RSRC2:TGID_Y_EN: 0
; COMPUTE_PGM_RSRC2:TGID_Z_EN: 0
; COMPUTE_PGM_RSRC2:TIDIG_COMP_CNT: 0
	.section	.text._ZN7rocprim17ROCPRIM_400000_NS6detail17trampoline_kernelINS0_14default_configENS1_25transform_config_selectorIN6thrust23THRUST_200600_302600_NS5tupleIffNS6_9null_typeES8_S8_S8_S8_S8_S8_S8_EELb0EEEZNS1_14transform_implILb0ES3_SA_NS6_6detail15normal_iteratorINS6_10device_ptrIS9_EEEEPS9_NS0_8identityIS9_EEEE10hipError_tT2_T3_mT4_P12ihipStream_tbEUlT_E_NS1_11comp_targetILNS1_3genE5ELNS1_11target_archE942ELNS1_3gpuE9ELNS1_3repE0EEENS1_30default_config_static_selectorELNS0_4arch9wavefront6targetE0EEEvT1_,"axG",@progbits,_ZN7rocprim17ROCPRIM_400000_NS6detail17trampoline_kernelINS0_14default_configENS1_25transform_config_selectorIN6thrust23THRUST_200600_302600_NS5tupleIffNS6_9null_typeES8_S8_S8_S8_S8_S8_S8_EELb0EEEZNS1_14transform_implILb0ES3_SA_NS6_6detail15normal_iteratorINS6_10device_ptrIS9_EEEEPS9_NS0_8identityIS9_EEEE10hipError_tT2_T3_mT4_P12ihipStream_tbEUlT_E_NS1_11comp_targetILNS1_3genE5ELNS1_11target_archE942ELNS1_3gpuE9ELNS1_3repE0EEENS1_30default_config_static_selectorELNS0_4arch9wavefront6targetE0EEEvT1_,comdat
	.protected	_ZN7rocprim17ROCPRIM_400000_NS6detail17trampoline_kernelINS0_14default_configENS1_25transform_config_selectorIN6thrust23THRUST_200600_302600_NS5tupleIffNS6_9null_typeES8_S8_S8_S8_S8_S8_S8_EELb0EEEZNS1_14transform_implILb0ES3_SA_NS6_6detail15normal_iteratorINS6_10device_ptrIS9_EEEEPS9_NS0_8identityIS9_EEEE10hipError_tT2_T3_mT4_P12ihipStream_tbEUlT_E_NS1_11comp_targetILNS1_3genE5ELNS1_11target_archE942ELNS1_3gpuE9ELNS1_3repE0EEENS1_30default_config_static_selectorELNS0_4arch9wavefront6targetE0EEEvT1_ ; -- Begin function _ZN7rocprim17ROCPRIM_400000_NS6detail17trampoline_kernelINS0_14default_configENS1_25transform_config_selectorIN6thrust23THRUST_200600_302600_NS5tupleIffNS6_9null_typeES8_S8_S8_S8_S8_S8_S8_EELb0EEEZNS1_14transform_implILb0ES3_SA_NS6_6detail15normal_iteratorINS6_10device_ptrIS9_EEEEPS9_NS0_8identityIS9_EEEE10hipError_tT2_T3_mT4_P12ihipStream_tbEUlT_E_NS1_11comp_targetILNS1_3genE5ELNS1_11target_archE942ELNS1_3gpuE9ELNS1_3repE0EEENS1_30default_config_static_selectorELNS0_4arch9wavefront6targetE0EEEvT1_
	.globl	_ZN7rocprim17ROCPRIM_400000_NS6detail17trampoline_kernelINS0_14default_configENS1_25transform_config_selectorIN6thrust23THRUST_200600_302600_NS5tupleIffNS6_9null_typeES8_S8_S8_S8_S8_S8_S8_EELb0EEEZNS1_14transform_implILb0ES3_SA_NS6_6detail15normal_iteratorINS6_10device_ptrIS9_EEEEPS9_NS0_8identityIS9_EEEE10hipError_tT2_T3_mT4_P12ihipStream_tbEUlT_E_NS1_11comp_targetILNS1_3genE5ELNS1_11target_archE942ELNS1_3gpuE9ELNS1_3repE0EEENS1_30default_config_static_selectorELNS0_4arch9wavefront6targetE0EEEvT1_
	.p2align	8
	.type	_ZN7rocprim17ROCPRIM_400000_NS6detail17trampoline_kernelINS0_14default_configENS1_25transform_config_selectorIN6thrust23THRUST_200600_302600_NS5tupleIffNS6_9null_typeES8_S8_S8_S8_S8_S8_S8_EELb0EEEZNS1_14transform_implILb0ES3_SA_NS6_6detail15normal_iteratorINS6_10device_ptrIS9_EEEEPS9_NS0_8identityIS9_EEEE10hipError_tT2_T3_mT4_P12ihipStream_tbEUlT_E_NS1_11comp_targetILNS1_3genE5ELNS1_11target_archE942ELNS1_3gpuE9ELNS1_3repE0EEENS1_30default_config_static_selectorELNS0_4arch9wavefront6targetE0EEEvT1_,@function
_ZN7rocprim17ROCPRIM_400000_NS6detail17trampoline_kernelINS0_14default_configENS1_25transform_config_selectorIN6thrust23THRUST_200600_302600_NS5tupleIffNS6_9null_typeES8_S8_S8_S8_S8_S8_S8_EELb0EEEZNS1_14transform_implILb0ES3_SA_NS6_6detail15normal_iteratorINS6_10device_ptrIS9_EEEEPS9_NS0_8identityIS9_EEEE10hipError_tT2_T3_mT4_P12ihipStream_tbEUlT_E_NS1_11comp_targetILNS1_3genE5ELNS1_11target_archE942ELNS1_3gpuE9ELNS1_3repE0EEENS1_30default_config_static_selectorELNS0_4arch9wavefront6targetE0EEEvT1_: ; @_ZN7rocprim17ROCPRIM_400000_NS6detail17trampoline_kernelINS0_14default_configENS1_25transform_config_selectorIN6thrust23THRUST_200600_302600_NS5tupleIffNS6_9null_typeES8_S8_S8_S8_S8_S8_S8_EELb0EEEZNS1_14transform_implILb0ES3_SA_NS6_6detail15normal_iteratorINS6_10device_ptrIS9_EEEEPS9_NS0_8identityIS9_EEEE10hipError_tT2_T3_mT4_P12ihipStream_tbEUlT_E_NS1_11comp_targetILNS1_3genE5ELNS1_11target_archE942ELNS1_3gpuE9ELNS1_3repE0EEENS1_30default_config_static_selectorELNS0_4arch9wavefront6targetE0EEEvT1_
; %bb.0:
	.section	.rodata,"a",@progbits
	.p2align	6, 0x0
	.amdhsa_kernel _ZN7rocprim17ROCPRIM_400000_NS6detail17trampoline_kernelINS0_14default_configENS1_25transform_config_selectorIN6thrust23THRUST_200600_302600_NS5tupleIffNS6_9null_typeES8_S8_S8_S8_S8_S8_S8_EELb0EEEZNS1_14transform_implILb0ES3_SA_NS6_6detail15normal_iteratorINS6_10device_ptrIS9_EEEEPS9_NS0_8identityIS9_EEEE10hipError_tT2_T3_mT4_P12ihipStream_tbEUlT_E_NS1_11comp_targetILNS1_3genE5ELNS1_11target_archE942ELNS1_3gpuE9ELNS1_3repE0EEENS1_30default_config_static_selectorELNS0_4arch9wavefront6targetE0EEEvT1_
		.amdhsa_group_segment_fixed_size 0
		.amdhsa_private_segment_fixed_size 0
		.amdhsa_kernarg_size 40
		.amdhsa_user_sgpr_count 6
		.amdhsa_user_sgpr_private_segment_buffer 1
		.amdhsa_user_sgpr_dispatch_ptr 0
		.amdhsa_user_sgpr_queue_ptr 0
		.amdhsa_user_sgpr_kernarg_segment_ptr 1
		.amdhsa_user_sgpr_dispatch_id 0
		.amdhsa_user_sgpr_flat_scratch_init 0
		.amdhsa_user_sgpr_private_segment_size 0
		.amdhsa_wavefront_size32 1
		.amdhsa_uses_dynamic_stack 0
		.amdhsa_system_sgpr_private_segment_wavefront_offset 0
		.amdhsa_system_sgpr_workgroup_id_x 1
		.amdhsa_system_sgpr_workgroup_id_y 0
		.amdhsa_system_sgpr_workgroup_id_z 0
		.amdhsa_system_sgpr_workgroup_info 0
		.amdhsa_system_vgpr_workitem_id 0
		.amdhsa_next_free_vgpr 1
		.amdhsa_next_free_sgpr 1
		.amdhsa_reserve_vcc 0
		.amdhsa_reserve_flat_scratch 0
		.amdhsa_float_round_mode_32 0
		.amdhsa_float_round_mode_16_64 0
		.amdhsa_float_denorm_mode_32 3
		.amdhsa_float_denorm_mode_16_64 3
		.amdhsa_dx10_clamp 1
		.amdhsa_ieee_mode 1
		.amdhsa_fp16_overflow 0
		.amdhsa_workgroup_processor_mode 1
		.amdhsa_memory_ordered 1
		.amdhsa_forward_progress 1
		.amdhsa_shared_vgpr_count 0
		.amdhsa_exception_fp_ieee_invalid_op 0
		.amdhsa_exception_fp_denorm_src 0
		.amdhsa_exception_fp_ieee_div_zero 0
		.amdhsa_exception_fp_ieee_overflow 0
		.amdhsa_exception_fp_ieee_underflow 0
		.amdhsa_exception_fp_ieee_inexact 0
		.amdhsa_exception_int_div_zero 0
	.end_amdhsa_kernel
	.section	.text._ZN7rocprim17ROCPRIM_400000_NS6detail17trampoline_kernelINS0_14default_configENS1_25transform_config_selectorIN6thrust23THRUST_200600_302600_NS5tupleIffNS6_9null_typeES8_S8_S8_S8_S8_S8_S8_EELb0EEEZNS1_14transform_implILb0ES3_SA_NS6_6detail15normal_iteratorINS6_10device_ptrIS9_EEEEPS9_NS0_8identityIS9_EEEE10hipError_tT2_T3_mT4_P12ihipStream_tbEUlT_E_NS1_11comp_targetILNS1_3genE5ELNS1_11target_archE942ELNS1_3gpuE9ELNS1_3repE0EEENS1_30default_config_static_selectorELNS0_4arch9wavefront6targetE0EEEvT1_,"axG",@progbits,_ZN7rocprim17ROCPRIM_400000_NS6detail17trampoline_kernelINS0_14default_configENS1_25transform_config_selectorIN6thrust23THRUST_200600_302600_NS5tupleIffNS6_9null_typeES8_S8_S8_S8_S8_S8_S8_EELb0EEEZNS1_14transform_implILb0ES3_SA_NS6_6detail15normal_iteratorINS6_10device_ptrIS9_EEEEPS9_NS0_8identityIS9_EEEE10hipError_tT2_T3_mT4_P12ihipStream_tbEUlT_E_NS1_11comp_targetILNS1_3genE5ELNS1_11target_archE942ELNS1_3gpuE9ELNS1_3repE0EEENS1_30default_config_static_selectorELNS0_4arch9wavefront6targetE0EEEvT1_,comdat
.Lfunc_end167:
	.size	_ZN7rocprim17ROCPRIM_400000_NS6detail17trampoline_kernelINS0_14default_configENS1_25transform_config_selectorIN6thrust23THRUST_200600_302600_NS5tupleIffNS6_9null_typeES8_S8_S8_S8_S8_S8_S8_EELb0EEEZNS1_14transform_implILb0ES3_SA_NS6_6detail15normal_iteratorINS6_10device_ptrIS9_EEEEPS9_NS0_8identityIS9_EEEE10hipError_tT2_T3_mT4_P12ihipStream_tbEUlT_E_NS1_11comp_targetILNS1_3genE5ELNS1_11target_archE942ELNS1_3gpuE9ELNS1_3repE0EEENS1_30default_config_static_selectorELNS0_4arch9wavefront6targetE0EEEvT1_, .Lfunc_end167-_ZN7rocprim17ROCPRIM_400000_NS6detail17trampoline_kernelINS0_14default_configENS1_25transform_config_selectorIN6thrust23THRUST_200600_302600_NS5tupleIffNS6_9null_typeES8_S8_S8_S8_S8_S8_S8_EELb0EEEZNS1_14transform_implILb0ES3_SA_NS6_6detail15normal_iteratorINS6_10device_ptrIS9_EEEEPS9_NS0_8identityIS9_EEEE10hipError_tT2_T3_mT4_P12ihipStream_tbEUlT_E_NS1_11comp_targetILNS1_3genE5ELNS1_11target_archE942ELNS1_3gpuE9ELNS1_3repE0EEENS1_30default_config_static_selectorELNS0_4arch9wavefront6targetE0EEEvT1_
                                        ; -- End function
	.set _ZN7rocprim17ROCPRIM_400000_NS6detail17trampoline_kernelINS0_14default_configENS1_25transform_config_selectorIN6thrust23THRUST_200600_302600_NS5tupleIffNS6_9null_typeES8_S8_S8_S8_S8_S8_S8_EELb0EEEZNS1_14transform_implILb0ES3_SA_NS6_6detail15normal_iteratorINS6_10device_ptrIS9_EEEEPS9_NS0_8identityIS9_EEEE10hipError_tT2_T3_mT4_P12ihipStream_tbEUlT_E_NS1_11comp_targetILNS1_3genE5ELNS1_11target_archE942ELNS1_3gpuE9ELNS1_3repE0EEENS1_30default_config_static_selectorELNS0_4arch9wavefront6targetE0EEEvT1_.num_vgpr, 0
	.set _ZN7rocprim17ROCPRIM_400000_NS6detail17trampoline_kernelINS0_14default_configENS1_25transform_config_selectorIN6thrust23THRUST_200600_302600_NS5tupleIffNS6_9null_typeES8_S8_S8_S8_S8_S8_S8_EELb0EEEZNS1_14transform_implILb0ES3_SA_NS6_6detail15normal_iteratorINS6_10device_ptrIS9_EEEEPS9_NS0_8identityIS9_EEEE10hipError_tT2_T3_mT4_P12ihipStream_tbEUlT_E_NS1_11comp_targetILNS1_3genE5ELNS1_11target_archE942ELNS1_3gpuE9ELNS1_3repE0EEENS1_30default_config_static_selectorELNS0_4arch9wavefront6targetE0EEEvT1_.num_agpr, 0
	.set _ZN7rocprim17ROCPRIM_400000_NS6detail17trampoline_kernelINS0_14default_configENS1_25transform_config_selectorIN6thrust23THRUST_200600_302600_NS5tupleIffNS6_9null_typeES8_S8_S8_S8_S8_S8_S8_EELb0EEEZNS1_14transform_implILb0ES3_SA_NS6_6detail15normal_iteratorINS6_10device_ptrIS9_EEEEPS9_NS0_8identityIS9_EEEE10hipError_tT2_T3_mT4_P12ihipStream_tbEUlT_E_NS1_11comp_targetILNS1_3genE5ELNS1_11target_archE942ELNS1_3gpuE9ELNS1_3repE0EEENS1_30default_config_static_selectorELNS0_4arch9wavefront6targetE0EEEvT1_.numbered_sgpr, 0
	.set _ZN7rocprim17ROCPRIM_400000_NS6detail17trampoline_kernelINS0_14default_configENS1_25transform_config_selectorIN6thrust23THRUST_200600_302600_NS5tupleIffNS6_9null_typeES8_S8_S8_S8_S8_S8_S8_EELb0EEEZNS1_14transform_implILb0ES3_SA_NS6_6detail15normal_iteratorINS6_10device_ptrIS9_EEEEPS9_NS0_8identityIS9_EEEE10hipError_tT2_T3_mT4_P12ihipStream_tbEUlT_E_NS1_11comp_targetILNS1_3genE5ELNS1_11target_archE942ELNS1_3gpuE9ELNS1_3repE0EEENS1_30default_config_static_selectorELNS0_4arch9wavefront6targetE0EEEvT1_.num_named_barrier, 0
	.set _ZN7rocprim17ROCPRIM_400000_NS6detail17trampoline_kernelINS0_14default_configENS1_25transform_config_selectorIN6thrust23THRUST_200600_302600_NS5tupleIffNS6_9null_typeES8_S8_S8_S8_S8_S8_S8_EELb0EEEZNS1_14transform_implILb0ES3_SA_NS6_6detail15normal_iteratorINS6_10device_ptrIS9_EEEEPS9_NS0_8identityIS9_EEEE10hipError_tT2_T3_mT4_P12ihipStream_tbEUlT_E_NS1_11comp_targetILNS1_3genE5ELNS1_11target_archE942ELNS1_3gpuE9ELNS1_3repE0EEENS1_30default_config_static_selectorELNS0_4arch9wavefront6targetE0EEEvT1_.private_seg_size, 0
	.set _ZN7rocprim17ROCPRIM_400000_NS6detail17trampoline_kernelINS0_14default_configENS1_25transform_config_selectorIN6thrust23THRUST_200600_302600_NS5tupleIffNS6_9null_typeES8_S8_S8_S8_S8_S8_S8_EELb0EEEZNS1_14transform_implILb0ES3_SA_NS6_6detail15normal_iteratorINS6_10device_ptrIS9_EEEEPS9_NS0_8identityIS9_EEEE10hipError_tT2_T3_mT4_P12ihipStream_tbEUlT_E_NS1_11comp_targetILNS1_3genE5ELNS1_11target_archE942ELNS1_3gpuE9ELNS1_3repE0EEENS1_30default_config_static_selectorELNS0_4arch9wavefront6targetE0EEEvT1_.uses_vcc, 0
	.set _ZN7rocprim17ROCPRIM_400000_NS6detail17trampoline_kernelINS0_14default_configENS1_25transform_config_selectorIN6thrust23THRUST_200600_302600_NS5tupleIffNS6_9null_typeES8_S8_S8_S8_S8_S8_S8_EELb0EEEZNS1_14transform_implILb0ES3_SA_NS6_6detail15normal_iteratorINS6_10device_ptrIS9_EEEEPS9_NS0_8identityIS9_EEEE10hipError_tT2_T3_mT4_P12ihipStream_tbEUlT_E_NS1_11comp_targetILNS1_3genE5ELNS1_11target_archE942ELNS1_3gpuE9ELNS1_3repE0EEENS1_30default_config_static_selectorELNS0_4arch9wavefront6targetE0EEEvT1_.uses_flat_scratch, 0
	.set _ZN7rocprim17ROCPRIM_400000_NS6detail17trampoline_kernelINS0_14default_configENS1_25transform_config_selectorIN6thrust23THRUST_200600_302600_NS5tupleIffNS6_9null_typeES8_S8_S8_S8_S8_S8_S8_EELb0EEEZNS1_14transform_implILb0ES3_SA_NS6_6detail15normal_iteratorINS6_10device_ptrIS9_EEEEPS9_NS0_8identityIS9_EEEE10hipError_tT2_T3_mT4_P12ihipStream_tbEUlT_E_NS1_11comp_targetILNS1_3genE5ELNS1_11target_archE942ELNS1_3gpuE9ELNS1_3repE0EEENS1_30default_config_static_selectorELNS0_4arch9wavefront6targetE0EEEvT1_.has_dyn_sized_stack, 0
	.set _ZN7rocprim17ROCPRIM_400000_NS6detail17trampoline_kernelINS0_14default_configENS1_25transform_config_selectorIN6thrust23THRUST_200600_302600_NS5tupleIffNS6_9null_typeES8_S8_S8_S8_S8_S8_S8_EELb0EEEZNS1_14transform_implILb0ES3_SA_NS6_6detail15normal_iteratorINS6_10device_ptrIS9_EEEEPS9_NS0_8identityIS9_EEEE10hipError_tT2_T3_mT4_P12ihipStream_tbEUlT_E_NS1_11comp_targetILNS1_3genE5ELNS1_11target_archE942ELNS1_3gpuE9ELNS1_3repE0EEENS1_30default_config_static_selectorELNS0_4arch9wavefront6targetE0EEEvT1_.has_recursion, 0
	.set _ZN7rocprim17ROCPRIM_400000_NS6detail17trampoline_kernelINS0_14default_configENS1_25transform_config_selectorIN6thrust23THRUST_200600_302600_NS5tupleIffNS6_9null_typeES8_S8_S8_S8_S8_S8_S8_EELb0EEEZNS1_14transform_implILb0ES3_SA_NS6_6detail15normal_iteratorINS6_10device_ptrIS9_EEEEPS9_NS0_8identityIS9_EEEE10hipError_tT2_T3_mT4_P12ihipStream_tbEUlT_E_NS1_11comp_targetILNS1_3genE5ELNS1_11target_archE942ELNS1_3gpuE9ELNS1_3repE0EEENS1_30default_config_static_selectorELNS0_4arch9wavefront6targetE0EEEvT1_.has_indirect_call, 0
	.section	.AMDGPU.csdata,"",@progbits
; Kernel info:
; codeLenInByte = 0
; TotalNumSgprs: 0
; NumVgprs: 0
; ScratchSize: 0
; MemoryBound: 0
; FloatMode: 240
; IeeeMode: 1
; LDSByteSize: 0 bytes/workgroup (compile time only)
; SGPRBlocks: 0
; VGPRBlocks: 0
; NumSGPRsForWavesPerEU: 1
; NumVGPRsForWavesPerEU: 1
; Occupancy: 16
; WaveLimiterHint : 0
; COMPUTE_PGM_RSRC2:SCRATCH_EN: 0
; COMPUTE_PGM_RSRC2:USER_SGPR: 6
; COMPUTE_PGM_RSRC2:TRAP_HANDLER: 0
; COMPUTE_PGM_RSRC2:TGID_X_EN: 1
; COMPUTE_PGM_RSRC2:TGID_Y_EN: 0
; COMPUTE_PGM_RSRC2:TGID_Z_EN: 0
; COMPUTE_PGM_RSRC2:TIDIG_COMP_CNT: 0
	.section	.text._ZN7rocprim17ROCPRIM_400000_NS6detail17trampoline_kernelINS0_14default_configENS1_25transform_config_selectorIN6thrust23THRUST_200600_302600_NS5tupleIffNS6_9null_typeES8_S8_S8_S8_S8_S8_S8_EELb0EEEZNS1_14transform_implILb0ES3_SA_NS6_6detail15normal_iteratorINS6_10device_ptrIS9_EEEEPS9_NS0_8identityIS9_EEEE10hipError_tT2_T3_mT4_P12ihipStream_tbEUlT_E_NS1_11comp_targetILNS1_3genE4ELNS1_11target_archE910ELNS1_3gpuE8ELNS1_3repE0EEENS1_30default_config_static_selectorELNS0_4arch9wavefront6targetE0EEEvT1_,"axG",@progbits,_ZN7rocprim17ROCPRIM_400000_NS6detail17trampoline_kernelINS0_14default_configENS1_25transform_config_selectorIN6thrust23THRUST_200600_302600_NS5tupleIffNS6_9null_typeES8_S8_S8_S8_S8_S8_S8_EELb0EEEZNS1_14transform_implILb0ES3_SA_NS6_6detail15normal_iteratorINS6_10device_ptrIS9_EEEEPS9_NS0_8identityIS9_EEEE10hipError_tT2_T3_mT4_P12ihipStream_tbEUlT_E_NS1_11comp_targetILNS1_3genE4ELNS1_11target_archE910ELNS1_3gpuE8ELNS1_3repE0EEENS1_30default_config_static_selectorELNS0_4arch9wavefront6targetE0EEEvT1_,comdat
	.protected	_ZN7rocprim17ROCPRIM_400000_NS6detail17trampoline_kernelINS0_14default_configENS1_25transform_config_selectorIN6thrust23THRUST_200600_302600_NS5tupleIffNS6_9null_typeES8_S8_S8_S8_S8_S8_S8_EELb0EEEZNS1_14transform_implILb0ES3_SA_NS6_6detail15normal_iteratorINS6_10device_ptrIS9_EEEEPS9_NS0_8identityIS9_EEEE10hipError_tT2_T3_mT4_P12ihipStream_tbEUlT_E_NS1_11comp_targetILNS1_3genE4ELNS1_11target_archE910ELNS1_3gpuE8ELNS1_3repE0EEENS1_30default_config_static_selectorELNS0_4arch9wavefront6targetE0EEEvT1_ ; -- Begin function _ZN7rocprim17ROCPRIM_400000_NS6detail17trampoline_kernelINS0_14default_configENS1_25transform_config_selectorIN6thrust23THRUST_200600_302600_NS5tupleIffNS6_9null_typeES8_S8_S8_S8_S8_S8_S8_EELb0EEEZNS1_14transform_implILb0ES3_SA_NS6_6detail15normal_iteratorINS6_10device_ptrIS9_EEEEPS9_NS0_8identityIS9_EEEE10hipError_tT2_T3_mT4_P12ihipStream_tbEUlT_E_NS1_11comp_targetILNS1_3genE4ELNS1_11target_archE910ELNS1_3gpuE8ELNS1_3repE0EEENS1_30default_config_static_selectorELNS0_4arch9wavefront6targetE0EEEvT1_
	.globl	_ZN7rocprim17ROCPRIM_400000_NS6detail17trampoline_kernelINS0_14default_configENS1_25transform_config_selectorIN6thrust23THRUST_200600_302600_NS5tupleIffNS6_9null_typeES8_S8_S8_S8_S8_S8_S8_EELb0EEEZNS1_14transform_implILb0ES3_SA_NS6_6detail15normal_iteratorINS6_10device_ptrIS9_EEEEPS9_NS0_8identityIS9_EEEE10hipError_tT2_T3_mT4_P12ihipStream_tbEUlT_E_NS1_11comp_targetILNS1_3genE4ELNS1_11target_archE910ELNS1_3gpuE8ELNS1_3repE0EEENS1_30default_config_static_selectorELNS0_4arch9wavefront6targetE0EEEvT1_
	.p2align	8
	.type	_ZN7rocprim17ROCPRIM_400000_NS6detail17trampoline_kernelINS0_14default_configENS1_25transform_config_selectorIN6thrust23THRUST_200600_302600_NS5tupleIffNS6_9null_typeES8_S8_S8_S8_S8_S8_S8_EELb0EEEZNS1_14transform_implILb0ES3_SA_NS6_6detail15normal_iteratorINS6_10device_ptrIS9_EEEEPS9_NS0_8identityIS9_EEEE10hipError_tT2_T3_mT4_P12ihipStream_tbEUlT_E_NS1_11comp_targetILNS1_3genE4ELNS1_11target_archE910ELNS1_3gpuE8ELNS1_3repE0EEENS1_30default_config_static_selectorELNS0_4arch9wavefront6targetE0EEEvT1_,@function
_ZN7rocprim17ROCPRIM_400000_NS6detail17trampoline_kernelINS0_14default_configENS1_25transform_config_selectorIN6thrust23THRUST_200600_302600_NS5tupleIffNS6_9null_typeES8_S8_S8_S8_S8_S8_S8_EELb0EEEZNS1_14transform_implILb0ES3_SA_NS6_6detail15normal_iteratorINS6_10device_ptrIS9_EEEEPS9_NS0_8identityIS9_EEEE10hipError_tT2_T3_mT4_P12ihipStream_tbEUlT_E_NS1_11comp_targetILNS1_3genE4ELNS1_11target_archE910ELNS1_3gpuE8ELNS1_3repE0EEENS1_30default_config_static_selectorELNS0_4arch9wavefront6targetE0EEEvT1_: ; @_ZN7rocprim17ROCPRIM_400000_NS6detail17trampoline_kernelINS0_14default_configENS1_25transform_config_selectorIN6thrust23THRUST_200600_302600_NS5tupleIffNS6_9null_typeES8_S8_S8_S8_S8_S8_S8_EELb0EEEZNS1_14transform_implILb0ES3_SA_NS6_6detail15normal_iteratorINS6_10device_ptrIS9_EEEEPS9_NS0_8identityIS9_EEEE10hipError_tT2_T3_mT4_P12ihipStream_tbEUlT_E_NS1_11comp_targetILNS1_3genE4ELNS1_11target_archE910ELNS1_3gpuE8ELNS1_3repE0EEENS1_30default_config_static_selectorELNS0_4arch9wavefront6targetE0EEEvT1_
; %bb.0:
	.section	.rodata,"a",@progbits
	.p2align	6, 0x0
	.amdhsa_kernel _ZN7rocprim17ROCPRIM_400000_NS6detail17trampoline_kernelINS0_14default_configENS1_25transform_config_selectorIN6thrust23THRUST_200600_302600_NS5tupleIffNS6_9null_typeES8_S8_S8_S8_S8_S8_S8_EELb0EEEZNS1_14transform_implILb0ES3_SA_NS6_6detail15normal_iteratorINS6_10device_ptrIS9_EEEEPS9_NS0_8identityIS9_EEEE10hipError_tT2_T3_mT4_P12ihipStream_tbEUlT_E_NS1_11comp_targetILNS1_3genE4ELNS1_11target_archE910ELNS1_3gpuE8ELNS1_3repE0EEENS1_30default_config_static_selectorELNS0_4arch9wavefront6targetE0EEEvT1_
		.amdhsa_group_segment_fixed_size 0
		.amdhsa_private_segment_fixed_size 0
		.amdhsa_kernarg_size 40
		.amdhsa_user_sgpr_count 6
		.amdhsa_user_sgpr_private_segment_buffer 1
		.amdhsa_user_sgpr_dispatch_ptr 0
		.amdhsa_user_sgpr_queue_ptr 0
		.amdhsa_user_sgpr_kernarg_segment_ptr 1
		.amdhsa_user_sgpr_dispatch_id 0
		.amdhsa_user_sgpr_flat_scratch_init 0
		.amdhsa_user_sgpr_private_segment_size 0
		.amdhsa_wavefront_size32 1
		.amdhsa_uses_dynamic_stack 0
		.amdhsa_system_sgpr_private_segment_wavefront_offset 0
		.amdhsa_system_sgpr_workgroup_id_x 1
		.amdhsa_system_sgpr_workgroup_id_y 0
		.amdhsa_system_sgpr_workgroup_id_z 0
		.amdhsa_system_sgpr_workgroup_info 0
		.amdhsa_system_vgpr_workitem_id 0
		.amdhsa_next_free_vgpr 1
		.amdhsa_next_free_sgpr 1
		.amdhsa_reserve_vcc 0
		.amdhsa_reserve_flat_scratch 0
		.amdhsa_float_round_mode_32 0
		.amdhsa_float_round_mode_16_64 0
		.amdhsa_float_denorm_mode_32 3
		.amdhsa_float_denorm_mode_16_64 3
		.amdhsa_dx10_clamp 1
		.amdhsa_ieee_mode 1
		.amdhsa_fp16_overflow 0
		.amdhsa_workgroup_processor_mode 1
		.amdhsa_memory_ordered 1
		.amdhsa_forward_progress 1
		.amdhsa_shared_vgpr_count 0
		.amdhsa_exception_fp_ieee_invalid_op 0
		.amdhsa_exception_fp_denorm_src 0
		.amdhsa_exception_fp_ieee_div_zero 0
		.amdhsa_exception_fp_ieee_overflow 0
		.amdhsa_exception_fp_ieee_underflow 0
		.amdhsa_exception_fp_ieee_inexact 0
		.amdhsa_exception_int_div_zero 0
	.end_amdhsa_kernel
	.section	.text._ZN7rocprim17ROCPRIM_400000_NS6detail17trampoline_kernelINS0_14default_configENS1_25transform_config_selectorIN6thrust23THRUST_200600_302600_NS5tupleIffNS6_9null_typeES8_S8_S8_S8_S8_S8_S8_EELb0EEEZNS1_14transform_implILb0ES3_SA_NS6_6detail15normal_iteratorINS6_10device_ptrIS9_EEEEPS9_NS0_8identityIS9_EEEE10hipError_tT2_T3_mT4_P12ihipStream_tbEUlT_E_NS1_11comp_targetILNS1_3genE4ELNS1_11target_archE910ELNS1_3gpuE8ELNS1_3repE0EEENS1_30default_config_static_selectorELNS0_4arch9wavefront6targetE0EEEvT1_,"axG",@progbits,_ZN7rocprim17ROCPRIM_400000_NS6detail17trampoline_kernelINS0_14default_configENS1_25transform_config_selectorIN6thrust23THRUST_200600_302600_NS5tupleIffNS6_9null_typeES8_S8_S8_S8_S8_S8_S8_EELb0EEEZNS1_14transform_implILb0ES3_SA_NS6_6detail15normal_iteratorINS6_10device_ptrIS9_EEEEPS9_NS0_8identityIS9_EEEE10hipError_tT2_T3_mT4_P12ihipStream_tbEUlT_E_NS1_11comp_targetILNS1_3genE4ELNS1_11target_archE910ELNS1_3gpuE8ELNS1_3repE0EEENS1_30default_config_static_selectorELNS0_4arch9wavefront6targetE0EEEvT1_,comdat
.Lfunc_end168:
	.size	_ZN7rocprim17ROCPRIM_400000_NS6detail17trampoline_kernelINS0_14default_configENS1_25transform_config_selectorIN6thrust23THRUST_200600_302600_NS5tupleIffNS6_9null_typeES8_S8_S8_S8_S8_S8_S8_EELb0EEEZNS1_14transform_implILb0ES3_SA_NS6_6detail15normal_iteratorINS6_10device_ptrIS9_EEEEPS9_NS0_8identityIS9_EEEE10hipError_tT2_T3_mT4_P12ihipStream_tbEUlT_E_NS1_11comp_targetILNS1_3genE4ELNS1_11target_archE910ELNS1_3gpuE8ELNS1_3repE0EEENS1_30default_config_static_selectorELNS0_4arch9wavefront6targetE0EEEvT1_, .Lfunc_end168-_ZN7rocprim17ROCPRIM_400000_NS6detail17trampoline_kernelINS0_14default_configENS1_25transform_config_selectorIN6thrust23THRUST_200600_302600_NS5tupleIffNS6_9null_typeES8_S8_S8_S8_S8_S8_S8_EELb0EEEZNS1_14transform_implILb0ES3_SA_NS6_6detail15normal_iteratorINS6_10device_ptrIS9_EEEEPS9_NS0_8identityIS9_EEEE10hipError_tT2_T3_mT4_P12ihipStream_tbEUlT_E_NS1_11comp_targetILNS1_3genE4ELNS1_11target_archE910ELNS1_3gpuE8ELNS1_3repE0EEENS1_30default_config_static_selectorELNS0_4arch9wavefront6targetE0EEEvT1_
                                        ; -- End function
	.set _ZN7rocprim17ROCPRIM_400000_NS6detail17trampoline_kernelINS0_14default_configENS1_25transform_config_selectorIN6thrust23THRUST_200600_302600_NS5tupleIffNS6_9null_typeES8_S8_S8_S8_S8_S8_S8_EELb0EEEZNS1_14transform_implILb0ES3_SA_NS6_6detail15normal_iteratorINS6_10device_ptrIS9_EEEEPS9_NS0_8identityIS9_EEEE10hipError_tT2_T3_mT4_P12ihipStream_tbEUlT_E_NS1_11comp_targetILNS1_3genE4ELNS1_11target_archE910ELNS1_3gpuE8ELNS1_3repE0EEENS1_30default_config_static_selectorELNS0_4arch9wavefront6targetE0EEEvT1_.num_vgpr, 0
	.set _ZN7rocprim17ROCPRIM_400000_NS6detail17trampoline_kernelINS0_14default_configENS1_25transform_config_selectorIN6thrust23THRUST_200600_302600_NS5tupleIffNS6_9null_typeES8_S8_S8_S8_S8_S8_S8_EELb0EEEZNS1_14transform_implILb0ES3_SA_NS6_6detail15normal_iteratorINS6_10device_ptrIS9_EEEEPS9_NS0_8identityIS9_EEEE10hipError_tT2_T3_mT4_P12ihipStream_tbEUlT_E_NS1_11comp_targetILNS1_3genE4ELNS1_11target_archE910ELNS1_3gpuE8ELNS1_3repE0EEENS1_30default_config_static_selectorELNS0_4arch9wavefront6targetE0EEEvT1_.num_agpr, 0
	.set _ZN7rocprim17ROCPRIM_400000_NS6detail17trampoline_kernelINS0_14default_configENS1_25transform_config_selectorIN6thrust23THRUST_200600_302600_NS5tupleIffNS6_9null_typeES8_S8_S8_S8_S8_S8_S8_EELb0EEEZNS1_14transform_implILb0ES3_SA_NS6_6detail15normal_iteratorINS6_10device_ptrIS9_EEEEPS9_NS0_8identityIS9_EEEE10hipError_tT2_T3_mT4_P12ihipStream_tbEUlT_E_NS1_11comp_targetILNS1_3genE4ELNS1_11target_archE910ELNS1_3gpuE8ELNS1_3repE0EEENS1_30default_config_static_selectorELNS0_4arch9wavefront6targetE0EEEvT1_.numbered_sgpr, 0
	.set _ZN7rocprim17ROCPRIM_400000_NS6detail17trampoline_kernelINS0_14default_configENS1_25transform_config_selectorIN6thrust23THRUST_200600_302600_NS5tupleIffNS6_9null_typeES8_S8_S8_S8_S8_S8_S8_EELb0EEEZNS1_14transform_implILb0ES3_SA_NS6_6detail15normal_iteratorINS6_10device_ptrIS9_EEEEPS9_NS0_8identityIS9_EEEE10hipError_tT2_T3_mT4_P12ihipStream_tbEUlT_E_NS1_11comp_targetILNS1_3genE4ELNS1_11target_archE910ELNS1_3gpuE8ELNS1_3repE0EEENS1_30default_config_static_selectorELNS0_4arch9wavefront6targetE0EEEvT1_.num_named_barrier, 0
	.set _ZN7rocprim17ROCPRIM_400000_NS6detail17trampoline_kernelINS0_14default_configENS1_25transform_config_selectorIN6thrust23THRUST_200600_302600_NS5tupleIffNS6_9null_typeES8_S8_S8_S8_S8_S8_S8_EELb0EEEZNS1_14transform_implILb0ES3_SA_NS6_6detail15normal_iteratorINS6_10device_ptrIS9_EEEEPS9_NS0_8identityIS9_EEEE10hipError_tT2_T3_mT4_P12ihipStream_tbEUlT_E_NS1_11comp_targetILNS1_3genE4ELNS1_11target_archE910ELNS1_3gpuE8ELNS1_3repE0EEENS1_30default_config_static_selectorELNS0_4arch9wavefront6targetE0EEEvT1_.private_seg_size, 0
	.set _ZN7rocprim17ROCPRIM_400000_NS6detail17trampoline_kernelINS0_14default_configENS1_25transform_config_selectorIN6thrust23THRUST_200600_302600_NS5tupleIffNS6_9null_typeES8_S8_S8_S8_S8_S8_S8_EELb0EEEZNS1_14transform_implILb0ES3_SA_NS6_6detail15normal_iteratorINS6_10device_ptrIS9_EEEEPS9_NS0_8identityIS9_EEEE10hipError_tT2_T3_mT4_P12ihipStream_tbEUlT_E_NS1_11comp_targetILNS1_3genE4ELNS1_11target_archE910ELNS1_3gpuE8ELNS1_3repE0EEENS1_30default_config_static_selectorELNS0_4arch9wavefront6targetE0EEEvT1_.uses_vcc, 0
	.set _ZN7rocprim17ROCPRIM_400000_NS6detail17trampoline_kernelINS0_14default_configENS1_25transform_config_selectorIN6thrust23THRUST_200600_302600_NS5tupleIffNS6_9null_typeES8_S8_S8_S8_S8_S8_S8_EELb0EEEZNS1_14transform_implILb0ES3_SA_NS6_6detail15normal_iteratorINS6_10device_ptrIS9_EEEEPS9_NS0_8identityIS9_EEEE10hipError_tT2_T3_mT4_P12ihipStream_tbEUlT_E_NS1_11comp_targetILNS1_3genE4ELNS1_11target_archE910ELNS1_3gpuE8ELNS1_3repE0EEENS1_30default_config_static_selectorELNS0_4arch9wavefront6targetE0EEEvT1_.uses_flat_scratch, 0
	.set _ZN7rocprim17ROCPRIM_400000_NS6detail17trampoline_kernelINS0_14default_configENS1_25transform_config_selectorIN6thrust23THRUST_200600_302600_NS5tupleIffNS6_9null_typeES8_S8_S8_S8_S8_S8_S8_EELb0EEEZNS1_14transform_implILb0ES3_SA_NS6_6detail15normal_iteratorINS6_10device_ptrIS9_EEEEPS9_NS0_8identityIS9_EEEE10hipError_tT2_T3_mT4_P12ihipStream_tbEUlT_E_NS1_11comp_targetILNS1_3genE4ELNS1_11target_archE910ELNS1_3gpuE8ELNS1_3repE0EEENS1_30default_config_static_selectorELNS0_4arch9wavefront6targetE0EEEvT1_.has_dyn_sized_stack, 0
	.set _ZN7rocprim17ROCPRIM_400000_NS6detail17trampoline_kernelINS0_14default_configENS1_25transform_config_selectorIN6thrust23THRUST_200600_302600_NS5tupleIffNS6_9null_typeES8_S8_S8_S8_S8_S8_S8_EELb0EEEZNS1_14transform_implILb0ES3_SA_NS6_6detail15normal_iteratorINS6_10device_ptrIS9_EEEEPS9_NS0_8identityIS9_EEEE10hipError_tT2_T3_mT4_P12ihipStream_tbEUlT_E_NS1_11comp_targetILNS1_3genE4ELNS1_11target_archE910ELNS1_3gpuE8ELNS1_3repE0EEENS1_30default_config_static_selectorELNS0_4arch9wavefront6targetE0EEEvT1_.has_recursion, 0
	.set _ZN7rocprim17ROCPRIM_400000_NS6detail17trampoline_kernelINS0_14default_configENS1_25transform_config_selectorIN6thrust23THRUST_200600_302600_NS5tupleIffNS6_9null_typeES8_S8_S8_S8_S8_S8_S8_EELb0EEEZNS1_14transform_implILb0ES3_SA_NS6_6detail15normal_iteratorINS6_10device_ptrIS9_EEEEPS9_NS0_8identityIS9_EEEE10hipError_tT2_T3_mT4_P12ihipStream_tbEUlT_E_NS1_11comp_targetILNS1_3genE4ELNS1_11target_archE910ELNS1_3gpuE8ELNS1_3repE0EEENS1_30default_config_static_selectorELNS0_4arch9wavefront6targetE0EEEvT1_.has_indirect_call, 0
	.section	.AMDGPU.csdata,"",@progbits
; Kernel info:
; codeLenInByte = 0
; TotalNumSgprs: 0
; NumVgprs: 0
; ScratchSize: 0
; MemoryBound: 0
; FloatMode: 240
; IeeeMode: 1
; LDSByteSize: 0 bytes/workgroup (compile time only)
; SGPRBlocks: 0
; VGPRBlocks: 0
; NumSGPRsForWavesPerEU: 1
; NumVGPRsForWavesPerEU: 1
; Occupancy: 16
; WaveLimiterHint : 0
; COMPUTE_PGM_RSRC2:SCRATCH_EN: 0
; COMPUTE_PGM_RSRC2:USER_SGPR: 6
; COMPUTE_PGM_RSRC2:TRAP_HANDLER: 0
; COMPUTE_PGM_RSRC2:TGID_X_EN: 1
; COMPUTE_PGM_RSRC2:TGID_Y_EN: 0
; COMPUTE_PGM_RSRC2:TGID_Z_EN: 0
; COMPUTE_PGM_RSRC2:TIDIG_COMP_CNT: 0
	.section	.text._ZN7rocprim17ROCPRIM_400000_NS6detail17trampoline_kernelINS0_14default_configENS1_25transform_config_selectorIN6thrust23THRUST_200600_302600_NS5tupleIffNS6_9null_typeES8_S8_S8_S8_S8_S8_S8_EELb0EEEZNS1_14transform_implILb0ES3_SA_NS6_6detail15normal_iteratorINS6_10device_ptrIS9_EEEEPS9_NS0_8identityIS9_EEEE10hipError_tT2_T3_mT4_P12ihipStream_tbEUlT_E_NS1_11comp_targetILNS1_3genE3ELNS1_11target_archE908ELNS1_3gpuE7ELNS1_3repE0EEENS1_30default_config_static_selectorELNS0_4arch9wavefront6targetE0EEEvT1_,"axG",@progbits,_ZN7rocprim17ROCPRIM_400000_NS6detail17trampoline_kernelINS0_14default_configENS1_25transform_config_selectorIN6thrust23THRUST_200600_302600_NS5tupleIffNS6_9null_typeES8_S8_S8_S8_S8_S8_S8_EELb0EEEZNS1_14transform_implILb0ES3_SA_NS6_6detail15normal_iteratorINS6_10device_ptrIS9_EEEEPS9_NS0_8identityIS9_EEEE10hipError_tT2_T3_mT4_P12ihipStream_tbEUlT_E_NS1_11comp_targetILNS1_3genE3ELNS1_11target_archE908ELNS1_3gpuE7ELNS1_3repE0EEENS1_30default_config_static_selectorELNS0_4arch9wavefront6targetE0EEEvT1_,comdat
	.protected	_ZN7rocprim17ROCPRIM_400000_NS6detail17trampoline_kernelINS0_14default_configENS1_25transform_config_selectorIN6thrust23THRUST_200600_302600_NS5tupleIffNS6_9null_typeES8_S8_S8_S8_S8_S8_S8_EELb0EEEZNS1_14transform_implILb0ES3_SA_NS6_6detail15normal_iteratorINS6_10device_ptrIS9_EEEEPS9_NS0_8identityIS9_EEEE10hipError_tT2_T3_mT4_P12ihipStream_tbEUlT_E_NS1_11comp_targetILNS1_3genE3ELNS1_11target_archE908ELNS1_3gpuE7ELNS1_3repE0EEENS1_30default_config_static_selectorELNS0_4arch9wavefront6targetE0EEEvT1_ ; -- Begin function _ZN7rocprim17ROCPRIM_400000_NS6detail17trampoline_kernelINS0_14default_configENS1_25transform_config_selectorIN6thrust23THRUST_200600_302600_NS5tupleIffNS6_9null_typeES8_S8_S8_S8_S8_S8_S8_EELb0EEEZNS1_14transform_implILb0ES3_SA_NS6_6detail15normal_iteratorINS6_10device_ptrIS9_EEEEPS9_NS0_8identityIS9_EEEE10hipError_tT2_T3_mT4_P12ihipStream_tbEUlT_E_NS1_11comp_targetILNS1_3genE3ELNS1_11target_archE908ELNS1_3gpuE7ELNS1_3repE0EEENS1_30default_config_static_selectorELNS0_4arch9wavefront6targetE0EEEvT1_
	.globl	_ZN7rocprim17ROCPRIM_400000_NS6detail17trampoline_kernelINS0_14default_configENS1_25transform_config_selectorIN6thrust23THRUST_200600_302600_NS5tupleIffNS6_9null_typeES8_S8_S8_S8_S8_S8_S8_EELb0EEEZNS1_14transform_implILb0ES3_SA_NS6_6detail15normal_iteratorINS6_10device_ptrIS9_EEEEPS9_NS0_8identityIS9_EEEE10hipError_tT2_T3_mT4_P12ihipStream_tbEUlT_E_NS1_11comp_targetILNS1_3genE3ELNS1_11target_archE908ELNS1_3gpuE7ELNS1_3repE0EEENS1_30default_config_static_selectorELNS0_4arch9wavefront6targetE0EEEvT1_
	.p2align	8
	.type	_ZN7rocprim17ROCPRIM_400000_NS6detail17trampoline_kernelINS0_14default_configENS1_25transform_config_selectorIN6thrust23THRUST_200600_302600_NS5tupleIffNS6_9null_typeES8_S8_S8_S8_S8_S8_S8_EELb0EEEZNS1_14transform_implILb0ES3_SA_NS6_6detail15normal_iteratorINS6_10device_ptrIS9_EEEEPS9_NS0_8identityIS9_EEEE10hipError_tT2_T3_mT4_P12ihipStream_tbEUlT_E_NS1_11comp_targetILNS1_3genE3ELNS1_11target_archE908ELNS1_3gpuE7ELNS1_3repE0EEENS1_30default_config_static_selectorELNS0_4arch9wavefront6targetE0EEEvT1_,@function
_ZN7rocprim17ROCPRIM_400000_NS6detail17trampoline_kernelINS0_14default_configENS1_25transform_config_selectorIN6thrust23THRUST_200600_302600_NS5tupleIffNS6_9null_typeES8_S8_S8_S8_S8_S8_S8_EELb0EEEZNS1_14transform_implILb0ES3_SA_NS6_6detail15normal_iteratorINS6_10device_ptrIS9_EEEEPS9_NS0_8identityIS9_EEEE10hipError_tT2_T3_mT4_P12ihipStream_tbEUlT_E_NS1_11comp_targetILNS1_3genE3ELNS1_11target_archE908ELNS1_3gpuE7ELNS1_3repE0EEENS1_30default_config_static_selectorELNS0_4arch9wavefront6targetE0EEEvT1_: ; @_ZN7rocprim17ROCPRIM_400000_NS6detail17trampoline_kernelINS0_14default_configENS1_25transform_config_selectorIN6thrust23THRUST_200600_302600_NS5tupleIffNS6_9null_typeES8_S8_S8_S8_S8_S8_S8_EELb0EEEZNS1_14transform_implILb0ES3_SA_NS6_6detail15normal_iteratorINS6_10device_ptrIS9_EEEEPS9_NS0_8identityIS9_EEEE10hipError_tT2_T3_mT4_P12ihipStream_tbEUlT_E_NS1_11comp_targetILNS1_3genE3ELNS1_11target_archE908ELNS1_3gpuE7ELNS1_3repE0EEENS1_30default_config_static_selectorELNS0_4arch9wavefront6targetE0EEEvT1_
; %bb.0:
	.section	.rodata,"a",@progbits
	.p2align	6, 0x0
	.amdhsa_kernel _ZN7rocprim17ROCPRIM_400000_NS6detail17trampoline_kernelINS0_14default_configENS1_25transform_config_selectorIN6thrust23THRUST_200600_302600_NS5tupleIffNS6_9null_typeES8_S8_S8_S8_S8_S8_S8_EELb0EEEZNS1_14transform_implILb0ES3_SA_NS6_6detail15normal_iteratorINS6_10device_ptrIS9_EEEEPS9_NS0_8identityIS9_EEEE10hipError_tT2_T3_mT4_P12ihipStream_tbEUlT_E_NS1_11comp_targetILNS1_3genE3ELNS1_11target_archE908ELNS1_3gpuE7ELNS1_3repE0EEENS1_30default_config_static_selectorELNS0_4arch9wavefront6targetE0EEEvT1_
		.amdhsa_group_segment_fixed_size 0
		.amdhsa_private_segment_fixed_size 0
		.amdhsa_kernarg_size 40
		.amdhsa_user_sgpr_count 6
		.amdhsa_user_sgpr_private_segment_buffer 1
		.amdhsa_user_sgpr_dispatch_ptr 0
		.amdhsa_user_sgpr_queue_ptr 0
		.amdhsa_user_sgpr_kernarg_segment_ptr 1
		.amdhsa_user_sgpr_dispatch_id 0
		.amdhsa_user_sgpr_flat_scratch_init 0
		.amdhsa_user_sgpr_private_segment_size 0
		.amdhsa_wavefront_size32 1
		.amdhsa_uses_dynamic_stack 0
		.amdhsa_system_sgpr_private_segment_wavefront_offset 0
		.amdhsa_system_sgpr_workgroup_id_x 1
		.amdhsa_system_sgpr_workgroup_id_y 0
		.amdhsa_system_sgpr_workgroup_id_z 0
		.amdhsa_system_sgpr_workgroup_info 0
		.amdhsa_system_vgpr_workitem_id 0
		.amdhsa_next_free_vgpr 1
		.amdhsa_next_free_sgpr 1
		.amdhsa_reserve_vcc 0
		.amdhsa_reserve_flat_scratch 0
		.amdhsa_float_round_mode_32 0
		.amdhsa_float_round_mode_16_64 0
		.amdhsa_float_denorm_mode_32 3
		.amdhsa_float_denorm_mode_16_64 3
		.amdhsa_dx10_clamp 1
		.amdhsa_ieee_mode 1
		.amdhsa_fp16_overflow 0
		.amdhsa_workgroup_processor_mode 1
		.amdhsa_memory_ordered 1
		.amdhsa_forward_progress 1
		.amdhsa_shared_vgpr_count 0
		.amdhsa_exception_fp_ieee_invalid_op 0
		.amdhsa_exception_fp_denorm_src 0
		.amdhsa_exception_fp_ieee_div_zero 0
		.amdhsa_exception_fp_ieee_overflow 0
		.amdhsa_exception_fp_ieee_underflow 0
		.amdhsa_exception_fp_ieee_inexact 0
		.amdhsa_exception_int_div_zero 0
	.end_amdhsa_kernel
	.section	.text._ZN7rocprim17ROCPRIM_400000_NS6detail17trampoline_kernelINS0_14default_configENS1_25transform_config_selectorIN6thrust23THRUST_200600_302600_NS5tupleIffNS6_9null_typeES8_S8_S8_S8_S8_S8_S8_EELb0EEEZNS1_14transform_implILb0ES3_SA_NS6_6detail15normal_iteratorINS6_10device_ptrIS9_EEEEPS9_NS0_8identityIS9_EEEE10hipError_tT2_T3_mT4_P12ihipStream_tbEUlT_E_NS1_11comp_targetILNS1_3genE3ELNS1_11target_archE908ELNS1_3gpuE7ELNS1_3repE0EEENS1_30default_config_static_selectorELNS0_4arch9wavefront6targetE0EEEvT1_,"axG",@progbits,_ZN7rocprim17ROCPRIM_400000_NS6detail17trampoline_kernelINS0_14default_configENS1_25transform_config_selectorIN6thrust23THRUST_200600_302600_NS5tupleIffNS6_9null_typeES8_S8_S8_S8_S8_S8_S8_EELb0EEEZNS1_14transform_implILb0ES3_SA_NS6_6detail15normal_iteratorINS6_10device_ptrIS9_EEEEPS9_NS0_8identityIS9_EEEE10hipError_tT2_T3_mT4_P12ihipStream_tbEUlT_E_NS1_11comp_targetILNS1_3genE3ELNS1_11target_archE908ELNS1_3gpuE7ELNS1_3repE0EEENS1_30default_config_static_selectorELNS0_4arch9wavefront6targetE0EEEvT1_,comdat
.Lfunc_end169:
	.size	_ZN7rocprim17ROCPRIM_400000_NS6detail17trampoline_kernelINS0_14default_configENS1_25transform_config_selectorIN6thrust23THRUST_200600_302600_NS5tupleIffNS6_9null_typeES8_S8_S8_S8_S8_S8_S8_EELb0EEEZNS1_14transform_implILb0ES3_SA_NS6_6detail15normal_iteratorINS6_10device_ptrIS9_EEEEPS9_NS0_8identityIS9_EEEE10hipError_tT2_T3_mT4_P12ihipStream_tbEUlT_E_NS1_11comp_targetILNS1_3genE3ELNS1_11target_archE908ELNS1_3gpuE7ELNS1_3repE0EEENS1_30default_config_static_selectorELNS0_4arch9wavefront6targetE0EEEvT1_, .Lfunc_end169-_ZN7rocprim17ROCPRIM_400000_NS6detail17trampoline_kernelINS0_14default_configENS1_25transform_config_selectorIN6thrust23THRUST_200600_302600_NS5tupleIffNS6_9null_typeES8_S8_S8_S8_S8_S8_S8_EELb0EEEZNS1_14transform_implILb0ES3_SA_NS6_6detail15normal_iteratorINS6_10device_ptrIS9_EEEEPS9_NS0_8identityIS9_EEEE10hipError_tT2_T3_mT4_P12ihipStream_tbEUlT_E_NS1_11comp_targetILNS1_3genE3ELNS1_11target_archE908ELNS1_3gpuE7ELNS1_3repE0EEENS1_30default_config_static_selectorELNS0_4arch9wavefront6targetE0EEEvT1_
                                        ; -- End function
	.set _ZN7rocprim17ROCPRIM_400000_NS6detail17trampoline_kernelINS0_14default_configENS1_25transform_config_selectorIN6thrust23THRUST_200600_302600_NS5tupleIffNS6_9null_typeES8_S8_S8_S8_S8_S8_S8_EELb0EEEZNS1_14transform_implILb0ES3_SA_NS6_6detail15normal_iteratorINS6_10device_ptrIS9_EEEEPS9_NS0_8identityIS9_EEEE10hipError_tT2_T3_mT4_P12ihipStream_tbEUlT_E_NS1_11comp_targetILNS1_3genE3ELNS1_11target_archE908ELNS1_3gpuE7ELNS1_3repE0EEENS1_30default_config_static_selectorELNS0_4arch9wavefront6targetE0EEEvT1_.num_vgpr, 0
	.set _ZN7rocprim17ROCPRIM_400000_NS6detail17trampoline_kernelINS0_14default_configENS1_25transform_config_selectorIN6thrust23THRUST_200600_302600_NS5tupleIffNS6_9null_typeES8_S8_S8_S8_S8_S8_S8_EELb0EEEZNS1_14transform_implILb0ES3_SA_NS6_6detail15normal_iteratorINS6_10device_ptrIS9_EEEEPS9_NS0_8identityIS9_EEEE10hipError_tT2_T3_mT4_P12ihipStream_tbEUlT_E_NS1_11comp_targetILNS1_3genE3ELNS1_11target_archE908ELNS1_3gpuE7ELNS1_3repE0EEENS1_30default_config_static_selectorELNS0_4arch9wavefront6targetE0EEEvT1_.num_agpr, 0
	.set _ZN7rocprim17ROCPRIM_400000_NS6detail17trampoline_kernelINS0_14default_configENS1_25transform_config_selectorIN6thrust23THRUST_200600_302600_NS5tupleIffNS6_9null_typeES8_S8_S8_S8_S8_S8_S8_EELb0EEEZNS1_14transform_implILb0ES3_SA_NS6_6detail15normal_iteratorINS6_10device_ptrIS9_EEEEPS9_NS0_8identityIS9_EEEE10hipError_tT2_T3_mT4_P12ihipStream_tbEUlT_E_NS1_11comp_targetILNS1_3genE3ELNS1_11target_archE908ELNS1_3gpuE7ELNS1_3repE0EEENS1_30default_config_static_selectorELNS0_4arch9wavefront6targetE0EEEvT1_.numbered_sgpr, 0
	.set _ZN7rocprim17ROCPRIM_400000_NS6detail17trampoline_kernelINS0_14default_configENS1_25transform_config_selectorIN6thrust23THRUST_200600_302600_NS5tupleIffNS6_9null_typeES8_S8_S8_S8_S8_S8_S8_EELb0EEEZNS1_14transform_implILb0ES3_SA_NS6_6detail15normal_iteratorINS6_10device_ptrIS9_EEEEPS9_NS0_8identityIS9_EEEE10hipError_tT2_T3_mT4_P12ihipStream_tbEUlT_E_NS1_11comp_targetILNS1_3genE3ELNS1_11target_archE908ELNS1_3gpuE7ELNS1_3repE0EEENS1_30default_config_static_selectorELNS0_4arch9wavefront6targetE0EEEvT1_.num_named_barrier, 0
	.set _ZN7rocprim17ROCPRIM_400000_NS6detail17trampoline_kernelINS0_14default_configENS1_25transform_config_selectorIN6thrust23THRUST_200600_302600_NS5tupleIffNS6_9null_typeES8_S8_S8_S8_S8_S8_S8_EELb0EEEZNS1_14transform_implILb0ES3_SA_NS6_6detail15normal_iteratorINS6_10device_ptrIS9_EEEEPS9_NS0_8identityIS9_EEEE10hipError_tT2_T3_mT4_P12ihipStream_tbEUlT_E_NS1_11comp_targetILNS1_3genE3ELNS1_11target_archE908ELNS1_3gpuE7ELNS1_3repE0EEENS1_30default_config_static_selectorELNS0_4arch9wavefront6targetE0EEEvT1_.private_seg_size, 0
	.set _ZN7rocprim17ROCPRIM_400000_NS6detail17trampoline_kernelINS0_14default_configENS1_25transform_config_selectorIN6thrust23THRUST_200600_302600_NS5tupleIffNS6_9null_typeES8_S8_S8_S8_S8_S8_S8_EELb0EEEZNS1_14transform_implILb0ES3_SA_NS6_6detail15normal_iteratorINS6_10device_ptrIS9_EEEEPS9_NS0_8identityIS9_EEEE10hipError_tT2_T3_mT4_P12ihipStream_tbEUlT_E_NS1_11comp_targetILNS1_3genE3ELNS1_11target_archE908ELNS1_3gpuE7ELNS1_3repE0EEENS1_30default_config_static_selectorELNS0_4arch9wavefront6targetE0EEEvT1_.uses_vcc, 0
	.set _ZN7rocprim17ROCPRIM_400000_NS6detail17trampoline_kernelINS0_14default_configENS1_25transform_config_selectorIN6thrust23THRUST_200600_302600_NS5tupleIffNS6_9null_typeES8_S8_S8_S8_S8_S8_S8_EELb0EEEZNS1_14transform_implILb0ES3_SA_NS6_6detail15normal_iteratorINS6_10device_ptrIS9_EEEEPS9_NS0_8identityIS9_EEEE10hipError_tT2_T3_mT4_P12ihipStream_tbEUlT_E_NS1_11comp_targetILNS1_3genE3ELNS1_11target_archE908ELNS1_3gpuE7ELNS1_3repE0EEENS1_30default_config_static_selectorELNS0_4arch9wavefront6targetE0EEEvT1_.uses_flat_scratch, 0
	.set _ZN7rocprim17ROCPRIM_400000_NS6detail17trampoline_kernelINS0_14default_configENS1_25transform_config_selectorIN6thrust23THRUST_200600_302600_NS5tupleIffNS6_9null_typeES8_S8_S8_S8_S8_S8_S8_EELb0EEEZNS1_14transform_implILb0ES3_SA_NS6_6detail15normal_iteratorINS6_10device_ptrIS9_EEEEPS9_NS0_8identityIS9_EEEE10hipError_tT2_T3_mT4_P12ihipStream_tbEUlT_E_NS1_11comp_targetILNS1_3genE3ELNS1_11target_archE908ELNS1_3gpuE7ELNS1_3repE0EEENS1_30default_config_static_selectorELNS0_4arch9wavefront6targetE0EEEvT1_.has_dyn_sized_stack, 0
	.set _ZN7rocprim17ROCPRIM_400000_NS6detail17trampoline_kernelINS0_14default_configENS1_25transform_config_selectorIN6thrust23THRUST_200600_302600_NS5tupleIffNS6_9null_typeES8_S8_S8_S8_S8_S8_S8_EELb0EEEZNS1_14transform_implILb0ES3_SA_NS6_6detail15normal_iteratorINS6_10device_ptrIS9_EEEEPS9_NS0_8identityIS9_EEEE10hipError_tT2_T3_mT4_P12ihipStream_tbEUlT_E_NS1_11comp_targetILNS1_3genE3ELNS1_11target_archE908ELNS1_3gpuE7ELNS1_3repE0EEENS1_30default_config_static_selectorELNS0_4arch9wavefront6targetE0EEEvT1_.has_recursion, 0
	.set _ZN7rocprim17ROCPRIM_400000_NS6detail17trampoline_kernelINS0_14default_configENS1_25transform_config_selectorIN6thrust23THRUST_200600_302600_NS5tupleIffNS6_9null_typeES8_S8_S8_S8_S8_S8_S8_EELb0EEEZNS1_14transform_implILb0ES3_SA_NS6_6detail15normal_iteratorINS6_10device_ptrIS9_EEEEPS9_NS0_8identityIS9_EEEE10hipError_tT2_T3_mT4_P12ihipStream_tbEUlT_E_NS1_11comp_targetILNS1_3genE3ELNS1_11target_archE908ELNS1_3gpuE7ELNS1_3repE0EEENS1_30default_config_static_selectorELNS0_4arch9wavefront6targetE0EEEvT1_.has_indirect_call, 0
	.section	.AMDGPU.csdata,"",@progbits
; Kernel info:
; codeLenInByte = 0
; TotalNumSgprs: 0
; NumVgprs: 0
; ScratchSize: 0
; MemoryBound: 0
; FloatMode: 240
; IeeeMode: 1
; LDSByteSize: 0 bytes/workgroup (compile time only)
; SGPRBlocks: 0
; VGPRBlocks: 0
; NumSGPRsForWavesPerEU: 1
; NumVGPRsForWavesPerEU: 1
; Occupancy: 16
; WaveLimiterHint : 0
; COMPUTE_PGM_RSRC2:SCRATCH_EN: 0
; COMPUTE_PGM_RSRC2:USER_SGPR: 6
; COMPUTE_PGM_RSRC2:TRAP_HANDLER: 0
; COMPUTE_PGM_RSRC2:TGID_X_EN: 1
; COMPUTE_PGM_RSRC2:TGID_Y_EN: 0
; COMPUTE_PGM_RSRC2:TGID_Z_EN: 0
; COMPUTE_PGM_RSRC2:TIDIG_COMP_CNT: 0
	.section	.text._ZN7rocprim17ROCPRIM_400000_NS6detail17trampoline_kernelINS0_14default_configENS1_25transform_config_selectorIN6thrust23THRUST_200600_302600_NS5tupleIffNS6_9null_typeES8_S8_S8_S8_S8_S8_S8_EELb0EEEZNS1_14transform_implILb0ES3_SA_NS6_6detail15normal_iteratorINS6_10device_ptrIS9_EEEEPS9_NS0_8identityIS9_EEEE10hipError_tT2_T3_mT4_P12ihipStream_tbEUlT_E_NS1_11comp_targetILNS1_3genE2ELNS1_11target_archE906ELNS1_3gpuE6ELNS1_3repE0EEENS1_30default_config_static_selectorELNS0_4arch9wavefront6targetE0EEEvT1_,"axG",@progbits,_ZN7rocprim17ROCPRIM_400000_NS6detail17trampoline_kernelINS0_14default_configENS1_25transform_config_selectorIN6thrust23THRUST_200600_302600_NS5tupleIffNS6_9null_typeES8_S8_S8_S8_S8_S8_S8_EELb0EEEZNS1_14transform_implILb0ES3_SA_NS6_6detail15normal_iteratorINS6_10device_ptrIS9_EEEEPS9_NS0_8identityIS9_EEEE10hipError_tT2_T3_mT4_P12ihipStream_tbEUlT_E_NS1_11comp_targetILNS1_3genE2ELNS1_11target_archE906ELNS1_3gpuE6ELNS1_3repE0EEENS1_30default_config_static_selectorELNS0_4arch9wavefront6targetE0EEEvT1_,comdat
	.protected	_ZN7rocprim17ROCPRIM_400000_NS6detail17trampoline_kernelINS0_14default_configENS1_25transform_config_selectorIN6thrust23THRUST_200600_302600_NS5tupleIffNS6_9null_typeES8_S8_S8_S8_S8_S8_S8_EELb0EEEZNS1_14transform_implILb0ES3_SA_NS6_6detail15normal_iteratorINS6_10device_ptrIS9_EEEEPS9_NS0_8identityIS9_EEEE10hipError_tT2_T3_mT4_P12ihipStream_tbEUlT_E_NS1_11comp_targetILNS1_3genE2ELNS1_11target_archE906ELNS1_3gpuE6ELNS1_3repE0EEENS1_30default_config_static_selectorELNS0_4arch9wavefront6targetE0EEEvT1_ ; -- Begin function _ZN7rocprim17ROCPRIM_400000_NS6detail17trampoline_kernelINS0_14default_configENS1_25transform_config_selectorIN6thrust23THRUST_200600_302600_NS5tupleIffNS6_9null_typeES8_S8_S8_S8_S8_S8_S8_EELb0EEEZNS1_14transform_implILb0ES3_SA_NS6_6detail15normal_iteratorINS6_10device_ptrIS9_EEEEPS9_NS0_8identityIS9_EEEE10hipError_tT2_T3_mT4_P12ihipStream_tbEUlT_E_NS1_11comp_targetILNS1_3genE2ELNS1_11target_archE906ELNS1_3gpuE6ELNS1_3repE0EEENS1_30default_config_static_selectorELNS0_4arch9wavefront6targetE0EEEvT1_
	.globl	_ZN7rocprim17ROCPRIM_400000_NS6detail17trampoline_kernelINS0_14default_configENS1_25transform_config_selectorIN6thrust23THRUST_200600_302600_NS5tupleIffNS6_9null_typeES8_S8_S8_S8_S8_S8_S8_EELb0EEEZNS1_14transform_implILb0ES3_SA_NS6_6detail15normal_iteratorINS6_10device_ptrIS9_EEEEPS9_NS0_8identityIS9_EEEE10hipError_tT2_T3_mT4_P12ihipStream_tbEUlT_E_NS1_11comp_targetILNS1_3genE2ELNS1_11target_archE906ELNS1_3gpuE6ELNS1_3repE0EEENS1_30default_config_static_selectorELNS0_4arch9wavefront6targetE0EEEvT1_
	.p2align	8
	.type	_ZN7rocprim17ROCPRIM_400000_NS6detail17trampoline_kernelINS0_14default_configENS1_25transform_config_selectorIN6thrust23THRUST_200600_302600_NS5tupleIffNS6_9null_typeES8_S8_S8_S8_S8_S8_S8_EELb0EEEZNS1_14transform_implILb0ES3_SA_NS6_6detail15normal_iteratorINS6_10device_ptrIS9_EEEEPS9_NS0_8identityIS9_EEEE10hipError_tT2_T3_mT4_P12ihipStream_tbEUlT_E_NS1_11comp_targetILNS1_3genE2ELNS1_11target_archE906ELNS1_3gpuE6ELNS1_3repE0EEENS1_30default_config_static_selectorELNS0_4arch9wavefront6targetE0EEEvT1_,@function
_ZN7rocprim17ROCPRIM_400000_NS6detail17trampoline_kernelINS0_14default_configENS1_25transform_config_selectorIN6thrust23THRUST_200600_302600_NS5tupleIffNS6_9null_typeES8_S8_S8_S8_S8_S8_S8_EELb0EEEZNS1_14transform_implILb0ES3_SA_NS6_6detail15normal_iteratorINS6_10device_ptrIS9_EEEEPS9_NS0_8identityIS9_EEEE10hipError_tT2_T3_mT4_P12ihipStream_tbEUlT_E_NS1_11comp_targetILNS1_3genE2ELNS1_11target_archE906ELNS1_3gpuE6ELNS1_3repE0EEENS1_30default_config_static_selectorELNS0_4arch9wavefront6targetE0EEEvT1_: ; @_ZN7rocprim17ROCPRIM_400000_NS6detail17trampoline_kernelINS0_14default_configENS1_25transform_config_selectorIN6thrust23THRUST_200600_302600_NS5tupleIffNS6_9null_typeES8_S8_S8_S8_S8_S8_S8_EELb0EEEZNS1_14transform_implILb0ES3_SA_NS6_6detail15normal_iteratorINS6_10device_ptrIS9_EEEEPS9_NS0_8identityIS9_EEEE10hipError_tT2_T3_mT4_P12ihipStream_tbEUlT_E_NS1_11comp_targetILNS1_3genE2ELNS1_11target_archE906ELNS1_3gpuE6ELNS1_3repE0EEENS1_30default_config_static_selectorELNS0_4arch9wavefront6targetE0EEEvT1_
; %bb.0:
	.section	.rodata,"a",@progbits
	.p2align	6, 0x0
	.amdhsa_kernel _ZN7rocprim17ROCPRIM_400000_NS6detail17trampoline_kernelINS0_14default_configENS1_25transform_config_selectorIN6thrust23THRUST_200600_302600_NS5tupleIffNS6_9null_typeES8_S8_S8_S8_S8_S8_S8_EELb0EEEZNS1_14transform_implILb0ES3_SA_NS6_6detail15normal_iteratorINS6_10device_ptrIS9_EEEEPS9_NS0_8identityIS9_EEEE10hipError_tT2_T3_mT4_P12ihipStream_tbEUlT_E_NS1_11comp_targetILNS1_3genE2ELNS1_11target_archE906ELNS1_3gpuE6ELNS1_3repE0EEENS1_30default_config_static_selectorELNS0_4arch9wavefront6targetE0EEEvT1_
		.amdhsa_group_segment_fixed_size 0
		.amdhsa_private_segment_fixed_size 0
		.amdhsa_kernarg_size 40
		.amdhsa_user_sgpr_count 6
		.amdhsa_user_sgpr_private_segment_buffer 1
		.amdhsa_user_sgpr_dispatch_ptr 0
		.amdhsa_user_sgpr_queue_ptr 0
		.amdhsa_user_sgpr_kernarg_segment_ptr 1
		.amdhsa_user_sgpr_dispatch_id 0
		.amdhsa_user_sgpr_flat_scratch_init 0
		.amdhsa_user_sgpr_private_segment_size 0
		.amdhsa_wavefront_size32 1
		.amdhsa_uses_dynamic_stack 0
		.amdhsa_system_sgpr_private_segment_wavefront_offset 0
		.amdhsa_system_sgpr_workgroup_id_x 1
		.amdhsa_system_sgpr_workgroup_id_y 0
		.amdhsa_system_sgpr_workgroup_id_z 0
		.amdhsa_system_sgpr_workgroup_info 0
		.amdhsa_system_vgpr_workitem_id 0
		.amdhsa_next_free_vgpr 1
		.amdhsa_next_free_sgpr 1
		.amdhsa_reserve_vcc 0
		.amdhsa_reserve_flat_scratch 0
		.amdhsa_float_round_mode_32 0
		.amdhsa_float_round_mode_16_64 0
		.amdhsa_float_denorm_mode_32 3
		.amdhsa_float_denorm_mode_16_64 3
		.amdhsa_dx10_clamp 1
		.amdhsa_ieee_mode 1
		.amdhsa_fp16_overflow 0
		.amdhsa_workgroup_processor_mode 1
		.amdhsa_memory_ordered 1
		.amdhsa_forward_progress 1
		.amdhsa_shared_vgpr_count 0
		.amdhsa_exception_fp_ieee_invalid_op 0
		.amdhsa_exception_fp_denorm_src 0
		.amdhsa_exception_fp_ieee_div_zero 0
		.amdhsa_exception_fp_ieee_overflow 0
		.amdhsa_exception_fp_ieee_underflow 0
		.amdhsa_exception_fp_ieee_inexact 0
		.amdhsa_exception_int_div_zero 0
	.end_amdhsa_kernel
	.section	.text._ZN7rocprim17ROCPRIM_400000_NS6detail17trampoline_kernelINS0_14default_configENS1_25transform_config_selectorIN6thrust23THRUST_200600_302600_NS5tupleIffNS6_9null_typeES8_S8_S8_S8_S8_S8_S8_EELb0EEEZNS1_14transform_implILb0ES3_SA_NS6_6detail15normal_iteratorINS6_10device_ptrIS9_EEEEPS9_NS0_8identityIS9_EEEE10hipError_tT2_T3_mT4_P12ihipStream_tbEUlT_E_NS1_11comp_targetILNS1_3genE2ELNS1_11target_archE906ELNS1_3gpuE6ELNS1_3repE0EEENS1_30default_config_static_selectorELNS0_4arch9wavefront6targetE0EEEvT1_,"axG",@progbits,_ZN7rocprim17ROCPRIM_400000_NS6detail17trampoline_kernelINS0_14default_configENS1_25transform_config_selectorIN6thrust23THRUST_200600_302600_NS5tupleIffNS6_9null_typeES8_S8_S8_S8_S8_S8_S8_EELb0EEEZNS1_14transform_implILb0ES3_SA_NS6_6detail15normal_iteratorINS6_10device_ptrIS9_EEEEPS9_NS0_8identityIS9_EEEE10hipError_tT2_T3_mT4_P12ihipStream_tbEUlT_E_NS1_11comp_targetILNS1_3genE2ELNS1_11target_archE906ELNS1_3gpuE6ELNS1_3repE0EEENS1_30default_config_static_selectorELNS0_4arch9wavefront6targetE0EEEvT1_,comdat
.Lfunc_end170:
	.size	_ZN7rocprim17ROCPRIM_400000_NS6detail17trampoline_kernelINS0_14default_configENS1_25transform_config_selectorIN6thrust23THRUST_200600_302600_NS5tupleIffNS6_9null_typeES8_S8_S8_S8_S8_S8_S8_EELb0EEEZNS1_14transform_implILb0ES3_SA_NS6_6detail15normal_iteratorINS6_10device_ptrIS9_EEEEPS9_NS0_8identityIS9_EEEE10hipError_tT2_T3_mT4_P12ihipStream_tbEUlT_E_NS1_11comp_targetILNS1_3genE2ELNS1_11target_archE906ELNS1_3gpuE6ELNS1_3repE0EEENS1_30default_config_static_selectorELNS0_4arch9wavefront6targetE0EEEvT1_, .Lfunc_end170-_ZN7rocprim17ROCPRIM_400000_NS6detail17trampoline_kernelINS0_14default_configENS1_25transform_config_selectorIN6thrust23THRUST_200600_302600_NS5tupleIffNS6_9null_typeES8_S8_S8_S8_S8_S8_S8_EELb0EEEZNS1_14transform_implILb0ES3_SA_NS6_6detail15normal_iteratorINS6_10device_ptrIS9_EEEEPS9_NS0_8identityIS9_EEEE10hipError_tT2_T3_mT4_P12ihipStream_tbEUlT_E_NS1_11comp_targetILNS1_3genE2ELNS1_11target_archE906ELNS1_3gpuE6ELNS1_3repE0EEENS1_30default_config_static_selectorELNS0_4arch9wavefront6targetE0EEEvT1_
                                        ; -- End function
	.set _ZN7rocprim17ROCPRIM_400000_NS6detail17trampoline_kernelINS0_14default_configENS1_25transform_config_selectorIN6thrust23THRUST_200600_302600_NS5tupleIffNS6_9null_typeES8_S8_S8_S8_S8_S8_S8_EELb0EEEZNS1_14transform_implILb0ES3_SA_NS6_6detail15normal_iteratorINS6_10device_ptrIS9_EEEEPS9_NS0_8identityIS9_EEEE10hipError_tT2_T3_mT4_P12ihipStream_tbEUlT_E_NS1_11comp_targetILNS1_3genE2ELNS1_11target_archE906ELNS1_3gpuE6ELNS1_3repE0EEENS1_30default_config_static_selectorELNS0_4arch9wavefront6targetE0EEEvT1_.num_vgpr, 0
	.set _ZN7rocprim17ROCPRIM_400000_NS6detail17trampoline_kernelINS0_14default_configENS1_25transform_config_selectorIN6thrust23THRUST_200600_302600_NS5tupleIffNS6_9null_typeES8_S8_S8_S8_S8_S8_S8_EELb0EEEZNS1_14transform_implILb0ES3_SA_NS6_6detail15normal_iteratorINS6_10device_ptrIS9_EEEEPS9_NS0_8identityIS9_EEEE10hipError_tT2_T3_mT4_P12ihipStream_tbEUlT_E_NS1_11comp_targetILNS1_3genE2ELNS1_11target_archE906ELNS1_3gpuE6ELNS1_3repE0EEENS1_30default_config_static_selectorELNS0_4arch9wavefront6targetE0EEEvT1_.num_agpr, 0
	.set _ZN7rocprim17ROCPRIM_400000_NS6detail17trampoline_kernelINS0_14default_configENS1_25transform_config_selectorIN6thrust23THRUST_200600_302600_NS5tupleIffNS6_9null_typeES8_S8_S8_S8_S8_S8_S8_EELb0EEEZNS1_14transform_implILb0ES3_SA_NS6_6detail15normal_iteratorINS6_10device_ptrIS9_EEEEPS9_NS0_8identityIS9_EEEE10hipError_tT2_T3_mT4_P12ihipStream_tbEUlT_E_NS1_11comp_targetILNS1_3genE2ELNS1_11target_archE906ELNS1_3gpuE6ELNS1_3repE0EEENS1_30default_config_static_selectorELNS0_4arch9wavefront6targetE0EEEvT1_.numbered_sgpr, 0
	.set _ZN7rocprim17ROCPRIM_400000_NS6detail17trampoline_kernelINS0_14default_configENS1_25transform_config_selectorIN6thrust23THRUST_200600_302600_NS5tupleIffNS6_9null_typeES8_S8_S8_S8_S8_S8_S8_EELb0EEEZNS1_14transform_implILb0ES3_SA_NS6_6detail15normal_iteratorINS6_10device_ptrIS9_EEEEPS9_NS0_8identityIS9_EEEE10hipError_tT2_T3_mT4_P12ihipStream_tbEUlT_E_NS1_11comp_targetILNS1_3genE2ELNS1_11target_archE906ELNS1_3gpuE6ELNS1_3repE0EEENS1_30default_config_static_selectorELNS0_4arch9wavefront6targetE0EEEvT1_.num_named_barrier, 0
	.set _ZN7rocprim17ROCPRIM_400000_NS6detail17trampoline_kernelINS0_14default_configENS1_25transform_config_selectorIN6thrust23THRUST_200600_302600_NS5tupleIffNS6_9null_typeES8_S8_S8_S8_S8_S8_S8_EELb0EEEZNS1_14transform_implILb0ES3_SA_NS6_6detail15normal_iteratorINS6_10device_ptrIS9_EEEEPS9_NS0_8identityIS9_EEEE10hipError_tT2_T3_mT4_P12ihipStream_tbEUlT_E_NS1_11comp_targetILNS1_3genE2ELNS1_11target_archE906ELNS1_3gpuE6ELNS1_3repE0EEENS1_30default_config_static_selectorELNS0_4arch9wavefront6targetE0EEEvT1_.private_seg_size, 0
	.set _ZN7rocprim17ROCPRIM_400000_NS6detail17trampoline_kernelINS0_14default_configENS1_25transform_config_selectorIN6thrust23THRUST_200600_302600_NS5tupleIffNS6_9null_typeES8_S8_S8_S8_S8_S8_S8_EELb0EEEZNS1_14transform_implILb0ES3_SA_NS6_6detail15normal_iteratorINS6_10device_ptrIS9_EEEEPS9_NS0_8identityIS9_EEEE10hipError_tT2_T3_mT4_P12ihipStream_tbEUlT_E_NS1_11comp_targetILNS1_3genE2ELNS1_11target_archE906ELNS1_3gpuE6ELNS1_3repE0EEENS1_30default_config_static_selectorELNS0_4arch9wavefront6targetE0EEEvT1_.uses_vcc, 0
	.set _ZN7rocprim17ROCPRIM_400000_NS6detail17trampoline_kernelINS0_14default_configENS1_25transform_config_selectorIN6thrust23THRUST_200600_302600_NS5tupleIffNS6_9null_typeES8_S8_S8_S8_S8_S8_S8_EELb0EEEZNS1_14transform_implILb0ES3_SA_NS6_6detail15normal_iteratorINS6_10device_ptrIS9_EEEEPS9_NS0_8identityIS9_EEEE10hipError_tT2_T3_mT4_P12ihipStream_tbEUlT_E_NS1_11comp_targetILNS1_3genE2ELNS1_11target_archE906ELNS1_3gpuE6ELNS1_3repE0EEENS1_30default_config_static_selectorELNS0_4arch9wavefront6targetE0EEEvT1_.uses_flat_scratch, 0
	.set _ZN7rocprim17ROCPRIM_400000_NS6detail17trampoline_kernelINS0_14default_configENS1_25transform_config_selectorIN6thrust23THRUST_200600_302600_NS5tupleIffNS6_9null_typeES8_S8_S8_S8_S8_S8_S8_EELb0EEEZNS1_14transform_implILb0ES3_SA_NS6_6detail15normal_iteratorINS6_10device_ptrIS9_EEEEPS9_NS0_8identityIS9_EEEE10hipError_tT2_T3_mT4_P12ihipStream_tbEUlT_E_NS1_11comp_targetILNS1_3genE2ELNS1_11target_archE906ELNS1_3gpuE6ELNS1_3repE0EEENS1_30default_config_static_selectorELNS0_4arch9wavefront6targetE0EEEvT1_.has_dyn_sized_stack, 0
	.set _ZN7rocprim17ROCPRIM_400000_NS6detail17trampoline_kernelINS0_14default_configENS1_25transform_config_selectorIN6thrust23THRUST_200600_302600_NS5tupleIffNS6_9null_typeES8_S8_S8_S8_S8_S8_S8_EELb0EEEZNS1_14transform_implILb0ES3_SA_NS6_6detail15normal_iteratorINS6_10device_ptrIS9_EEEEPS9_NS0_8identityIS9_EEEE10hipError_tT2_T3_mT4_P12ihipStream_tbEUlT_E_NS1_11comp_targetILNS1_3genE2ELNS1_11target_archE906ELNS1_3gpuE6ELNS1_3repE0EEENS1_30default_config_static_selectorELNS0_4arch9wavefront6targetE0EEEvT1_.has_recursion, 0
	.set _ZN7rocprim17ROCPRIM_400000_NS6detail17trampoline_kernelINS0_14default_configENS1_25transform_config_selectorIN6thrust23THRUST_200600_302600_NS5tupleIffNS6_9null_typeES8_S8_S8_S8_S8_S8_S8_EELb0EEEZNS1_14transform_implILb0ES3_SA_NS6_6detail15normal_iteratorINS6_10device_ptrIS9_EEEEPS9_NS0_8identityIS9_EEEE10hipError_tT2_T3_mT4_P12ihipStream_tbEUlT_E_NS1_11comp_targetILNS1_3genE2ELNS1_11target_archE906ELNS1_3gpuE6ELNS1_3repE0EEENS1_30default_config_static_selectorELNS0_4arch9wavefront6targetE0EEEvT1_.has_indirect_call, 0
	.section	.AMDGPU.csdata,"",@progbits
; Kernel info:
; codeLenInByte = 0
; TotalNumSgprs: 0
; NumVgprs: 0
; ScratchSize: 0
; MemoryBound: 0
; FloatMode: 240
; IeeeMode: 1
; LDSByteSize: 0 bytes/workgroup (compile time only)
; SGPRBlocks: 0
; VGPRBlocks: 0
; NumSGPRsForWavesPerEU: 1
; NumVGPRsForWavesPerEU: 1
; Occupancy: 16
; WaveLimiterHint : 0
; COMPUTE_PGM_RSRC2:SCRATCH_EN: 0
; COMPUTE_PGM_RSRC2:USER_SGPR: 6
; COMPUTE_PGM_RSRC2:TRAP_HANDLER: 0
; COMPUTE_PGM_RSRC2:TGID_X_EN: 1
; COMPUTE_PGM_RSRC2:TGID_Y_EN: 0
; COMPUTE_PGM_RSRC2:TGID_Z_EN: 0
; COMPUTE_PGM_RSRC2:TIDIG_COMP_CNT: 0
	.section	.text._ZN7rocprim17ROCPRIM_400000_NS6detail17trampoline_kernelINS0_14default_configENS1_25transform_config_selectorIN6thrust23THRUST_200600_302600_NS5tupleIffNS6_9null_typeES8_S8_S8_S8_S8_S8_S8_EELb0EEEZNS1_14transform_implILb0ES3_SA_NS6_6detail15normal_iteratorINS6_10device_ptrIS9_EEEEPS9_NS0_8identityIS9_EEEE10hipError_tT2_T3_mT4_P12ihipStream_tbEUlT_E_NS1_11comp_targetILNS1_3genE10ELNS1_11target_archE1201ELNS1_3gpuE5ELNS1_3repE0EEENS1_30default_config_static_selectorELNS0_4arch9wavefront6targetE0EEEvT1_,"axG",@progbits,_ZN7rocprim17ROCPRIM_400000_NS6detail17trampoline_kernelINS0_14default_configENS1_25transform_config_selectorIN6thrust23THRUST_200600_302600_NS5tupleIffNS6_9null_typeES8_S8_S8_S8_S8_S8_S8_EELb0EEEZNS1_14transform_implILb0ES3_SA_NS6_6detail15normal_iteratorINS6_10device_ptrIS9_EEEEPS9_NS0_8identityIS9_EEEE10hipError_tT2_T3_mT4_P12ihipStream_tbEUlT_E_NS1_11comp_targetILNS1_3genE10ELNS1_11target_archE1201ELNS1_3gpuE5ELNS1_3repE0EEENS1_30default_config_static_selectorELNS0_4arch9wavefront6targetE0EEEvT1_,comdat
	.protected	_ZN7rocprim17ROCPRIM_400000_NS6detail17trampoline_kernelINS0_14default_configENS1_25transform_config_selectorIN6thrust23THRUST_200600_302600_NS5tupleIffNS6_9null_typeES8_S8_S8_S8_S8_S8_S8_EELb0EEEZNS1_14transform_implILb0ES3_SA_NS6_6detail15normal_iteratorINS6_10device_ptrIS9_EEEEPS9_NS0_8identityIS9_EEEE10hipError_tT2_T3_mT4_P12ihipStream_tbEUlT_E_NS1_11comp_targetILNS1_3genE10ELNS1_11target_archE1201ELNS1_3gpuE5ELNS1_3repE0EEENS1_30default_config_static_selectorELNS0_4arch9wavefront6targetE0EEEvT1_ ; -- Begin function _ZN7rocprim17ROCPRIM_400000_NS6detail17trampoline_kernelINS0_14default_configENS1_25transform_config_selectorIN6thrust23THRUST_200600_302600_NS5tupleIffNS6_9null_typeES8_S8_S8_S8_S8_S8_S8_EELb0EEEZNS1_14transform_implILb0ES3_SA_NS6_6detail15normal_iteratorINS6_10device_ptrIS9_EEEEPS9_NS0_8identityIS9_EEEE10hipError_tT2_T3_mT4_P12ihipStream_tbEUlT_E_NS1_11comp_targetILNS1_3genE10ELNS1_11target_archE1201ELNS1_3gpuE5ELNS1_3repE0EEENS1_30default_config_static_selectorELNS0_4arch9wavefront6targetE0EEEvT1_
	.globl	_ZN7rocprim17ROCPRIM_400000_NS6detail17trampoline_kernelINS0_14default_configENS1_25transform_config_selectorIN6thrust23THRUST_200600_302600_NS5tupleIffNS6_9null_typeES8_S8_S8_S8_S8_S8_S8_EELb0EEEZNS1_14transform_implILb0ES3_SA_NS6_6detail15normal_iteratorINS6_10device_ptrIS9_EEEEPS9_NS0_8identityIS9_EEEE10hipError_tT2_T3_mT4_P12ihipStream_tbEUlT_E_NS1_11comp_targetILNS1_3genE10ELNS1_11target_archE1201ELNS1_3gpuE5ELNS1_3repE0EEENS1_30default_config_static_selectorELNS0_4arch9wavefront6targetE0EEEvT1_
	.p2align	8
	.type	_ZN7rocprim17ROCPRIM_400000_NS6detail17trampoline_kernelINS0_14default_configENS1_25transform_config_selectorIN6thrust23THRUST_200600_302600_NS5tupleIffNS6_9null_typeES8_S8_S8_S8_S8_S8_S8_EELb0EEEZNS1_14transform_implILb0ES3_SA_NS6_6detail15normal_iteratorINS6_10device_ptrIS9_EEEEPS9_NS0_8identityIS9_EEEE10hipError_tT2_T3_mT4_P12ihipStream_tbEUlT_E_NS1_11comp_targetILNS1_3genE10ELNS1_11target_archE1201ELNS1_3gpuE5ELNS1_3repE0EEENS1_30default_config_static_selectorELNS0_4arch9wavefront6targetE0EEEvT1_,@function
_ZN7rocprim17ROCPRIM_400000_NS6detail17trampoline_kernelINS0_14default_configENS1_25transform_config_selectorIN6thrust23THRUST_200600_302600_NS5tupleIffNS6_9null_typeES8_S8_S8_S8_S8_S8_S8_EELb0EEEZNS1_14transform_implILb0ES3_SA_NS6_6detail15normal_iteratorINS6_10device_ptrIS9_EEEEPS9_NS0_8identityIS9_EEEE10hipError_tT2_T3_mT4_P12ihipStream_tbEUlT_E_NS1_11comp_targetILNS1_3genE10ELNS1_11target_archE1201ELNS1_3gpuE5ELNS1_3repE0EEENS1_30default_config_static_selectorELNS0_4arch9wavefront6targetE0EEEvT1_: ; @_ZN7rocprim17ROCPRIM_400000_NS6detail17trampoline_kernelINS0_14default_configENS1_25transform_config_selectorIN6thrust23THRUST_200600_302600_NS5tupleIffNS6_9null_typeES8_S8_S8_S8_S8_S8_S8_EELb0EEEZNS1_14transform_implILb0ES3_SA_NS6_6detail15normal_iteratorINS6_10device_ptrIS9_EEEEPS9_NS0_8identityIS9_EEEE10hipError_tT2_T3_mT4_P12ihipStream_tbEUlT_E_NS1_11comp_targetILNS1_3genE10ELNS1_11target_archE1201ELNS1_3gpuE5ELNS1_3repE0EEENS1_30default_config_static_selectorELNS0_4arch9wavefront6targetE0EEEvT1_
; %bb.0:
	.section	.rodata,"a",@progbits
	.p2align	6, 0x0
	.amdhsa_kernel _ZN7rocprim17ROCPRIM_400000_NS6detail17trampoline_kernelINS0_14default_configENS1_25transform_config_selectorIN6thrust23THRUST_200600_302600_NS5tupleIffNS6_9null_typeES8_S8_S8_S8_S8_S8_S8_EELb0EEEZNS1_14transform_implILb0ES3_SA_NS6_6detail15normal_iteratorINS6_10device_ptrIS9_EEEEPS9_NS0_8identityIS9_EEEE10hipError_tT2_T3_mT4_P12ihipStream_tbEUlT_E_NS1_11comp_targetILNS1_3genE10ELNS1_11target_archE1201ELNS1_3gpuE5ELNS1_3repE0EEENS1_30default_config_static_selectorELNS0_4arch9wavefront6targetE0EEEvT1_
		.amdhsa_group_segment_fixed_size 0
		.amdhsa_private_segment_fixed_size 0
		.amdhsa_kernarg_size 40
		.amdhsa_user_sgpr_count 6
		.amdhsa_user_sgpr_private_segment_buffer 1
		.amdhsa_user_sgpr_dispatch_ptr 0
		.amdhsa_user_sgpr_queue_ptr 0
		.amdhsa_user_sgpr_kernarg_segment_ptr 1
		.amdhsa_user_sgpr_dispatch_id 0
		.amdhsa_user_sgpr_flat_scratch_init 0
		.amdhsa_user_sgpr_private_segment_size 0
		.amdhsa_wavefront_size32 1
		.amdhsa_uses_dynamic_stack 0
		.amdhsa_system_sgpr_private_segment_wavefront_offset 0
		.amdhsa_system_sgpr_workgroup_id_x 1
		.amdhsa_system_sgpr_workgroup_id_y 0
		.amdhsa_system_sgpr_workgroup_id_z 0
		.amdhsa_system_sgpr_workgroup_info 0
		.amdhsa_system_vgpr_workitem_id 0
		.amdhsa_next_free_vgpr 1
		.amdhsa_next_free_sgpr 1
		.amdhsa_reserve_vcc 0
		.amdhsa_reserve_flat_scratch 0
		.amdhsa_float_round_mode_32 0
		.amdhsa_float_round_mode_16_64 0
		.amdhsa_float_denorm_mode_32 3
		.amdhsa_float_denorm_mode_16_64 3
		.amdhsa_dx10_clamp 1
		.amdhsa_ieee_mode 1
		.amdhsa_fp16_overflow 0
		.amdhsa_workgroup_processor_mode 1
		.amdhsa_memory_ordered 1
		.amdhsa_forward_progress 1
		.amdhsa_shared_vgpr_count 0
		.amdhsa_exception_fp_ieee_invalid_op 0
		.amdhsa_exception_fp_denorm_src 0
		.amdhsa_exception_fp_ieee_div_zero 0
		.amdhsa_exception_fp_ieee_overflow 0
		.amdhsa_exception_fp_ieee_underflow 0
		.amdhsa_exception_fp_ieee_inexact 0
		.amdhsa_exception_int_div_zero 0
	.end_amdhsa_kernel
	.section	.text._ZN7rocprim17ROCPRIM_400000_NS6detail17trampoline_kernelINS0_14default_configENS1_25transform_config_selectorIN6thrust23THRUST_200600_302600_NS5tupleIffNS6_9null_typeES8_S8_S8_S8_S8_S8_S8_EELb0EEEZNS1_14transform_implILb0ES3_SA_NS6_6detail15normal_iteratorINS6_10device_ptrIS9_EEEEPS9_NS0_8identityIS9_EEEE10hipError_tT2_T3_mT4_P12ihipStream_tbEUlT_E_NS1_11comp_targetILNS1_3genE10ELNS1_11target_archE1201ELNS1_3gpuE5ELNS1_3repE0EEENS1_30default_config_static_selectorELNS0_4arch9wavefront6targetE0EEEvT1_,"axG",@progbits,_ZN7rocprim17ROCPRIM_400000_NS6detail17trampoline_kernelINS0_14default_configENS1_25transform_config_selectorIN6thrust23THRUST_200600_302600_NS5tupleIffNS6_9null_typeES8_S8_S8_S8_S8_S8_S8_EELb0EEEZNS1_14transform_implILb0ES3_SA_NS6_6detail15normal_iteratorINS6_10device_ptrIS9_EEEEPS9_NS0_8identityIS9_EEEE10hipError_tT2_T3_mT4_P12ihipStream_tbEUlT_E_NS1_11comp_targetILNS1_3genE10ELNS1_11target_archE1201ELNS1_3gpuE5ELNS1_3repE0EEENS1_30default_config_static_selectorELNS0_4arch9wavefront6targetE0EEEvT1_,comdat
.Lfunc_end171:
	.size	_ZN7rocprim17ROCPRIM_400000_NS6detail17trampoline_kernelINS0_14default_configENS1_25transform_config_selectorIN6thrust23THRUST_200600_302600_NS5tupleIffNS6_9null_typeES8_S8_S8_S8_S8_S8_S8_EELb0EEEZNS1_14transform_implILb0ES3_SA_NS6_6detail15normal_iteratorINS6_10device_ptrIS9_EEEEPS9_NS0_8identityIS9_EEEE10hipError_tT2_T3_mT4_P12ihipStream_tbEUlT_E_NS1_11comp_targetILNS1_3genE10ELNS1_11target_archE1201ELNS1_3gpuE5ELNS1_3repE0EEENS1_30default_config_static_selectorELNS0_4arch9wavefront6targetE0EEEvT1_, .Lfunc_end171-_ZN7rocprim17ROCPRIM_400000_NS6detail17trampoline_kernelINS0_14default_configENS1_25transform_config_selectorIN6thrust23THRUST_200600_302600_NS5tupleIffNS6_9null_typeES8_S8_S8_S8_S8_S8_S8_EELb0EEEZNS1_14transform_implILb0ES3_SA_NS6_6detail15normal_iteratorINS6_10device_ptrIS9_EEEEPS9_NS0_8identityIS9_EEEE10hipError_tT2_T3_mT4_P12ihipStream_tbEUlT_E_NS1_11comp_targetILNS1_3genE10ELNS1_11target_archE1201ELNS1_3gpuE5ELNS1_3repE0EEENS1_30default_config_static_selectorELNS0_4arch9wavefront6targetE0EEEvT1_
                                        ; -- End function
	.set _ZN7rocprim17ROCPRIM_400000_NS6detail17trampoline_kernelINS0_14default_configENS1_25transform_config_selectorIN6thrust23THRUST_200600_302600_NS5tupleIffNS6_9null_typeES8_S8_S8_S8_S8_S8_S8_EELb0EEEZNS1_14transform_implILb0ES3_SA_NS6_6detail15normal_iteratorINS6_10device_ptrIS9_EEEEPS9_NS0_8identityIS9_EEEE10hipError_tT2_T3_mT4_P12ihipStream_tbEUlT_E_NS1_11comp_targetILNS1_3genE10ELNS1_11target_archE1201ELNS1_3gpuE5ELNS1_3repE0EEENS1_30default_config_static_selectorELNS0_4arch9wavefront6targetE0EEEvT1_.num_vgpr, 0
	.set _ZN7rocprim17ROCPRIM_400000_NS6detail17trampoline_kernelINS0_14default_configENS1_25transform_config_selectorIN6thrust23THRUST_200600_302600_NS5tupleIffNS6_9null_typeES8_S8_S8_S8_S8_S8_S8_EELb0EEEZNS1_14transform_implILb0ES3_SA_NS6_6detail15normal_iteratorINS6_10device_ptrIS9_EEEEPS9_NS0_8identityIS9_EEEE10hipError_tT2_T3_mT4_P12ihipStream_tbEUlT_E_NS1_11comp_targetILNS1_3genE10ELNS1_11target_archE1201ELNS1_3gpuE5ELNS1_3repE0EEENS1_30default_config_static_selectorELNS0_4arch9wavefront6targetE0EEEvT1_.num_agpr, 0
	.set _ZN7rocprim17ROCPRIM_400000_NS6detail17trampoline_kernelINS0_14default_configENS1_25transform_config_selectorIN6thrust23THRUST_200600_302600_NS5tupleIffNS6_9null_typeES8_S8_S8_S8_S8_S8_S8_EELb0EEEZNS1_14transform_implILb0ES3_SA_NS6_6detail15normal_iteratorINS6_10device_ptrIS9_EEEEPS9_NS0_8identityIS9_EEEE10hipError_tT2_T3_mT4_P12ihipStream_tbEUlT_E_NS1_11comp_targetILNS1_3genE10ELNS1_11target_archE1201ELNS1_3gpuE5ELNS1_3repE0EEENS1_30default_config_static_selectorELNS0_4arch9wavefront6targetE0EEEvT1_.numbered_sgpr, 0
	.set _ZN7rocprim17ROCPRIM_400000_NS6detail17trampoline_kernelINS0_14default_configENS1_25transform_config_selectorIN6thrust23THRUST_200600_302600_NS5tupleIffNS6_9null_typeES8_S8_S8_S8_S8_S8_S8_EELb0EEEZNS1_14transform_implILb0ES3_SA_NS6_6detail15normal_iteratorINS6_10device_ptrIS9_EEEEPS9_NS0_8identityIS9_EEEE10hipError_tT2_T3_mT4_P12ihipStream_tbEUlT_E_NS1_11comp_targetILNS1_3genE10ELNS1_11target_archE1201ELNS1_3gpuE5ELNS1_3repE0EEENS1_30default_config_static_selectorELNS0_4arch9wavefront6targetE0EEEvT1_.num_named_barrier, 0
	.set _ZN7rocprim17ROCPRIM_400000_NS6detail17trampoline_kernelINS0_14default_configENS1_25transform_config_selectorIN6thrust23THRUST_200600_302600_NS5tupleIffNS6_9null_typeES8_S8_S8_S8_S8_S8_S8_EELb0EEEZNS1_14transform_implILb0ES3_SA_NS6_6detail15normal_iteratorINS6_10device_ptrIS9_EEEEPS9_NS0_8identityIS9_EEEE10hipError_tT2_T3_mT4_P12ihipStream_tbEUlT_E_NS1_11comp_targetILNS1_3genE10ELNS1_11target_archE1201ELNS1_3gpuE5ELNS1_3repE0EEENS1_30default_config_static_selectorELNS0_4arch9wavefront6targetE0EEEvT1_.private_seg_size, 0
	.set _ZN7rocprim17ROCPRIM_400000_NS6detail17trampoline_kernelINS0_14default_configENS1_25transform_config_selectorIN6thrust23THRUST_200600_302600_NS5tupleIffNS6_9null_typeES8_S8_S8_S8_S8_S8_S8_EELb0EEEZNS1_14transform_implILb0ES3_SA_NS6_6detail15normal_iteratorINS6_10device_ptrIS9_EEEEPS9_NS0_8identityIS9_EEEE10hipError_tT2_T3_mT4_P12ihipStream_tbEUlT_E_NS1_11comp_targetILNS1_3genE10ELNS1_11target_archE1201ELNS1_3gpuE5ELNS1_3repE0EEENS1_30default_config_static_selectorELNS0_4arch9wavefront6targetE0EEEvT1_.uses_vcc, 0
	.set _ZN7rocprim17ROCPRIM_400000_NS6detail17trampoline_kernelINS0_14default_configENS1_25transform_config_selectorIN6thrust23THRUST_200600_302600_NS5tupleIffNS6_9null_typeES8_S8_S8_S8_S8_S8_S8_EELb0EEEZNS1_14transform_implILb0ES3_SA_NS6_6detail15normal_iteratorINS6_10device_ptrIS9_EEEEPS9_NS0_8identityIS9_EEEE10hipError_tT2_T3_mT4_P12ihipStream_tbEUlT_E_NS1_11comp_targetILNS1_3genE10ELNS1_11target_archE1201ELNS1_3gpuE5ELNS1_3repE0EEENS1_30default_config_static_selectorELNS0_4arch9wavefront6targetE0EEEvT1_.uses_flat_scratch, 0
	.set _ZN7rocprim17ROCPRIM_400000_NS6detail17trampoline_kernelINS0_14default_configENS1_25transform_config_selectorIN6thrust23THRUST_200600_302600_NS5tupleIffNS6_9null_typeES8_S8_S8_S8_S8_S8_S8_EELb0EEEZNS1_14transform_implILb0ES3_SA_NS6_6detail15normal_iteratorINS6_10device_ptrIS9_EEEEPS9_NS0_8identityIS9_EEEE10hipError_tT2_T3_mT4_P12ihipStream_tbEUlT_E_NS1_11comp_targetILNS1_3genE10ELNS1_11target_archE1201ELNS1_3gpuE5ELNS1_3repE0EEENS1_30default_config_static_selectorELNS0_4arch9wavefront6targetE0EEEvT1_.has_dyn_sized_stack, 0
	.set _ZN7rocprim17ROCPRIM_400000_NS6detail17trampoline_kernelINS0_14default_configENS1_25transform_config_selectorIN6thrust23THRUST_200600_302600_NS5tupleIffNS6_9null_typeES8_S8_S8_S8_S8_S8_S8_EELb0EEEZNS1_14transform_implILb0ES3_SA_NS6_6detail15normal_iteratorINS6_10device_ptrIS9_EEEEPS9_NS0_8identityIS9_EEEE10hipError_tT2_T3_mT4_P12ihipStream_tbEUlT_E_NS1_11comp_targetILNS1_3genE10ELNS1_11target_archE1201ELNS1_3gpuE5ELNS1_3repE0EEENS1_30default_config_static_selectorELNS0_4arch9wavefront6targetE0EEEvT1_.has_recursion, 0
	.set _ZN7rocprim17ROCPRIM_400000_NS6detail17trampoline_kernelINS0_14default_configENS1_25transform_config_selectorIN6thrust23THRUST_200600_302600_NS5tupleIffNS6_9null_typeES8_S8_S8_S8_S8_S8_S8_EELb0EEEZNS1_14transform_implILb0ES3_SA_NS6_6detail15normal_iteratorINS6_10device_ptrIS9_EEEEPS9_NS0_8identityIS9_EEEE10hipError_tT2_T3_mT4_P12ihipStream_tbEUlT_E_NS1_11comp_targetILNS1_3genE10ELNS1_11target_archE1201ELNS1_3gpuE5ELNS1_3repE0EEENS1_30default_config_static_selectorELNS0_4arch9wavefront6targetE0EEEvT1_.has_indirect_call, 0
	.section	.AMDGPU.csdata,"",@progbits
; Kernel info:
; codeLenInByte = 0
; TotalNumSgprs: 0
; NumVgprs: 0
; ScratchSize: 0
; MemoryBound: 0
; FloatMode: 240
; IeeeMode: 1
; LDSByteSize: 0 bytes/workgroup (compile time only)
; SGPRBlocks: 0
; VGPRBlocks: 0
; NumSGPRsForWavesPerEU: 1
; NumVGPRsForWavesPerEU: 1
; Occupancy: 16
; WaveLimiterHint : 0
; COMPUTE_PGM_RSRC2:SCRATCH_EN: 0
; COMPUTE_PGM_RSRC2:USER_SGPR: 6
; COMPUTE_PGM_RSRC2:TRAP_HANDLER: 0
; COMPUTE_PGM_RSRC2:TGID_X_EN: 1
; COMPUTE_PGM_RSRC2:TGID_Y_EN: 0
; COMPUTE_PGM_RSRC2:TGID_Z_EN: 0
; COMPUTE_PGM_RSRC2:TIDIG_COMP_CNT: 0
	.section	.text._ZN7rocprim17ROCPRIM_400000_NS6detail17trampoline_kernelINS0_14default_configENS1_25transform_config_selectorIN6thrust23THRUST_200600_302600_NS5tupleIffNS6_9null_typeES8_S8_S8_S8_S8_S8_S8_EELb0EEEZNS1_14transform_implILb0ES3_SA_NS6_6detail15normal_iteratorINS6_10device_ptrIS9_EEEEPS9_NS0_8identityIS9_EEEE10hipError_tT2_T3_mT4_P12ihipStream_tbEUlT_E_NS1_11comp_targetILNS1_3genE10ELNS1_11target_archE1200ELNS1_3gpuE4ELNS1_3repE0EEENS1_30default_config_static_selectorELNS0_4arch9wavefront6targetE0EEEvT1_,"axG",@progbits,_ZN7rocprim17ROCPRIM_400000_NS6detail17trampoline_kernelINS0_14default_configENS1_25transform_config_selectorIN6thrust23THRUST_200600_302600_NS5tupleIffNS6_9null_typeES8_S8_S8_S8_S8_S8_S8_EELb0EEEZNS1_14transform_implILb0ES3_SA_NS6_6detail15normal_iteratorINS6_10device_ptrIS9_EEEEPS9_NS0_8identityIS9_EEEE10hipError_tT2_T3_mT4_P12ihipStream_tbEUlT_E_NS1_11comp_targetILNS1_3genE10ELNS1_11target_archE1200ELNS1_3gpuE4ELNS1_3repE0EEENS1_30default_config_static_selectorELNS0_4arch9wavefront6targetE0EEEvT1_,comdat
	.protected	_ZN7rocprim17ROCPRIM_400000_NS6detail17trampoline_kernelINS0_14default_configENS1_25transform_config_selectorIN6thrust23THRUST_200600_302600_NS5tupleIffNS6_9null_typeES8_S8_S8_S8_S8_S8_S8_EELb0EEEZNS1_14transform_implILb0ES3_SA_NS6_6detail15normal_iteratorINS6_10device_ptrIS9_EEEEPS9_NS0_8identityIS9_EEEE10hipError_tT2_T3_mT4_P12ihipStream_tbEUlT_E_NS1_11comp_targetILNS1_3genE10ELNS1_11target_archE1200ELNS1_3gpuE4ELNS1_3repE0EEENS1_30default_config_static_selectorELNS0_4arch9wavefront6targetE0EEEvT1_ ; -- Begin function _ZN7rocprim17ROCPRIM_400000_NS6detail17trampoline_kernelINS0_14default_configENS1_25transform_config_selectorIN6thrust23THRUST_200600_302600_NS5tupleIffNS6_9null_typeES8_S8_S8_S8_S8_S8_S8_EELb0EEEZNS1_14transform_implILb0ES3_SA_NS6_6detail15normal_iteratorINS6_10device_ptrIS9_EEEEPS9_NS0_8identityIS9_EEEE10hipError_tT2_T3_mT4_P12ihipStream_tbEUlT_E_NS1_11comp_targetILNS1_3genE10ELNS1_11target_archE1200ELNS1_3gpuE4ELNS1_3repE0EEENS1_30default_config_static_selectorELNS0_4arch9wavefront6targetE0EEEvT1_
	.globl	_ZN7rocprim17ROCPRIM_400000_NS6detail17trampoline_kernelINS0_14default_configENS1_25transform_config_selectorIN6thrust23THRUST_200600_302600_NS5tupleIffNS6_9null_typeES8_S8_S8_S8_S8_S8_S8_EELb0EEEZNS1_14transform_implILb0ES3_SA_NS6_6detail15normal_iteratorINS6_10device_ptrIS9_EEEEPS9_NS0_8identityIS9_EEEE10hipError_tT2_T3_mT4_P12ihipStream_tbEUlT_E_NS1_11comp_targetILNS1_3genE10ELNS1_11target_archE1200ELNS1_3gpuE4ELNS1_3repE0EEENS1_30default_config_static_selectorELNS0_4arch9wavefront6targetE0EEEvT1_
	.p2align	8
	.type	_ZN7rocprim17ROCPRIM_400000_NS6detail17trampoline_kernelINS0_14default_configENS1_25transform_config_selectorIN6thrust23THRUST_200600_302600_NS5tupleIffNS6_9null_typeES8_S8_S8_S8_S8_S8_S8_EELb0EEEZNS1_14transform_implILb0ES3_SA_NS6_6detail15normal_iteratorINS6_10device_ptrIS9_EEEEPS9_NS0_8identityIS9_EEEE10hipError_tT2_T3_mT4_P12ihipStream_tbEUlT_E_NS1_11comp_targetILNS1_3genE10ELNS1_11target_archE1200ELNS1_3gpuE4ELNS1_3repE0EEENS1_30default_config_static_selectorELNS0_4arch9wavefront6targetE0EEEvT1_,@function
_ZN7rocprim17ROCPRIM_400000_NS6detail17trampoline_kernelINS0_14default_configENS1_25transform_config_selectorIN6thrust23THRUST_200600_302600_NS5tupleIffNS6_9null_typeES8_S8_S8_S8_S8_S8_S8_EELb0EEEZNS1_14transform_implILb0ES3_SA_NS6_6detail15normal_iteratorINS6_10device_ptrIS9_EEEEPS9_NS0_8identityIS9_EEEE10hipError_tT2_T3_mT4_P12ihipStream_tbEUlT_E_NS1_11comp_targetILNS1_3genE10ELNS1_11target_archE1200ELNS1_3gpuE4ELNS1_3repE0EEENS1_30default_config_static_selectorELNS0_4arch9wavefront6targetE0EEEvT1_: ; @_ZN7rocprim17ROCPRIM_400000_NS6detail17trampoline_kernelINS0_14default_configENS1_25transform_config_selectorIN6thrust23THRUST_200600_302600_NS5tupleIffNS6_9null_typeES8_S8_S8_S8_S8_S8_S8_EELb0EEEZNS1_14transform_implILb0ES3_SA_NS6_6detail15normal_iteratorINS6_10device_ptrIS9_EEEEPS9_NS0_8identityIS9_EEEE10hipError_tT2_T3_mT4_P12ihipStream_tbEUlT_E_NS1_11comp_targetILNS1_3genE10ELNS1_11target_archE1200ELNS1_3gpuE4ELNS1_3repE0EEENS1_30default_config_static_selectorELNS0_4arch9wavefront6targetE0EEEvT1_
; %bb.0:
	.section	.rodata,"a",@progbits
	.p2align	6, 0x0
	.amdhsa_kernel _ZN7rocprim17ROCPRIM_400000_NS6detail17trampoline_kernelINS0_14default_configENS1_25transform_config_selectorIN6thrust23THRUST_200600_302600_NS5tupleIffNS6_9null_typeES8_S8_S8_S8_S8_S8_S8_EELb0EEEZNS1_14transform_implILb0ES3_SA_NS6_6detail15normal_iteratorINS6_10device_ptrIS9_EEEEPS9_NS0_8identityIS9_EEEE10hipError_tT2_T3_mT4_P12ihipStream_tbEUlT_E_NS1_11comp_targetILNS1_3genE10ELNS1_11target_archE1200ELNS1_3gpuE4ELNS1_3repE0EEENS1_30default_config_static_selectorELNS0_4arch9wavefront6targetE0EEEvT1_
		.amdhsa_group_segment_fixed_size 0
		.amdhsa_private_segment_fixed_size 0
		.amdhsa_kernarg_size 40
		.amdhsa_user_sgpr_count 6
		.amdhsa_user_sgpr_private_segment_buffer 1
		.amdhsa_user_sgpr_dispatch_ptr 0
		.amdhsa_user_sgpr_queue_ptr 0
		.amdhsa_user_sgpr_kernarg_segment_ptr 1
		.amdhsa_user_sgpr_dispatch_id 0
		.amdhsa_user_sgpr_flat_scratch_init 0
		.amdhsa_user_sgpr_private_segment_size 0
		.amdhsa_wavefront_size32 1
		.amdhsa_uses_dynamic_stack 0
		.amdhsa_system_sgpr_private_segment_wavefront_offset 0
		.amdhsa_system_sgpr_workgroup_id_x 1
		.amdhsa_system_sgpr_workgroup_id_y 0
		.amdhsa_system_sgpr_workgroup_id_z 0
		.amdhsa_system_sgpr_workgroup_info 0
		.amdhsa_system_vgpr_workitem_id 0
		.amdhsa_next_free_vgpr 1
		.amdhsa_next_free_sgpr 1
		.amdhsa_reserve_vcc 0
		.amdhsa_reserve_flat_scratch 0
		.amdhsa_float_round_mode_32 0
		.amdhsa_float_round_mode_16_64 0
		.amdhsa_float_denorm_mode_32 3
		.amdhsa_float_denorm_mode_16_64 3
		.amdhsa_dx10_clamp 1
		.amdhsa_ieee_mode 1
		.amdhsa_fp16_overflow 0
		.amdhsa_workgroup_processor_mode 1
		.amdhsa_memory_ordered 1
		.amdhsa_forward_progress 1
		.amdhsa_shared_vgpr_count 0
		.amdhsa_exception_fp_ieee_invalid_op 0
		.amdhsa_exception_fp_denorm_src 0
		.amdhsa_exception_fp_ieee_div_zero 0
		.amdhsa_exception_fp_ieee_overflow 0
		.amdhsa_exception_fp_ieee_underflow 0
		.amdhsa_exception_fp_ieee_inexact 0
		.amdhsa_exception_int_div_zero 0
	.end_amdhsa_kernel
	.section	.text._ZN7rocprim17ROCPRIM_400000_NS6detail17trampoline_kernelINS0_14default_configENS1_25transform_config_selectorIN6thrust23THRUST_200600_302600_NS5tupleIffNS6_9null_typeES8_S8_S8_S8_S8_S8_S8_EELb0EEEZNS1_14transform_implILb0ES3_SA_NS6_6detail15normal_iteratorINS6_10device_ptrIS9_EEEEPS9_NS0_8identityIS9_EEEE10hipError_tT2_T3_mT4_P12ihipStream_tbEUlT_E_NS1_11comp_targetILNS1_3genE10ELNS1_11target_archE1200ELNS1_3gpuE4ELNS1_3repE0EEENS1_30default_config_static_selectorELNS0_4arch9wavefront6targetE0EEEvT1_,"axG",@progbits,_ZN7rocprim17ROCPRIM_400000_NS6detail17trampoline_kernelINS0_14default_configENS1_25transform_config_selectorIN6thrust23THRUST_200600_302600_NS5tupleIffNS6_9null_typeES8_S8_S8_S8_S8_S8_S8_EELb0EEEZNS1_14transform_implILb0ES3_SA_NS6_6detail15normal_iteratorINS6_10device_ptrIS9_EEEEPS9_NS0_8identityIS9_EEEE10hipError_tT2_T3_mT4_P12ihipStream_tbEUlT_E_NS1_11comp_targetILNS1_3genE10ELNS1_11target_archE1200ELNS1_3gpuE4ELNS1_3repE0EEENS1_30default_config_static_selectorELNS0_4arch9wavefront6targetE0EEEvT1_,comdat
.Lfunc_end172:
	.size	_ZN7rocprim17ROCPRIM_400000_NS6detail17trampoline_kernelINS0_14default_configENS1_25transform_config_selectorIN6thrust23THRUST_200600_302600_NS5tupleIffNS6_9null_typeES8_S8_S8_S8_S8_S8_S8_EELb0EEEZNS1_14transform_implILb0ES3_SA_NS6_6detail15normal_iteratorINS6_10device_ptrIS9_EEEEPS9_NS0_8identityIS9_EEEE10hipError_tT2_T3_mT4_P12ihipStream_tbEUlT_E_NS1_11comp_targetILNS1_3genE10ELNS1_11target_archE1200ELNS1_3gpuE4ELNS1_3repE0EEENS1_30default_config_static_selectorELNS0_4arch9wavefront6targetE0EEEvT1_, .Lfunc_end172-_ZN7rocprim17ROCPRIM_400000_NS6detail17trampoline_kernelINS0_14default_configENS1_25transform_config_selectorIN6thrust23THRUST_200600_302600_NS5tupleIffNS6_9null_typeES8_S8_S8_S8_S8_S8_S8_EELb0EEEZNS1_14transform_implILb0ES3_SA_NS6_6detail15normal_iteratorINS6_10device_ptrIS9_EEEEPS9_NS0_8identityIS9_EEEE10hipError_tT2_T3_mT4_P12ihipStream_tbEUlT_E_NS1_11comp_targetILNS1_3genE10ELNS1_11target_archE1200ELNS1_3gpuE4ELNS1_3repE0EEENS1_30default_config_static_selectorELNS0_4arch9wavefront6targetE0EEEvT1_
                                        ; -- End function
	.set _ZN7rocprim17ROCPRIM_400000_NS6detail17trampoline_kernelINS0_14default_configENS1_25transform_config_selectorIN6thrust23THRUST_200600_302600_NS5tupleIffNS6_9null_typeES8_S8_S8_S8_S8_S8_S8_EELb0EEEZNS1_14transform_implILb0ES3_SA_NS6_6detail15normal_iteratorINS6_10device_ptrIS9_EEEEPS9_NS0_8identityIS9_EEEE10hipError_tT2_T3_mT4_P12ihipStream_tbEUlT_E_NS1_11comp_targetILNS1_3genE10ELNS1_11target_archE1200ELNS1_3gpuE4ELNS1_3repE0EEENS1_30default_config_static_selectorELNS0_4arch9wavefront6targetE0EEEvT1_.num_vgpr, 0
	.set _ZN7rocprim17ROCPRIM_400000_NS6detail17trampoline_kernelINS0_14default_configENS1_25transform_config_selectorIN6thrust23THRUST_200600_302600_NS5tupleIffNS6_9null_typeES8_S8_S8_S8_S8_S8_S8_EELb0EEEZNS1_14transform_implILb0ES3_SA_NS6_6detail15normal_iteratorINS6_10device_ptrIS9_EEEEPS9_NS0_8identityIS9_EEEE10hipError_tT2_T3_mT4_P12ihipStream_tbEUlT_E_NS1_11comp_targetILNS1_3genE10ELNS1_11target_archE1200ELNS1_3gpuE4ELNS1_3repE0EEENS1_30default_config_static_selectorELNS0_4arch9wavefront6targetE0EEEvT1_.num_agpr, 0
	.set _ZN7rocprim17ROCPRIM_400000_NS6detail17trampoline_kernelINS0_14default_configENS1_25transform_config_selectorIN6thrust23THRUST_200600_302600_NS5tupleIffNS6_9null_typeES8_S8_S8_S8_S8_S8_S8_EELb0EEEZNS1_14transform_implILb0ES3_SA_NS6_6detail15normal_iteratorINS6_10device_ptrIS9_EEEEPS9_NS0_8identityIS9_EEEE10hipError_tT2_T3_mT4_P12ihipStream_tbEUlT_E_NS1_11comp_targetILNS1_3genE10ELNS1_11target_archE1200ELNS1_3gpuE4ELNS1_3repE0EEENS1_30default_config_static_selectorELNS0_4arch9wavefront6targetE0EEEvT1_.numbered_sgpr, 0
	.set _ZN7rocprim17ROCPRIM_400000_NS6detail17trampoline_kernelINS0_14default_configENS1_25transform_config_selectorIN6thrust23THRUST_200600_302600_NS5tupleIffNS6_9null_typeES8_S8_S8_S8_S8_S8_S8_EELb0EEEZNS1_14transform_implILb0ES3_SA_NS6_6detail15normal_iteratorINS6_10device_ptrIS9_EEEEPS9_NS0_8identityIS9_EEEE10hipError_tT2_T3_mT4_P12ihipStream_tbEUlT_E_NS1_11comp_targetILNS1_3genE10ELNS1_11target_archE1200ELNS1_3gpuE4ELNS1_3repE0EEENS1_30default_config_static_selectorELNS0_4arch9wavefront6targetE0EEEvT1_.num_named_barrier, 0
	.set _ZN7rocprim17ROCPRIM_400000_NS6detail17trampoline_kernelINS0_14default_configENS1_25transform_config_selectorIN6thrust23THRUST_200600_302600_NS5tupleIffNS6_9null_typeES8_S8_S8_S8_S8_S8_S8_EELb0EEEZNS1_14transform_implILb0ES3_SA_NS6_6detail15normal_iteratorINS6_10device_ptrIS9_EEEEPS9_NS0_8identityIS9_EEEE10hipError_tT2_T3_mT4_P12ihipStream_tbEUlT_E_NS1_11comp_targetILNS1_3genE10ELNS1_11target_archE1200ELNS1_3gpuE4ELNS1_3repE0EEENS1_30default_config_static_selectorELNS0_4arch9wavefront6targetE0EEEvT1_.private_seg_size, 0
	.set _ZN7rocprim17ROCPRIM_400000_NS6detail17trampoline_kernelINS0_14default_configENS1_25transform_config_selectorIN6thrust23THRUST_200600_302600_NS5tupleIffNS6_9null_typeES8_S8_S8_S8_S8_S8_S8_EELb0EEEZNS1_14transform_implILb0ES3_SA_NS6_6detail15normal_iteratorINS6_10device_ptrIS9_EEEEPS9_NS0_8identityIS9_EEEE10hipError_tT2_T3_mT4_P12ihipStream_tbEUlT_E_NS1_11comp_targetILNS1_3genE10ELNS1_11target_archE1200ELNS1_3gpuE4ELNS1_3repE0EEENS1_30default_config_static_selectorELNS0_4arch9wavefront6targetE0EEEvT1_.uses_vcc, 0
	.set _ZN7rocprim17ROCPRIM_400000_NS6detail17trampoline_kernelINS0_14default_configENS1_25transform_config_selectorIN6thrust23THRUST_200600_302600_NS5tupleIffNS6_9null_typeES8_S8_S8_S8_S8_S8_S8_EELb0EEEZNS1_14transform_implILb0ES3_SA_NS6_6detail15normal_iteratorINS6_10device_ptrIS9_EEEEPS9_NS0_8identityIS9_EEEE10hipError_tT2_T3_mT4_P12ihipStream_tbEUlT_E_NS1_11comp_targetILNS1_3genE10ELNS1_11target_archE1200ELNS1_3gpuE4ELNS1_3repE0EEENS1_30default_config_static_selectorELNS0_4arch9wavefront6targetE0EEEvT1_.uses_flat_scratch, 0
	.set _ZN7rocprim17ROCPRIM_400000_NS6detail17trampoline_kernelINS0_14default_configENS1_25transform_config_selectorIN6thrust23THRUST_200600_302600_NS5tupleIffNS6_9null_typeES8_S8_S8_S8_S8_S8_S8_EELb0EEEZNS1_14transform_implILb0ES3_SA_NS6_6detail15normal_iteratorINS6_10device_ptrIS9_EEEEPS9_NS0_8identityIS9_EEEE10hipError_tT2_T3_mT4_P12ihipStream_tbEUlT_E_NS1_11comp_targetILNS1_3genE10ELNS1_11target_archE1200ELNS1_3gpuE4ELNS1_3repE0EEENS1_30default_config_static_selectorELNS0_4arch9wavefront6targetE0EEEvT1_.has_dyn_sized_stack, 0
	.set _ZN7rocprim17ROCPRIM_400000_NS6detail17trampoline_kernelINS0_14default_configENS1_25transform_config_selectorIN6thrust23THRUST_200600_302600_NS5tupleIffNS6_9null_typeES8_S8_S8_S8_S8_S8_S8_EELb0EEEZNS1_14transform_implILb0ES3_SA_NS6_6detail15normal_iteratorINS6_10device_ptrIS9_EEEEPS9_NS0_8identityIS9_EEEE10hipError_tT2_T3_mT4_P12ihipStream_tbEUlT_E_NS1_11comp_targetILNS1_3genE10ELNS1_11target_archE1200ELNS1_3gpuE4ELNS1_3repE0EEENS1_30default_config_static_selectorELNS0_4arch9wavefront6targetE0EEEvT1_.has_recursion, 0
	.set _ZN7rocprim17ROCPRIM_400000_NS6detail17trampoline_kernelINS0_14default_configENS1_25transform_config_selectorIN6thrust23THRUST_200600_302600_NS5tupleIffNS6_9null_typeES8_S8_S8_S8_S8_S8_S8_EELb0EEEZNS1_14transform_implILb0ES3_SA_NS6_6detail15normal_iteratorINS6_10device_ptrIS9_EEEEPS9_NS0_8identityIS9_EEEE10hipError_tT2_T3_mT4_P12ihipStream_tbEUlT_E_NS1_11comp_targetILNS1_3genE10ELNS1_11target_archE1200ELNS1_3gpuE4ELNS1_3repE0EEENS1_30default_config_static_selectorELNS0_4arch9wavefront6targetE0EEEvT1_.has_indirect_call, 0
	.section	.AMDGPU.csdata,"",@progbits
; Kernel info:
; codeLenInByte = 0
; TotalNumSgprs: 0
; NumVgprs: 0
; ScratchSize: 0
; MemoryBound: 0
; FloatMode: 240
; IeeeMode: 1
; LDSByteSize: 0 bytes/workgroup (compile time only)
; SGPRBlocks: 0
; VGPRBlocks: 0
; NumSGPRsForWavesPerEU: 1
; NumVGPRsForWavesPerEU: 1
; Occupancy: 16
; WaveLimiterHint : 0
; COMPUTE_PGM_RSRC2:SCRATCH_EN: 0
; COMPUTE_PGM_RSRC2:USER_SGPR: 6
; COMPUTE_PGM_RSRC2:TRAP_HANDLER: 0
; COMPUTE_PGM_RSRC2:TGID_X_EN: 1
; COMPUTE_PGM_RSRC2:TGID_Y_EN: 0
; COMPUTE_PGM_RSRC2:TGID_Z_EN: 0
; COMPUTE_PGM_RSRC2:TIDIG_COMP_CNT: 0
	.section	.text._ZN7rocprim17ROCPRIM_400000_NS6detail17trampoline_kernelINS0_14default_configENS1_25transform_config_selectorIN6thrust23THRUST_200600_302600_NS5tupleIffNS6_9null_typeES8_S8_S8_S8_S8_S8_S8_EELb0EEEZNS1_14transform_implILb0ES3_SA_NS6_6detail15normal_iteratorINS6_10device_ptrIS9_EEEEPS9_NS0_8identityIS9_EEEE10hipError_tT2_T3_mT4_P12ihipStream_tbEUlT_E_NS1_11comp_targetILNS1_3genE9ELNS1_11target_archE1100ELNS1_3gpuE3ELNS1_3repE0EEENS1_30default_config_static_selectorELNS0_4arch9wavefront6targetE0EEEvT1_,"axG",@progbits,_ZN7rocprim17ROCPRIM_400000_NS6detail17trampoline_kernelINS0_14default_configENS1_25transform_config_selectorIN6thrust23THRUST_200600_302600_NS5tupleIffNS6_9null_typeES8_S8_S8_S8_S8_S8_S8_EELb0EEEZNS1_14transform_implILb0ES3_SA_NS6_6detail15normal_iteratorINS6_10device_ptrIS9_EEEEPS9_NS0_8identityIS9_EEEE10hipError_tT2_T3_mT4_P12ihipStream_tbEUlT_E_NS1_11comp_targetILNS1_3genE9ELNS1_11target_archE1100ELNS1_3gpuE3ELNS1_3repE0EEENS1_30default_config_static_selectorELNS0_4arch9wavefront6targetE0EEEvT1_,comdat
	.protected	_ZN7rocprim17ROCPRIM_400000_NS6detail17trampoline_kernelINS0_14default_configENS1_25transform_config_selectorIN6thrust23THRUST_200600_302600_NS5tupleIffNS6_9null_typeES8_S8_S8_S8_S8_S8_S8_EELb0EEEZNS1_14transform_implILb0ES3_SA_NS6_6detail15normal_iteratorINS6_10device_ptrIS9_EEEEPS9_NS0_8identityIS9_EEEE10hipError_tT2_T3_mT4_P12ihipStream_tbEUlT_E_NS1_11comp_targetILNS1_3genE9ELNS1_11target_archE1100ELNS1_3gpuE3ELNS1_3repE0EEENS1_30default_config_static_selectorELNS0_4arch9wavefront6targetE0EEEvT1_ ; -- Begin function _ZN7rocprim17ROCPRIM_400000_NS6detail17trampoline_kernelINS0_14default_configENS1_25transform_config_selectorIN6thrust23THRUST_200600_302600_NS5tupleIffNS6_9null_typeES8_S8_S8_S8_S8_S8_S8_EELb0EEEZNS1_14transform_implILb0ES3_SA_NS6_6detail15normal_iteratorINS6_10device_ptrIS9_EEEEPS9_NS0_8identityIS9_EEEE10hipError_tT2_T3_mT4_P12ihipStream_tbEUlT_E_NS1_11comp_targetILNS1_3genE9ELNS1_11target_archE1100ELNS1_3gpuE3ELNS1_3repE0EEENS1_30default_config_static_selectorELNS0_4arch9wavefront6targetE0EEEvT1_
	.globl	_ZN7rocprim17ROCPRIM_400000_NS6detail17trampoline_kernelINS0_14default_configENS1_25transform_config_selectorIN6thrust23THRUST_200600_302600_NS5tupleIffNS6_9null_typeES8_S8_S8_S8_S8_S8_S8_EELb0EEEZNS1_14transform_implILb0ES3_SA_NS6_6detail15normal_iteratorINS6_10device_ptrIS9_EEEEPS9_NS0_8identityIS9_EEEE10hipError_tT2_T3_mT4_P12ihipStream_tbEUlT_E_NS1_11comp_targetILNS1_3genE9ELNS1_11target_archE1100ELNS1_3gpuE3ELNS1_3repE0EEENS1_30default_config_static_selectorELNS0_4arch9wavefront6targetE0EEEvT1_
	.p2align	8
	.type	_ZN7rocprim17ROCPRIM_400000_NS6detail17trampoline_kernelINS0_14default_configENS1_25transform_config_selectorIN6thrust23THRUST_200600_302600_NS5tupleIffNS6_9null_typeES8_S8_S8_S8_S8_S8_S8_EELb0EEEZNS1_14transform_implILb0ES3_SA_NS6_6detail15normal_iteratorINS6_10device_ptrIS9_EEEEPS9_NS0_8identityIS9_EEEE10hipError_tT2_T3_mT4_P12ihipStream_tbEUlT_E_NS1_11comp_targetILNS1_3genE9ELNS1_11target_archE1100ELNS1_3gpuE3ELNS1_3repE0EEENS1_30default_config_static_selectorELNS0_4arch9wavefront6targetE0EEEvT1_,@function
_ZN7rocprim17ROCPRIM_400000_NS6detail17trampoline_kernelINS0_14default_configENS1_25transform_config_selectorIN6thrust23THRUST_200600_302600_NS5tupleIffNS6_9null_typeES8_S8_S8_S8_S8_S8_S8_EELb0EEEZNS1_14transform_implILb0ES3_SA_NS6_6detail15normal_iteratorINS6_10device_ptrIS9_EEEEPS9_NS0_8identityIS9_EEEE10hipError_tT2_T3_mT4_P12ihipStream_tbEUlT_E_NS1_11comp_targetILNS1_3genE9ELNS1_11target_archE1100ELNS1_3gpuE3ELNS1_3repE0EEENS1_30default_config_static_selectorELNS0_4arch9wavefront6targetE0EEEvT1_: ; @_ZN7rocprim17ROCPRIM_400000_NS6detail17trampoline_kernelINS0_14default_configENS1_25transform_config_selectorIN6thrust23THRUST_200600_302600_NS5tupleIffNS6_9null_typeES8_S8_S8_S8_S8_S8_S8_EELb0EEEZNS1_14transform_implILb0ES3_SA_NS6_6detail15normal_iteratorINS6_10device_ptrIS9_EEEEPS9_NS0_8identityIS9_EEEE10hipError_tT2_T3_mT4_P12ihipStream_tbEUlT_E_NS1_11comp_targetILNS1_3genE9ELNS1_11target_archE1100ELNS1_3gpuE3ELNS1_3repE0EEENS1_30default_config_static_selectorELNS0_4arch9wavefront6targetE0EEEvT1_
; %bb.0:
	.section	.rodata,"a",@progbits
	.p2align	6, 0x0
	.amdhsa_kernel _ZN7rocprim17ROCPRIM_400000_NS6detail17trampoline_kernelINS0_14default_configENS1_25transform_config_selectorIN6thrust23THRUST_200600_302600_NS5tupleIffNS6_9null_typeES8_S8_S8_S8_S8_S8_S8_EELb0EEEZNS1_14transform_implILb0ES3_SA_NS6_6detail15normal_iteratorINS6_10device_ptrIS9_EEEEPS9_NS0_8identityIS9_EEEE10hipError_tT2_T3_mT4_P12ihipStream_tbEUlT_E_NS1_11comp_targetILNS1_3genE9ELNS1_11target_archE1100ELNS1_3gpuE3ELNS1_3repE0EEENS1_30default_config_static_selectorELNS0_4arch9wavefront6targetE0EEEvT1_
		.amdhsa_group_segment_fixed_size 0
		.amdhsa_private_segment_fixed_size 0
		.amdhsa_kernarg_size 40
		.amdhsa_user_sgpr_count 6
		.amdhsa_user_sgpr_private_segment_buffer 1
		.amdhsa_user_sgpr_dispatch_ptr 0
		.amdhsa_user_sgpr_queue_ptr 0
		.amdhsa_user_sgpr_kernarg_segment_ptr 1
		.amdhsa_user_sgpr_dispatch_id 0
		.amdhsa_user_sgpr_flat_scratch_init 0
		.amdhsa_user_sgpr_private_segment_size 0
		.amdhsa_wavefront_size32 1
		.amdhsa_uses_dynamic_stack 0
		.amdhsa_system_sgpr_private_segment_wavefront_offset 0
		.amdhsa_system_sgpr_workgroup_id_x 1
		.amdhsa_system_sgpr_workgroup_id_y 0
		.amdhsa_system_sgpr_workgroup_id_z 0
		.amdhsa_system_sgpr_workgroup_info 0
		.amdhsa_system_vgpr_workitem_id 0
		.amdhsa_next_free_vgpr 1
		.amdhsa_next_free_sgpr 1
		.amdhsa_reserve_vcc 0
		.amdhsa_reserve_flat_scratch 0
		.amdhsa_float_round_mode_32 0
		.amdhsa_float_round_mode_16_64 0
		.amdhsa_float_denorm_mode_32 3
		.amdhsa_float_denorm_mode_16_64 3
		.amdhsa_dx10_clamp 1
		.amdhsa_ieee_mode 1
		.amdhsa_fp16_overflow 0
		.amdhsa_workgroup_processor_mode 1
		.amdhsa_memory_ordered 1
		.amdhsa_forward_progress 1
		.amdhsa_shared_vgpr_count 0
		.amdhsa_exception_fp_ieee_invalid_op 0
		.amdhsa_exception_fp_denorm_src 0
		.amdhsa_exception_fp_ieee_div_zero 0
		.amdhsa_exception_fp_ieee_overflow 0
		.amdhsa_exception_fp_ieee_underflow 0
		.amdhsa_exception_fp_ieee_inexact 0
		.amdhsa_exception_int_div_zero 0
	.end_amdhsa_kernel
	.section	.text._ZN7rocprim17ROCPRIM_400000_NS6detail17trampoline_kernelINS0_14default_configENS1_25transform_config_selectorIN6thrust23THRUST_200600_302600_NS5tupleIffNS6_9null_typeES8_S8_S8_S8_S8_S8_S8_EELb0EEEZNS1_14transform_implILb0ES3_SA_NS6_6detail15normal_iteratorINS6_10device_ptrIS9_EEEEPS9_NS0_8identityIS9_EEEE10hipError_tT2_T3_mT4_P12ihipStream_tbEUlT_E_NS1_11comp_targetILNS1_3genE9ELNS1_11target_archE1100ELNS1_3gpuE3ELNS1_3repE0EEENS1_30default_config_static_selectorELNS0_4arch9wavefront6targetE0EEEvT1_,"axG",@progbits,_ZN7rocprim17ROCPRIM_400000_NS6detail17trampoline_kernelINS0_14default_configENS1_25transform_config_selectorIN6thrust23THRUST_200600_302600_NS5tupleIffNS6_9null_typeES8_S8_S8_S8_S8_S8_S8_EELb0EEEZNS1_14transform_implILb0ES3_SA_NS6_6detail15normal_iteratorINS6_10device_ptrIS9_EEEEPS9_NS0_8identityIS9_EEEE10hipError_tT2_T3_mT4_P12ihipStream_tbEUlT_E_NS1_11comp_targetILNS1_3genE9ELNS1_11target_archE1100ELNS1_3gpuE3ELNS1_3repE0EEENS1_30default_config_static_selectorELNS0_4arch9wavefront6targetE0EEEvT1_,comdat
.Lfunc_end173:
	.size	_ZN7rocprim17ROCPRIM_400000_NS6detail17trampoline_kernelINS0_14default_configENS1_25transform_config_selectorIN6thrust23THRUST_200600_302600_NS5tupleIffNS6_9null_typeES8_S8_S8_S8_S8_S8_S8_EELb0EEEZNS1_14transform_implILb0ES3_SA_NS6_6detail15normal_iteratorINS6_10device_ptrIS9_EEEEPS9_NS0_8identityIS9_EEEE10hipError_tT2_T3_mT4_P12ihipStream_tbEUlT_E_NS1_11comp_targetILNS1_3genE9ELNS1_11target_archE1100ELNS1_3gpuE3ELNS1_3repE0EEENS1_30default_config_static_selectorELNS0_4arch9wavefront6targetE0EEEvT1_, .Lfunc_end173-_ZN7rocprim17ROCPRIM_400000_NS6detail17trampoline_kernelINS0_14default_configENS1_25transform_config_selectorIN6thrust23THRUST_200600_302600_NS5tupleIffNS6_9null_typeES8_S8_S8_S8_S8_S8_S8_EELb0EEEZNS1_14transform_implILb0ES3_SA_NS6_6detail15normal_iteratorINS6_10device_ptrIS9_EEEEPS9_NS0_8identityIS9_EEEE10hipError_tT2_T3_mT4_P12ihipStream_tbEUlT_E_NS1_11comp_targetILNS1_3genE9ELNS1_11target_archE1100ELNS1_3gpuE3ELNS1_3repE0EEENS1_30default_config_static_selectorELNS0_4arch9wavefront6targetE0EEEvT1_
                                        ; -- End function
	.set _ZN7rocprim17ROCPRIM_400000_NS6detail17trampoline_kernelINS0_14default_configENS1_25transform_config_selectorIN6thrust23THRUST_200600_302600_NS5tupleIffNS6_9null_typeES8_S8_S8_S8_S8_S8_S8_EELb0EEEZNS1_14transform_implILb0ES3_SA_NS6_6detail15normal_iteratorINS6_10device_ptrIS9_EEEEPS9_NS0_8identityIS9_EEEE10hipError_tT2_T3_mT4_P12ihipStream_tbEUlT_E_NS1_11comp_targetILNS1_3genE9ELNS1_11target_archE1100ELNS1_3gpuE3ELNS1_3repE0EEENS1_30default_config_static_selectorELNS0_4arch9wavefront6targetE0EEEvT1_.num_vgpr, 0
	.set _ZN7rocprim17ROCPRIM_400000_NS6detail17trampoline_kernelINS0_14default_configENS1_25transform_config_selectorIN6thrust23THRUST_200600_302600_NS5tupleIffNS6_9null_typeES8_S8_S8_S8_S8_S8_S8_EELb0EEEZNS1_14transform_implILb0ES3_SA_NS6_6detail15normal_iteratorINS6_10device_ptrIS9_EEEEPS9_NS0_8identityIS9_EEEE10hipError_tT2_T3_mT4_P12ihipStream_tbEUlT_E_NS1_11comp_targetILNS1_3genE9ELNS1_11target_archE1100ELNS1_3gpuE3ELNS1_3repE0EEENS1_30default_config_static_selectorELNS0_4arch9wavefront6targetE0EEEvT1_.num_agpr, 0
	.set _ZN7rocprim17ROCPRIM_400000_NS6detail17trampoline_kernelINS0_14default_configENS1_25transform_config_selectorIN6thrust23THRUST_200600_302600_NS5tupleIffNS6_9null_typeES8_S8_S8_S8_S8_S8_S8_EELb0EEEZNS1_14transform_implILb0ES3_SA_NS6_6detail15normal_iteratorINS6_10device_ptrIS9_EEEEPS9_NS0_8identityIS9_EEEE10hipError_tT2_T3_mT4_P12ihipStream_tbEUlT_E_NS1_11comp_targetILNS1_3genE9ELNS1_11target_archE1100ELNS1_3gpuE3ELNS1_3repE0EEENS1_30default_config_static_selectorELNS0_4arch9wavefront6targetE0EEEvT1_.numbered_sgpr, 0
	.set _ZN7rocprim17ROCPRIM_400000_NS6detail17trampoline_kernelINS0_14default_configENS1_25transform_config_selectorIN6thrust23THRUST_200600_302600_NS5tupleIffNS6_9null_typeES8_S8_S8_S8_S8_S8_S8_EELb0EEEZNS1_14transform_implILb0ES3_SA_NS6_6detail15normal_iteratorINS6_10device_ptrIS9_EEEEPS9_NS0_8identityIS9_EEEE10hipError_tT2_T3_mT4_P12ihipStream_tbEUlT_E_NS1_11comp_targetILNS1_3genE9ELNS1_11target_archE1100ELNS1_3gpuE3ELNS1_3repE0EEENS1_30default_config_static_selectorELNS0_4arch9wavefront6targetE0EEEvT1_.num_named_barrier, 0
	.set _ZN7rocprim17ROCPRIM_400000_NS6detail17trampoline_kernelINS0_14default_configENS1_25transform_config_selectorIN6thrust23THRUST_200600_302600_NS5tupleIffNS6_9null_typeES8_S8_S8_S8_S8_S8_S8_EELb0EEEZNS1_14transform_implILb0ES3_SA_NS6_6detail15normal_iteratorINS6_10device_ptrIS9_EEEEPS9_NS0_8identityIS9_EEEE10hipError_tT2_T3_mT4_P12ihipStream_tbEUlT_E_NS1_11comp_targetILNS1_3genE9ELNS1_11target_archE1100ELNS1_3gpuE3ELNS1_3repE0EEENS1_30default_config_static_selectorELNS0_4arch9wavefront6targetE0EEEvT1_.private_seg_size, 0
	.set _ZN7rocprim17ROCPRIM_400000_NS6detail17trampoline_kernelINS0_14default_configENS1_25transform_config_selectorIN6thrust23THRUST_200600_302600_NS5tupleIffNS6_9null_typeES8_S8_S8_S8_S8_S8_S8_EELb0EEEZNS1_14transform_implILb0ES3_SA_NS6_6detail15normal_iteratorINS6_10device_ptrIS9_EEEEPS9_NS0_8identityIS9_EEEE10hipError_tT2_T3_mT4_P12ihipStream_tbEUlT_E_NS1_11comp_targetILNS1_3genE9ELNS1_11target_archE1100ELNS1_3gpuE3ELNS1_3repE0EEENS1_30default_config_static_selectorELNS0_4arch9wavefront6targetE0EEEvT1_.uses_vcc, 0
	.set _ZN7rocprim17ROCPRIM_400000_NS6detail17trampoline_kernelINS0_14default_configENS1_25transform_config_selectorIN6thrust23THRUST_200600_302600_NS5tupleIffNS6_9null_typeES8_S8_S8_S8_S8_S8_S8_EELb0EEEZNS1_14transform_implILb0ES3_SA_NS6_6detail15normal_iteratorINS6_10device_ptrIS9_EEEEPS9_NS0_8identityIS9_EEEE10hipError_tT2_T3_mT4_P12ihipStream_tbEUlT_E_NS1_11comp_targetILNS1_3genE9ELNS1_11target_archE1100ELNS1_3gpuE3ELNS1_3repE0EEENS1_30default_config_static_selectorELNS0_4arch9wavefront6targetE0EEEvT1_.uses_flat_scratch, 0
	.set _ZN7rocprim17ROCPRIM_400000_NS6detail17trampoline_kernelINS0_14default_configENS1_25transform_config_selectorIN6thrust23THRUST_200600_302600_NS5tupleIffNS6_9null_typeES8_S8_S8_S8_S8_S8_S8_EELb0EEEZNS1_14transform_implILb0ES3_SA_NS6_6detail15normal_iteratorINS6_10device_ptrIS9_EEEEPS9_NS0_8identityIS9_EEEE10hipError_tT2_T3_mT4_P12ihipStream_tbEUlT_E_NS1_11comp_targetILNS1_3genE9ELNS1_11target_archE1100ELNS1_3gpuE3ELNS1_3repE0EEENS1_30default_config_static_selectorELNS0_4arch9wavefront6targetE0EEEvT1_.has_dyn_sized_stack, 0
	.set _ZN7rocprim17ROCPRIM_400000_NS6detail17trampoline_kernelINS0_14default_configENS1_25transform_config_selectorIN6thrust23THRUST_200600_302600_NS5tupleIffNS6_9null_typeES8_S8_S8_S8_S8_S8_S8_EELb0EEEZNS1_14transform_implILb0ES3_SA_NS6_6detail15normal_iteratorINS6_10device_ptrIS9_EEEEPS9_NS0_8identityIS9_EEEE10hipError_tT2_T3_mT4_P12ihipStream_tbEUlT_E_NS1_11comp_targetILNS1_3genE9ELNS1_11target_archE1100ELNS1_3gpuE3ELNS1_3repE0EEENS1_30default_config_static_selectorELNS0_4arch9wavefront6targetE0EEEvT1_.has_recursion, 0
	.set _ZN7rocprim17ROCPRIM_400000_NS6detail17trampoline_kernelINS0_14default_configENS1_25transform_config_selectorIN6thrust23THRUST_200600_302600_NS5tupleIffNS6_9null_typeES8_S8_S8_S8_S8_S8_S8_EELb0EEEZNS1_14transform_implILb0ES3_SA_NS6_6detail15normal_iteratorINS6_10device_ptrIS9_EEEEPS9_NS0_8identityIS9_EEEE10hipError_tT2_T3_mT4_P12ihipStream_tbEUlT_E_NS1_11comp_targetILNS1_3genE9ELNS1_11target_archE1100ELNS1_3gpuE3ELNS1_3repE0EEENS1_30default_config_static_selectorELNS0_4arch9wavefront6targetE0EEEvT1_.has_indirect_call, 0
	.section	.AMDGPU.csdata,"",@progbits
; Kernel info:
; codeLenInByte = 0
; TotalNumSgprs: 0
; NumVgprs: 0
; ScratchSize: 0
; MemoryBound: 0
; FloatMode: 240
; IeeeMode: 1
; LDSByteSize: 0 bytes/workgroup (compile time only)
; SGPRBlocks: 0
; VGPRBlocks: 0
; NumSGPRsForWavesPerEU: 1
; NumVGPRsForWavesPerEU: 1
; Occupancy: 16
; WaveLimiterHint : 0
; COMPUTE_PGM_RSRC2:SCRATCH_EN: 0
; COMPUTE_PGM_RSRC2:USER_SGPR: 6
; COMPUTE_PGM_RSRC2:TRAP_HANDLER: 0
; COMPUTE_PGM_RSRC2:TGID_X_EN: 1
; COMPUTE_PGM_RSRC2:TGID_Y_EN: 0
; COMPUTE_PGM_RSRC2:TGID_Z_EN: 0
; COMPUTE_PGM_RSRC2:TIDIG_COMP_CNT: 0
	.section	.text._ZN7rocprim17ROCPRIM_400000_NS6detail17trampoline_kernelINS0_14default_configENS1_25transform_config_selectorIN6thrust23THRUST_200600_302600_NS5tupleIffNS6_9null_typeES8_S8_S8_S8_S8_S8_S8_EELb0EEEZNS1_14transform_implILb0ES3_SA_NS6_6detail15normal_iteratorINS6_10device_ptrIS9_EEEEPS9_NS0_8identityIS9_EEEE10hipError_tT2_T3_mT4_P12ihipStream_tbEUlT_E_NS1_11comp_targetILNS1_3genE8ELNS1_11target_archE1030ELNS1_3gpuE2ELNS1_3repE0EEENS1_30default_config_static_selectorELNS0_4arch9wavefront6targetE0EEEvT1_,"axG",@progbits,_ZN7rocprim17ROCPRIM_400000_NS6detail17trampoline_kernelINS0_14default_configENS1_25transform_config_selectorIN6thrust23THRUST_200600_302600_NS5tupleIffNS6_9null_typeES8_S8_S8_S8_S8_S8_S8_EELb0EEEZNS1_14transform_implILb0ES3_SA_NS6_6detail15normal_iteratorINS6_10device_ptrIS9_EEEEPS9_NS0_8identityIS9_EEEE10hipError_tT2_T3_mT4_P12ihipStream_tbEUlT_E_NS1_11comp_targetILNS1_3genE8ELNS1_11target_archE1030ELNS1_3gpuE2ELNS1_3repE0EEENS1_30default_config_static_selectorELNS0_4arch9wavefront6targetE0EEEvT1_,comdat
	.protected	_ZN7rocprim17ROCPRIM_400000_NS6detail17trampoline_kernelINS0_14default_configENS1_25transform_config_selectorIN6thrust23THRUST_200600_302600_NS5tupleIffNS6_9null_typeES8_S8_S8_S8_S8_S8_S8_EELb0EEEZNS1_14transform_implILb0ES3_SA_NS6_6detail15normal_iteratorINS6_10device_ptrIS9_EEEEPS9_NS0_8identityIS9_EEEE10hipError_tT2_T3_mT4_P12ihipStream_tbEUlT_E_NS1_11comp_targetILNS1_3genE8ELNS1_11target_archE1030ELNS1_3gpuE2ELNS1_3repE0EEENS1_30default_config_static_selectorELNS0_4arch9wavefront6targetE0EEEvT1_ ; -- Begin function _ZN7rocprim17ROCPRIM_400000_NS6detail17trampoline_kernelINS0_14default_configENS1_25transform_config_selectorIN6thrust23THRUST_200600_302600_NS5tupleIffNS6_9null_typeES8_S8_S8_S8_S8_S8_S8_EELb0EEEZNS1_14transform_implILb0ES3_SA_NS6_6detail15normal_iteratorINS6_10device_ptrIS9_EEEEPS9_NS0_8identityIS9_EEEE10hipError_tT2_T3_mT4_P12ihipStream_tbEUlT_E_NS1_11comp_targetILNS1_3genE8ELNS1_11target_archE1030ELNS1_3gpuE2ELNS1_3repE0EEENS1_30default_config_static_selectorELNS0_4arch9wavefront6targetE0EEEvT1_
	.globl	_ZN7rocprim17ROCPRIM_400000_NS6detail17trampoline_kernelINS0_14default_configENS1_25transform_config_selectorIN6thrust23THRUST_200600_302600_NS5tupleIffNS6_9null_typeES8_S8_S8_S8_S8_S8_S8_EELb0EEEZNS1_14transform_implILb0ES3_SA_NS6_6detail15normal_iteratorINS6_10device_ptrIS9_EEEEPS9_NS0_8identityIS9_EEEE10hipError_tT2_T3_mT4_P12ihipStream_tbEUlT_E_NS1_11comp_targetILNS1_3genE8ELNS1_11target_archE1030ELNS1_3gpuE2ELNS1_3repE0EEENS1_30default_config_static_selectorELNS0_4arch9wavefront6targetE0EEEvT1_
	.p2align	8
	.type	_ZN7rocprim17ROCPRIM_400000_NS6detail17trampoline_kernelINS0_14default_configENS1_25transform_config_selectorIN6thrust23THRUST_200600_302600_NS5tupleIffNS6_9null_typeES8_S8_S8_S8_S8_S8_S8_EELb0EEEZNS1_14transform_implILb0ES3_SA_NS6_6detail15normal_iteratorINS6_10device_ptrIS9_EEEEPS9_NS0_8identityIS9_EEEE10hipError_tT2_T3_mT4_P12ihipStream_tbEUlT_E_NS1_11comp_targetILNS1_3genE8ELNS1_11target_archE1030ELNS1_3gpuE2ELNS1_3repE0EEENS1_30default_config_static_selectorELNS0_4arch9wavefront6targetE0EEEvT1_,@function
_ZN7rocprim17ROCPRIM_400000_NS6detail17trampoline_kernelINS0_14default_configENS1_25transform_config_selectorIN6thrust23THRUST_200600_302600_NS5tupleIffNS6_9null_typeES8_S8_S8_S8_S8_S8_S8_EELb0EEEZNS1_14transform_implILb0ES3_SA_NS6_6detail15normal_iteratorINS6_10device_ptrIS9_EEEEPS9_NS0_8identityIS9_EEEE10hipError_tT2_T3_mT4_P12ihipStream_tbEUlT_E_NS1_11comp_targetILNS1_3genE8ELNS1_11target_archE1030ELNS1_3gpuE2ELNS1_3repE0EEENS1_30default_config_static_selectorELNS0_4arch9wavefront6targetE0EEEvT1_: ; @_ZN7rocprim17ROCPRIM_400000_NS6detail17trampoline_kernelINS0_14default_configENS1_25transform_config_selectorIN6thrust23THRUST_200600_302600_NS5tupleIffNS6_9null_typeES8_S8_S8_S8_S8_S8_S8_EELb0EEEZNS1_14transform_implILb0ES3_SA_NS6_6detail15normal_iteratorINS6_10device_ptrIS9_EEEEPS9_NS0_8identityIS9_EEEE10hipError_tT2_T3_mT4_P12ihipStream_tbEUlT_E_NS1_11comp_targetILNS1_3genE8ELNS1_11target_archE1030ELNS1_3gpuE2ELNS1_3repE0EEENS1_30default_config_static_selectorELNS0_4arch9wavefront6targetE0EEEvT1_
; %bb.0:
	s_clause 0x1
	s_load_dwordx8 s[8:15], s[4:5], 0x0
	s_load_dword s7, s[4:5], 0x28
	s_mov_b32 s1, 0
	v_lshlrev_b32_e32 v5, 3, v0
	s_waitcnt lgkmcnt(0)
	s_lshl_b64 s[2:3], s[10:11], 3
	s_add_u32 s8, s8, s2
	s_addc_u32 s9, s9, s3
	s_add_u32 s4, s14, s2
	s_addc_u32 s5, s15, s3
	s_lshl_b32 s0, s6, 10
	s_add_i32 s10, s7, -1
	s_lshl_b64 s[2:3], s[0:1], 3
	s_add_u32 s1, s8, s2
	s_addc_u32 s7, s9, s3
	s_cmp_lg_u32 s6, s10
	s_mov_b32 s6, -1
	s_cbranch_scc0 .LBB174_2
; %bb.1:
	v_add_co_u32 v1, s6, s1, v5
	v_add_co_ci_u32_e64 v2, null, s7, 0, s6
	s_add_u32 s8, s4, s2
	v_add_co_u32 v3, vcc_lo, 0x1000, v1
	v_add_co_ci_u32_e64 v4, null, 0, v2, vcc_lo
	s_addc_u32 s9, s5, s3
	v_add_co_u32 v6, s6, s8, v5
	s_clause 0x1
	flat_load_dwordx2 v[1:2], v[1:2]
	flat_load_dwordx2 v[3:4], v[3:4]
	v_add_co_ci_u32_e64 v7, null, s9, 0, s6
	v_add_co_u32 v6, vcc_lo, 0x1000, v6
	s_mov_b32 s6, 0
	v_add_co_ci_u32_e64 v7, null, 0, v7, vcc_lo
	s_waitcnt vmcnt(1) lgkmcnt(1)
	global_store_dwordx2 v5, v[1:2], s[8:9]
	s_waitcnt vmcnt(0) lgkmcnt(0)
	global_store_dwordx2 v[6:7], v[3:4], off
.LBB174_2:
	s_andn2_b32 vcc_lo, exec_lo, s6
	s_cbranch_vccnz .LBB174_11
; %bb.3:
	s_sub_i32 s0, s12, s0
	v_mov_b32_e32 v1, 0
	v_cmp_gt_u32_e32 vcc_lo, s0, v0
	v_mov_b32_e32 v4, 0
	v_mov_b32_e32 v3, 0
	s_and_saveexec_b32 s6, vcc_lo
	s_cbranch_execz .LBB174_5
; %bb.4:
	v_add_co_u32 v2, s8, s1, v5
	v_add_co_ci_u32_e64 v3, null, s7, 0, s8
	flat_load_dwordx2 v[3:4], v[2:3]
.LBB174_5:
	s_or_b32 exec_lo, exec_lo, s6
	v_or_b32_e32 v0, 0x200, v0
	v_mov_b32_e32 v2, 0
	v_cmp_gt_u32_e64 s0, s0, v0
	s_and_saveexec_b32 s6, s0
	s_cbranch_execz .LBB174_7
; %bb.6:
	v_lshlrev_b32_e32 v0, 3, v0
	v_add_co_u32 v0, s1, s1, v0
	v_add_co_ci_u32_e64 v1, null, s7, 0, s1
	flat_load_dwordx2 v[1:2], v[0:1]
.LBB174_7:
	s_or_b32 exec_lo, exec_lo, s6
	s_add_u32 s1, s4, s2
	s_addc_u32 s2, s5, s3
	v_add_co_u32 v5, s1, s1, v5
	v_add_co_ci_u32_e64 v6, null, s2, 0, s1
	s_and_saveexec_b32 s1, vcc_lo
	s_cbranch_execz .LBB174_9
; %bb.8:
	s_waitcnt vmcnt(0) lgkmcnt(0)
	global_store_dwordx2 v[5:6], v[3:4], off
.LBB174_9:
	s_or_b32 exec_lo, exec_lo, s1
	s_and_saveexec_b32 s1, s0
	s_cbranch_execz .LBB174_11
; %bb.10:
	s_waitcnt vmcnt(0) lgkmcnt(0)
	v_add_co_u32 v3, vcc_lo, 0x1000, v5
	v_add_co_ci_u32_e64 v4, null, 0, v6, vcc_lo
	global_store_dwordx2 v[3:4], v[1:2], off
.LBB174_11:
	s_endpgm
	.section	.rodata,"a",@progbits
	.p2align	6, 0x0
	.amdhsa_kernel _ZN7rocprim17ROCPRIM_400000_NS6detail17trampoline_kernelINS0_14default_configENS1_25transform_config_selectorIN6thrust23THRUST_200600_302600_NS5tupleIffNS6_9null_typeES8_S8_S8_S8_S8_S8_S8_EELb0EEEZNS1_14transform_implILb0ES3_SA_NS6_6detail15normal_iteratorINS6_10device_ptrIS9_EEEEPS9_NS0_8identityIS9_EEEE10hipError_tT2_T3_mT4_P12ihipStream_tbEUlT_E_NS1_11comp_targetILNS1_3genE8ELNS1_11target_archE1030ELNS1_3gpuE2ELNS1_3repE0EEENS1_30default_config_static_selectorELNS0_4arch9wavefront6targetE0EEEvT1_
		.amdhsa_group_segment_fixed_size 0
		.amdhsa_private_segment_fixed_size 0
		.amdhsa_kernarg_size 296
		.amdhsa_user_sgpr_count 6
		.amdhsa_user_sgpr_private_segment_buffer 1
		.amdhsa_user_sgpr_dispatch_ptr 0
		.amdhsa_user_sgpr_queue_ptr 0
		.amdhsa_user_sgpr_kernarg_segment_ptr 1
		.amdhsa_user_sgpr_dispatch_id 0
		.amdhsa_user_sgpr_flat_scratch_init 0
		.amdhsa_user_sgpr_private_segment_size 0
		.amdhsa_wavefront_size32 1
		.amdhsa_uses_dynamic_stack 0
		.amdhsa_system_sgpr_private_segment_wavefront_offset 0
		.amdhsa_system_sgpr_workgroup_id_x 1
		.amdhsa_system_sgpr_workgroup_id_y 0
		.amdhsa_system_sgpr_workgroup_id_z 0
		.amdhsa_system_sgpr_workgroup_info 0
		.amdhsa_system_vgpr_workitem_id 0
		.amdhsa_next_free_vgpr 8
		.amdhsa_next_free_sgpr 16
		.amdhsa_reserve_vcc 1
		.amdhsa_reserve_flat_scratch 1
		.amdhsa_float_round_mode_32 0
		.amdhsa_float_round_mode_16_64 0
		.amdhsa_float_denorm_mode_32 3
		.amdhsa_float_denorm_mode_16_64 3
		.amdhsa_dx10_clamp 1
		.amdhsa_ieee_mode 1
		.amdhsa_fp16_overflow 0
		.amdhsa_workgroup_processor_mode 1
		.amdhsa_memory_ordered 1
		.amdhsa_forward_progress 1
		.amdhsa_shared_vgpr_count 0
		.amdhsa_exception_fp_ieee_invalid_op 0
		.amdhsa_exception_fp_denorm_src 0
		.amdhsa_exception_fp_ieee_div_zero 0
		.amdhsa_exception_fp_ieee_overflow 0
		.amdhsa_exception_fp_ieee_underflow 0
		.amdhsa_exception_fp_ieee_inexact 0
		.amdhsa_exception_int_div_zero 0
	.end_amdhsa_kernel
	.section	.text._ZN7rocprim17ROCPRIM_400000_NS6detail17trampoline_kernelINS0_14default_configENS1_25transform_config_selectorIN6thrust23THRUST_200600_302600_NS5tupleIffNS6_9null_typeES8_S8_S8_S8_S8_S8_S8_EELb0EEEZNS1_14transform_implILb0ES3_SA_NS6_6detail15normal_iteratorINS6_10device_ptrIS9_EEEEPS9_NS0_8identityIS9_EEEE10hipError_tT2_T3_mT4_P12ihipStream_tbEUlT_E_NS1_11comp_targetILNS1_3genE8ELNS1_11target_archE1030ELNS1_3gpuE2ELNS1_3repE0EEENS1_30default_config_static_selectorELNS0_4arch9wavefront6targetE0EEEvT1_,"axG",@progbits,_ZN7rocprim17ROCPRIM_400000_NS6detail17trampoline_kernelINS0_14default_configENS1_25transform_config_selectorIN6thrust23THRUST_200600_302600_NS5tupleIffNS6_9null_typeES8_S8_S8_S8_S8_S8_S8_EELb0EEEZNS1_14transform_implILb0ES3_SA_NS6_6detail15normal_iteratorINS6_10device_ptrIS9_EEEEPS9_NS0_8identityIS9_EEEE10hipError_tT2_T3_mT4_P12ihipStream_tbEUlT_E_NS1_11comp_targetILNS1_3genE8ELNS1_11target_archE1030ELNS1_3gpuE2ELNS1_3repE0EEENS1_30default_config_static_selectorELNS0_4arch9wavefront6targetE0EEEvT1_,comdat
.Lfunc_end174:
	.size	_ZN7rocprim17ROCPRIM_400000_NS6detail17trampoline_kernelINS0_14default_configENS1_25transform_config_selectorIN6thrust23THRUST_200600_302600_NS5tupleIffNS6_9null_typeES8_S8_S8_S8_S8_S8_S8_EELb0EEEZNS1_14transform_implILb0ES3_SA_NS6_6detail15normal_iteratorINS6_10device_ptrIS9_EEEEPS9_NS0_8identityIS9_EEEE10hipError_tT2_T3_mT4_P12ihipStream_tbEUlT_E_NS1_11comp_targetILNS1_3genE8ELNS1_11target_archE1030ELNS1_3gpuE2ELNS1_3repE0EEENS1_30default_config_static_selectorELNS0_4arch9wavefront6targetE0EEEvT1_, .Lfunc_end174-_ZN7rocprim17ROCPRIM_400000_NS6detail17trampoline_kernelINS0_14default_configENS1_25transform_config_selectorIN6thrust23THRUST_200600_302600_NS5tupleIffNS6_9null_typeES8_S8_S8_S8_S8_S8_S8_EELb0EEEZNS1_14transform_implILb0ES3_SA_NS6_6detail15normal_iteratorINS6_10device_ptrIS9_EEEEPS9_NS0_8identityIS9_EEEE10hipError_tT2_T3_mT4_P12ihipStream_tbEUlT_E_NS1_11comp_targetILNS1_3genE8ELNS1_11target_archE1030ELNS1_3gpuE2ELNS1_3repE0EEENS1_30default_config_static_selectorELNS0_4arch9wavefront6targetE0EEEvT1_
                                        ; -- End function
	.set _ZN7rocprim17ROCPRIM_400000_NS6detail17trampoline_kernelINS0_14default_configENS1_25transform_config_selectorIN6thrust23THRUST_200600_302600_NS5tupleIffNS6_9null_typeES8_S8_S8_S8_S8_S8_S8_EELb0EEEZNS1_14transform_implILb0ES3_SA_NS6_6detail15normal_iteratorINS6_10device_ptrIS9_EEEEPS9_NS0_8identityIS9_EEEE10hipError_tT2_T3_mT4_P12ihipStream_tbEUlT_E_NS1_11comp_targetILNS1_3genE8ELNS1_11target_archE1030ELNS1_3gpuE2ELNS1_3repE0EEENS1_30default_config_static_selectorELNS0_4arch9wavefront6targetE0EEEvT1_.num_vgpr, 8
	.set _ZN7rocprim17ROCPRIM_400000_NS6detail17trampoline_kernelINS0_14default_configENS1_25transform_config_selectorIN6thrust23THRUST_200600_302600_NS5tupleIffNS6_9null_typeES8_S8_S8_S8_S8_S8_S8_EELb0EEEZNS1_14transform_implILb0ES3_SA_NS6_6detail15normal_iteratorINS6_10device_ptrIS9_EEEEPS9_NS0_8identityIS9_EEEE10hipError_tT2_T3_mT4_P12ihipStream_tbEUlT_E_NS1_11comp_targetILNS1_3genE8ELNS1_11target_archE1030ELNS1_3gpuE2ELNS1_3repE0EEENS1_30default_config_static_selectorELNS0_4arch9wavefront6targetE0EEEvT1_.num_agpr, 0
	.set _ZN7rocprim17ROCPRIM_400000_NS6detail17trampoline_kernelINS0_14default_configENS1_25transform_config_selectorIN6thrust23THRUST_200600_302600_NS5tupleIffNS6_9null_typeES8_S8_S8_S8_S8_S8_S8_EELb0EEEZNS1_14transform_implILb0ES3_SA_NS6_6detail15normal_iteratorINS6_10device_ptrIS9_EEEEPS9_NS0_8identityIS9_EEEE10hipError_tT2_T3_mT4_P12ihipStream_tbEUlT_E_NS1_11comp_targetILNS1_3genE8ELNS1_11target_archE1030ELNS1_3gpuE2ELNS1_3repE0EEENS1_30default_config_static_selectorELNS0_4arch9wavefront6targetE0EEEvT1_.numbered_sgpr, 16
	.set _ZN7rocprim17ROCPRIM_400000_NS6detail17trampoline_kernelINS0_14default_configENS1_25transform_config_selectorIN6thrust23THRUST_200600_302600_NS5tupleIffNS6_9null_typeES8_S8_S8_S8_S8_S8_S8_EELb0EEEZNS1_14transform_implILb0ES3_SA_NS6_6detail15normal_iteratorINS6_10device_ptrIS9_EEEEPS9_NS0_8identityIS9_EEEE10hipError_tT2_T3_mT4_P12ihipStream_tbEUlT_E_NS1_11comp_targetILNS1_3genE8ELNS1_11target_archE1030ELNS1_3gpuE2ELNS1_3repE0EEENS1_30default_config_static_selectorELNS0_4arch9wavefront6targetE0EEEvT1_.num_named_barrier, 0
	.set _ZN7rocprim17ROCPRIM_400000_NS6detail17trampoline_kernelINS0_14default_configENS1_25transform_config_selectorIN6thrust23THRUST_200600_302600_NS5tupleIffNS6_9null_typeES8_S8_S8_S8_S8_S8_S8_EELb0EEEZNS1_14transform_implILb0ES3_SA_NS6_6detail15normal_iteratorINS6_10device_ptrIS9_EEEEPS9_NS0_8identityIS9_EEEE10hipError_tT2_T3_mT4_P12ihipStream_tbEUlT_E_NS1_11comp_targetILNS1_3genE8ELNS1_11target_archE1030ELNS1_3gpuE2ELNS1_3repE0EEENS1_30default_config_static_selectorELNS0_4arch9wavefront6targetE0EEEvT1_.private_seg_size, 0
	.set _ZN7rocprim17ROCPRIM_400000_NS6detail17trampoline_kernelINS0_14default_configENS1_25transform_config_selectorIN6thrust23THRUST_200600_302600_NS5tupleIffNS6_9null_typeES8_S8_S8_S8_S8_S8_S8_EELb0EEEZNS1_14transform_implILb0ES3_SA_NS6_6detail15normal_iteratorINS6_10device_ptrIS9_EEEEPS9_NS0_8identityIS9_EEEE10hipError_tT2_T3_mT4_P12ihipStream_tbEUlT_E_NS1_11comp_targetILNS1_3genE8ELNS1_11target_archE1030ELNS1_3gpuE2ELNS1_3repE0EEENS1_30default_config_static_selectorELNS0_4arch9wavefront6targetE0EEEvT1_.uses_vcc, 1
	.set _ZN7rocprim17ROCPRIM_400000_NS6detail17trampoline_kernelINS0_14default_configENS1_25transform_config_selectorIN6thrust23THRUST_200600_302600_NS5tupleIffNS6_9null_typeES8_S8_S8_S8_S8_S8_S8_EELb0EEEZNS1_14transform_implILb0ES3_SA_NS6_6detail15normal_iteratorINS6_10device_ptrIS9_EEEEPS9_NS0_8identityIS9_EEEE10hipError_tT2_T3_mT4_P12ihipStream_tbEUlT_E_NS1_11comp_targetILNS1_3genE8ELNS1_11target_archE1030ELNS1_3gpuE2ELNS1_3repE0EEENS1_30default_config_static_selectorELNS0_4arch9wavefront6targetE0EEEvT1_.uses_flat_scratch, 1
	.set _ZN7rocprim17ROCPRIM_400000_NS6detail17trampoline_kernelINS0_14default_configENS1_25transform_config_selectorIN6thrust23THRUST_200600_302600_NS5tupleIffNS6_9null_typeES8_S8_S8_S8_S8_S8_S8_EELb0EEEZNS1_14transform_implILb0ES3_SA_NS6_6detail15normal_iteratorINS6_10device_ptrIS9_EEEEPS9_NS0_8identityIS9_EEEE10hipError_tT2_T3_mT4_P12ihipStream_tbEUlT_E_NS1_11comp_targetILNS1_3genE8ELNS1_11target_archE1030ELNS1_3gpuE2ELNS1_3repE0EEENS1_30default_config_static_selectorELNS0_4arch9wavefront6targetE0EEEvT1_.has_dyn_sized_stack, 0
	.set _ZN7rocprim17ROCPRIM_400000_NS6detail17trampoline_kernelINS0_14default_configENS1_25transform_config_selectorIN6thrust23THRUST_200600_302600_NS5tupleIffNS6_9null_typeES8_S8_S8_S8_S8_S8_S8_EELb0EEEZNS1_14transform_implILb0ES3_SA_NS6_6detail15normal_iteratorINS6_10device_ptrIS9_EEEEPS9_NS0_8identityIS9_EEEE10hipError_tT2_T3_mT4_P12ihipStream_tbEUlT_E_NS1_11comp_targetILNS1_3genE8ELNS1_11target_archE1030ELNS1_3gpuE2ELNS1_3repE0EEENS1_30default_config_static_selectorELNS0_4arch9wavefront6targetE0EEEvT1_.has_recursion, 0
	.set _ZN7rocprim17ROCPRIM_400000_NS6detail17trampoline_kernelINS0_14default_configENS1_25transform_config_selectorIN6thrust23THRUST_200600_302600_NS5tupleIffNS6_9null_typeES8_S8_S8_S8_S8_S8_S8_EELb0EEEZNS1_14transform_implILb0ES3_SA_NS6_6detail15normal_iteratorINS6_10device_ptrIS9_EEEEPS9_NS0_8identityIS9_EEEE10hipError_tT2_T3_mT4_P12ihipStream_tbEUlT_E_NS1_11comp_targetILNS1_3genE8ELNS1_11target_archE1030ELNS1_3gpuE2ELNS1_3repE0EEENS1_30default_config_static_selectorELNS0_4arch9wavefront6targetE0EEEvT1_.has_indirect_call, 0
	.section	.AMDGPU.csdata,"",@progbits
; Kernel info:
; codeLenInByte = 428
; TotalNumSgprs: 18
; NumVgprs: 8
; ScratchSize: 0
; MemoryBound: 0
; FloatMode: 240
; IeeeMode: 1
; LDSByteSize: 0 bytes/workgroup (compile time only)
; SGPRBlocks: 0
; VGPRBlocks: 0
; NumSGPRsForWavesPerEU: 18
; NumVGPRsForWavesPerEU: 8
; Occupancy: 16
; WaveLimiterHint : 1
; COMPUTE_PGM_RSRC2:SCRATCH_EN: 0
; COMPUTE_PGM_RSRC2:USER_SGPR: 6
; COMPUTE_PGM_RSRC2:TRAP_HANDLER: 0
; COMPUTE_PGM_RSRC2:TGID_X_EN: 1
; COMPUTE_PGM_RSRC2:TGID_Y_EN: 0
; COMPUTE_PGM_RSRC2:TGID_Z_EN: 0
; COMPUTE_PGM_RSRC2:TIDIG_COMP_CNT: 0
	.section	.text._ZN7rocprim17ROCPRIM_400000_NS6detail17trampoline_kernelINS0_14default_configENS1_35radix_sort_onesweep_config_selectorIjN6thrust23THRUST_200600_302600_NS5tupleIffNS6_9null_typeES8_S8_S8_S8_S8_S8_S8_EEEEZZNS1_29radix_sort_onesweep_iterationIS3_Lb0ENS6_6detail15normal_iteratorINS6_10device_ptrIjEEEESG_NSD_INSE_IS9_EEEESI_jNS0_19identity_decomposerENS1_16block_id_wrapperIjLb1EEEEE10hipError_tT1_PNSt15iterator_traitsISN_E10value_typeET2_T3_PNSO_IST_E10value_typeET4_T5_PSY_SZ_PNS1_23onesweep_lookback_stateEbbT6_jjT7_P12ihipStream_tbENKUlT_T0_SN_SS_E_clISG_SG_SI_SI_EEDaS16_S17_SN_SS_EUlS16_E_NS1_11comp_targetILNS1_3genE0ELNS1_11target_archE4294967295ELNS1_3gpuE0ELNS1_3repE0EEENS1_47radix_sort_onesweep_sort_config_static_selectorELNS0_4arch9wavefront6targetE0EEEvSN_,"axG",@progbits,_ZN7rocprim17ROCPRIM_400000_NS6detail17trampoline_kernelINS0_14default_configENS1_35radix_sort_onesweep_config_selectorIjN6thrust23THRUST_200600_302600_NS5tupleIffNS6_9null_typeES8_S8_S8_S8_S8_S8_S8_EEEEZZNS1_29radix_sort_onesweep_iterationIS3_Lb0ENS6_6detail15normal_iteratorINS6_10device_ptrIjEEEESG_NSD_INSE_IS9_EEEESI_jNS0_19identity_decomposerENS1_16block_id_wrapperIjLb1EEEEE10hipError_tT1_PNSt15iterator_traitsISN_E10value_typeET2_T3_PNSO_IST_E10value_typeET4_T5_PSY_SZ_PNS1_23onesweep_lookback_stateEbbT6_jjT7_P12ihipStream_tbENKUlT_T0_SN_SS_E_clISG_SG_SI_SI_EEDaS16_S17_SN_SS_EUlS16_E_NS1_11comp_targetILNS1_3genE0ELNS1_11target_archE4294967295ELNS1_3gpuE0ELNS1_3repE0EEENS1_47radix_sort_onesweep_sort_config_static_selectorELNS0_4arch9wavefront6targetE0EEEvSN_,comdat
	.protected	_ZN7rocprim17ROCPRIM_400000_NS6detail17trampoline_kernelINS0_14default_configENS1_35radix_sort_onesweep_config_selectorIjN6thrust23THRUST_200600_302600_NS5tupleIffNS6_9null_typeES8_S8_S8_S8_S8_S8_S8_EEEEZZNS1_29radix_sort_onesweep_iterationIS3_Lb0ENS6_6detail15normal_iteratorINS6_10device_ptrIjEEEESG_NSD_INSE_IS9_EEEESI_jNS0_19identity_decomposerENS1_16block_id_wrapperIjLb1EEEEE10hipError_tT1_PNSt15iterator_traitsISN_E10value_typeET2_T3_PNSO_IST_E10value_typeET4_T5_PSY_SZ_PNS1_23onesweep_lookback_stateEbbT6_jjT7_P12ihipStream_tbENKUlT_T0_SN_SS_E_clISG_SG_SI_SI_EEDaS16_S17_SN_SS_EUlS16_E_NS1_11comp_targetILNS1_3genE0ELNS1_11target_archE4294967295ELNS1_3gpuE0ELNS1_3repE0EEENS1_47radix_sort_onesweep_sort_config_static_selectorELNS0_4arch9wavefront6targetE0EEEvSN_ ; -- Begin function _ZN7rocprim17ROCPRIM_400000_NS6detail17trampoline_kernelINS0_14default_configENS1_35radix_sort_onesweep_config_selectorIjN6thrust23THRUST_200600_302600_NS5tupleIffNS6_9null_typeES8_S8_S8_S8_S8_S8_S8_EEEEZZNS1_29radix_sort_onesweep_iterationIS3_Lb0ENS6_6detail15normal_iteratorINS6_10device_ptrIjEEEESG_NSD_INSE_IS9_EEEESI_jNS0_19identity_decomposerENS1_16block_id_wrapperIjLb1EEEEE10hipError_tT1_PNSt15iterator_traitsISN_E10value_typeET2_T3_PNSO_IST_E10value_typeET4_T5_PSY_SZ_PNS1_23onesweep_lookback_stateEbbT6_jjT7_P12ihipStream_tbENKUlT_T0_SN_SS_E_clISG_SG_SI_SI_EEDaS16_S17_SN_SS_EUlS16_E_NS1_11comp_targetILNS1_3genE0ELNS1_11target_archE4294967295ELNS1_3gpuE0ELNS1_3repE0EEENS1_47radix_sort_onesweep_sort_config_static_selectorELNS0_4arch9wavefront6targetE0EEEvSN_
	.globl	_ZN7rocprim17ROCPRIM_400000_NS6detail17trampoline_kernelINS0_14default_configENS1_35radix_sort_onesweep_config_selectorIjN6thrust23THRUST_200600_302600_NS5tupleIffNS6_9null_typeES8_S8_S8_S8_S8_S8_S8_EEEEZZNS1_29radix_sort_onesweep_iterationIS3_Lb0ENS6_6detail15normal_iteratorINS6_10device_ptrIjEEEESG_NSD_INSE_IS9_EEEESI_jNS0_19identity_decomposerENS1_16block_id_wrapperIjLb1EEEEE10hipError_tT1_PNSt15iterator_traitsISN_E10value_typeET2_T3_PNSO_IST_E10value_typeET4_T5_PSY_SZ_PNS1_23onesweep_lookback_stateEbbT6_jjT7_P12ihipStream_tbENKUlT_T0_SN_SS_E_clISG_SG_SI_SI_EEDaS16_S17_SN_SS_EUlS16_E_NS1_11comp_targetILNS1_3genE0ELNS1_11target_archE4294967295ELNS1_3gpuE0ELNS1_3repE0EEENS1_47radix_sort_onesweep_sort_config_static_selectorELNS0_4arch9wavefront6targetE0EEEvSN_
	.p2align	8
	.type	_ZN7rocprim17ROCPRIM_400000_NS6detail17trampoline_kernelINS0_14default_configENS1_35radix_sort_onesweep_config_selectorIjN6thrust23THRUST_200600_302600_NS5tupleIffNS6_9null_typeES8_S8_S8_S8_S8_S8_S8_EEEEZZNS1_29radix_sort_onesweep_iterationIS3_Lb0ENS6_6detail15normal_iteratorINS6_10device_ptrIjEEEESG_NSD_INSE_IS9_EEEESI_jNS0_19identity_decomposerENS1_16block_id_wrapperIjLb1EEEEE10hipError_tT1_PNSt15iterator_traitsISN_E10value_typeET2_T3_PNSO_IST_E10value_typeET4_T5_PSY_SZ_PNS1_23onesweep_lookback_stateEbbT6_jjT7_P12ihipStream_tbENKUlT_T0_SN_SS_E_clISG_SG_SI_SI_EEDaS16_S17_SN_SS_EUlS16_E_NS1_11comp_targetILNS1_3genE0ELNS1_11target_archE4294967295ELNS1_3gpuE0ELNS1_3repE0EEENS1_47radix_sort_onesweep_sort_config_static_selectorELNS0_4arch9wavefront6targetE0EEEvSN_,@function
_ZN7rocprim17ROCPRIM_400000_NS6detail17trampoline_kernelINS0_14default_configENS1_35radix_sort_onesweep_config_selectorIjN6thrust23THRUST_200600_302600_NS5tupleIffNS6_9null_typeES8_S8_S8_S8_S8_S8_S8_EEEEZZNS1_29radix_sort_onesweep_iterationIS3_Lb0ENS6_6detail15normal_iteratorINS6_10device_ptrIjEEEESG_NSD_INSE_IS9_EEEESI_jNS0_19identity_decomposerENS1_16block_id_wrapperIjLb1EEEEE10hipError_tT1_PNSt15iterator_traitsISN_E10value_typeET2_T3_PNSO_IST_E10value_typeET4_T5_PSY_SZ_PNS1_23onesweep_lookback_stateEbbT6_jjT7_P12ihipStream_tbENKUlT_T0_SN_SS_E_clISG_SG_SI_SI_EEDaS16_S17_SN_SS_EUlS16_E_NS1_11comp_targetILNS1_3genE0ELNS1_11target_archE4294967295ELNS1_3gpuE0ELNS1_3repE0EEENS1_47radix_sort_onesweep_sort_config_static_selectorELNS0_4arch9wavefront6targetE0EEEvSN_: ; @_ZN7rocprim17ROCPRIM_400000_NS6detail17trampoline_kernelINS0_14default_configENS1_35radix_sort_onesweep_config_selectorIjN6thrust23THRUST_200600_302600_NS5tupleIffNS6_9null_typeES8_S8_S8_S8_S8_S8_S8_EEEEZZNS1_29radix_sort_onesweep_iterationIS3_Lb0ENS6_6detail15normal_iteratorINS6_10device_ptrIjEEEESG_NSD_INSE_IS9_EEEESI_jNS0_19identity_decomposerENS1_16block_id_wrapperIjLb1EEEEE10hipError_tT1_PNSt15iterator_traitsISN_E10value_typeET2_T3_PNSO_IST_E10value_typeET4_T5_PSY_SZ_PNS1_23onesweep_lookback_stateEbbT6_jjT7_P12ihipStream_tbENKUlT_T0_SN_SS_E_clISG_SG_SI_SI_EEDaS16_S17_SN_SS_EUlS16_E_NS1_11comp_targetILNS1_3genE0ELNS1_11target_archE4294967295ELNS1_3gpuE0ELNS1_3repE0EEENS1_47radix_sort_onesweep_sort_config_static_selectorELNS0_4arch9wavefront6targetE0EEEvSN_
; %bb.0:
	.section	.rodata,"a",@progbits
	.p2align	6, 0x0
	.amdhsa_kernel _ZN7rocprim17ROCPRIM_400000_NS6detail17trampoline_kernelINS0_14default_configENS1_35radix_sort_onesweep_config_selectorIjN6thrust23THRUST_200600_302600_NS5tupleIffNS6_9null_typeES8_S8_S8_S8_S8_S8_S8_EEEEZZNS1_29radix_sort_onesweep_iterationIS3_Lb0ENS6_6detail15normal_iteratorINS6_10device_ptrIjEEEESG_NSD_INSE_IS9_EEEESI_jNS0_19identity_decomposerENS1_16block_id_wrapperIjLb1EEEEE10hipError_tT1_PNSt15iterator_traitsISN_E10value_typeET2_T3_PNSO_IST_E10value_typeET4_T5_PSY_SZ_PNS1_23onesweep_lookback_stateEbbT6_jjT7_P12ihipStream_tbENKUlT_T0_SN_SS_E_clISG_SG_SI_SI_EEDaS16_S17_SN_SS_EUlS16_E_NS1_11comp_targetILNS1_3genE0ELNS1_11target_archE4294967295ELNS1_3gpuE0ELNS1_3repE0EEENS1_47radix_sort_onesweep_sort_config_static_selectorELNS0_4arch9wavefront6targetE0EEEvSN_
		.amdhsa_group_segment_fixed_size 0
		.amdhsa_private_segment_fixed_size 0
		.amdhsa_kernarg_size 88
		.amdhsa_user_sgpr_count 6
		.amdhsa_user_sgpr_private_segment_buffer 1
		.amdhsa_user_sgpr_dispatch_ptr 0
		.amdhsa_user_sgpr_queue_ptr 0
		.amdhsa_user_sgpr_kernarg_segment_ptr 1
		.amdhsa_user_sgpr_dispatch_id 0
		.amdhsa_user_sgpr_flat_scratch_init 0
		.amdhsa_user_sgpr_private_segment_size 0
		.amdhsa_wavefront_size32 1
		.amdhsa_uses_dynamic_stack 0
		.amdhsa_system_sgpr_private_segment_wavefront_offset 0
		.amdhsa_system_sgpr_workgroup_id_x 1
		.amdhsa_system_sgpr_workgroup_id_y 0
		.amdhsa_system_sgpr_workgroup_id_z 0
		.amdhsa_system_sgpr_workgroup_info 0
		.amdhsa_system_vgpr_workitem_id 0
		.amdhsa_next_free_vgpr 1
		.amdhsa_next_free_sgpr 1
		.amdhsa_reserve_vcc 0
		.amdhsa_reserve_flat_scratch 0
		.amdhsa_float_round_mode_32 0
		.amdhsa_float_round_mode_16_64 0
		.amdhsa_float_denorm_mode_32 3
		.amdhsa_float_denorm_mode_16_64 3
		.amdhsa_dx10_clamp 1
		.amdhsa_ieee_mode 1
		.amdhsa_fp16_overflow 0
		.amdhsa_workgroup_processor_mode 1
		.amdhsa_memory_ordered 1
		.amdhsa_forward_progress 1
		.amdhsa_shared_vgpr_count 0
		.amdhsa_exception_fp_ieee_invalid_op 0
		.amdhsa_exception_fp_denorm_src 0
		.amdhsa_exception_fp_ieee_div_zero 0
		.amdhsa_exception_fp_ieee_overflow 0
		.amdhsa_exception_fp_ieee_underflow 0
		.amdhsa_exception_fp_ieee_inexact 0
		.amdhsa_exception_int_div_zero 0
	.end_amdhsa_kernel
	.section	.text._ZN7rocprim17ROCPRIM_400000_NS6detail17trampoline_kernelINS0_14default_configENS1_35radix_sort_onesweep_config_selectorIjN6thrust23THRUST_200600_302600_NS5tupleIffNS6_9null_typeES8_S8_S8_S8_S8_S8_S8_EEEEZZNS1_29radix_sort_onesweep_iterationIS3_Lb0ENS6_6detail15normal_iteratorINS6_10device_ptrIjEEEESG_NSD_INSE_IS9_EEEESI_jNS0_19identity_decomposerENS1_16block_id_wrapperIjLb1EEEEE10hipError_tT1_PNSt15iterator_traitsISN_E10value_typeET2_T3_PNSO_IST_E10value_typeET4_T5_PSY_SZ_PNS1_23onesweep_lookback_stateEbbT6_jjT7_P12ihipStream_tbENKUlT_T0_SN_SS_E_clISG_SG_SI_SI_EEDaS16_S17_SN_SS_EUlS16_E_NS1_11comp_targetILNS1_3genE0ELNS1_11target_archE4294967295ELNS1_3gpuE0ELNS1_3repE0EEENS1_47radix_sort_onesweep_sort_config_static_selectorELNS0_4arch9wavefront6targetE0EEEvSN_,"axG",@progbits,_ZN7rocprim17ROCPRIM_400000_NS6detail17trampoline_kernelINS0_14default_configENS1_35radix_sort_onesweep_config_selectorIjN6thrust23THRUST_200600_302600_NS5tupleIffNS6_9null_typeES8_S8_S8_S8_S8_S8_S8_EEEEZZNS1_29radix_sort_onesweep_iterationIS3_Lb0ENS6_6detail15normal_iteratorINS6_10device_ptrIjEEEESG_NSD_INSE_IS9_EEEESI_jNS0_19identity_decomposerENS1_16block_id_wrapperIjLb1EEEEE10hipError_tT1_PNSt15iterator_traitsISN_E10value_typeET2_T3_PNSO_IST_E10value_typeET4_T5_PSY_SZ_PNS1_23onesweep_lookback_stateEbbT6_jjT7_P12ihipStream_tbENKUlT_T0_SN_SS_E_clISG_SG_SI_SI_EEDaS16_S17_SN_SS_EUlS16_E_NS1_11comp_targetILNS1_3genE0ELNS1_11target_archE4294967295ELNS1_3gpuE0ELNS1_3repE0EEENS1_47radix_sort_onesweep_sort_config_static_selectorELNS0_4arch9wavefront6targetE0EEEvSN_,comdat
.Lfunc_end175:
	.size	_ZN7rocprim17ROCPRIM_400000_NS6detail17trampoline_kernelINS0_14default_configENS1_35radix_sort_onesweep_config_selectorIjN6thrust23THRUST_200600_302600_NS5tupleIffNS6_9null_typeES8_S8_S8_S8_S8_S8_S8_EEEEZZNS1_29radix_sort_onesweep_iterationIS3_Lb0ENS6_6detail15normal_iteratorINS6_10device_ptrIjEEEESG_NSD_INSE_IS9_EEEESI_jNS0_19identity_decomposerENS1_16block_id_wrapperIjLb1EEEEE10hipError_tT1_PNSt15iterator_traitsISN_E10value_typeET2_T3_PNSO_IST_E10value_typeET4_T5_PSY_SZ_PNS1_23onesweep_lookback_stateEbbT6_jjT7_P12ihipStream_tbENKUlT_T0_SN_SS_E_clISG_SG_SI_SI_EEDaS16_S17_SN_SS_EUlS16_E_NS1_11comp_targetILNS1_3genE0ELNS1_11target_archE4294967295ELNS1_3gpuE0ELNS1_3repE0EEENS1_47radix_sort_onesweep_sort_config_static_selectorELNS0_4arch9wavefront6targetE0EEEvSN_, .Lfunc_end175-_ZN7rocprim17ROCPRIM_400000_NS6detail17trampoline_kernelINS0_14default_configENS1_35radix_sort_onesweep_config_selectorIjN6thrust23THRUST_200600_302600_NS5tupleIffNS6_9null_typeES8_S8_S8_S8_S8_S8_S8_EEEEZZNS1_29radix_sort_onesweep_iterationIS3_Lb0ENS6_6detail15normal_iteratorINS6_10device_ptrIjEEEESG_NSD_INSE_IS9_EEEESI_jNS0_19identity_decomposerENS1_16block_id_wrapperIjLb1EEEEE10hipError_tT1_PNSt15iterator_traitsISN_E10value_typeET2_T3_PNSO_IST_E10value_typeET4_T5_PSY_SZ_PNS1_23onesweep_lookback_stateEbbT6_jjT7_P12ihipStream_tbENKUlT_T0_SN_SS_E_clISG_SG_SI_SI_EEDaS16_S17_SN_SS_EUlS16_E_NS1_11comp_targetILNS1_3genE0ELNS1_11target_archE4294967295ELNS1_3gpuE0ELNS1_3repE0EEENS1_47radix_sort_onesweep_sort_config_static_selectorELNS0_4arch9wavefront6targetE0EEEvSN_
                                        ; -- End function
	.set _ZN7rocprim17ROCPRIM_400000_NS6detail17trampoline_kernelINS0_14default_configENS1_35radix_sort_onesweep_config_selectorIjN6thrust23THRUST_200600_302600_NS5tupleIffNS6_9null_typeES8_S8_S8_S8_S8_S8_S8_EEEEZZNS1_29radix_sort_onesweep_iterationIS3_Lb0ENS6_6detail15normal_iteratorINS6_10device_ptrIjEEEESG_NSD_INSE_IS9_EEEESI_jNS0_19identity_decomposerENS1_16block_id_wrapperIjLb1EEEEE10hipError_tT1_PNSt15iterator_traitsISN_E10value_typeET2_T3_PNSO_IST_E10value_typeET4_T5_PSY_SZ_PNS1_23onesweep_lookback_stateEbbT6_jjT7_P12ihipStream_tbENKUlT_T0_SN_SS_E_clISG_SG_SI_SI_EEDaS16_S17_SN_SS_EUlS16_E_NS1_11comp_targetILNS1_3genE0ELNS1_11target_archE4294967295ELNS1_3gpuE0ELNS1_3repE0EEENS1_47radix_sort_onesweep_sort_config_static_selectorELNS0_4arch9wavefront6targetE0EEEvSN_.num_vgpr, 0
	.set _ZN7rocprim17ROCPRIM_400000_NS6detail17trampoline_kernelINS0_14default_configENS1_35radix_sort_onesweep_config_selectorIjN6thrust23THRUST_200600_302600_NS5tupleIffNS6_9null_typeES8_S8_S8_S8_S8_S8_S8_EEEEZZNS1_29radix_sort_onesweep_iterationIS3_Lb0ENS6_6detail15normal_iteratorINS6_10device_ptrIjEEEESG_NSD_INSE_IS9_EEEESI_jNS0_19identity_decomposerENS1_16block_id_wrapperIjLb1EEEEE10hipError_tT1_PNSt15iterator_traitsISN_E10value_typeET2_T3_PNSO_IST_E10value_typeET4_T5_PSY_SZ_PNS1_23onesweep_lookback_stateEbbT6_jjT7_P12ihipStream_tbENKUlT_T0_SN_SS_E_clISG_SG_SI_SI_EEDaS16_S17_SN_SS_EUlS16_E_NS1_11comp_targetILNS1_3genE0ELNS1_11target_archE4294967295ELNS1_3gpuE0ELNS1_3repE0EEENS1_47radix_sort_onesweep_sort_config_static_selectorELNS0_4arch9wavefront6targetE0EEEvSN_.num_agpr, 0
	.set _ZN7rocprim17ROCPRIM_400000_NS6detail17trampoline_kernelINS0_14default_configENS1_35radix_sort_onesweep_config_selectorIjN6thrust23THRUST_200600_302600_NS5tupleIffNS6_9null_typeES8_S8_S8_S8_S8_S8_S8_EEEEZZNS1_29radix_sort_onesweep_iterationIS3_Lb0ENS6_6detail15normal_iteratorINS6_10device_ptrIjEEEESG_NSD_INSE_IS9_EEEESI_jNS0_19identity_decomposerENS1_16block_id_wrapperIjLb1EEEEE10hipError_tT1_PNSt15iterator_traitsISN_E10value_typeET2_T3_PNSO_IST_E10value_typeET4_T5_PSY_SZ_PNS1_23onesweep_lookback_stateEbbT6_jjT7_P12ihipStream_tbENKUlT_T0_SN_SS_E_clISG_SG_SI_SI_EEDaS16_S17_SN_SS_EUlS16_E_NS1_11comp_targetILNS1_3genE0ELNS1_11target_archE4294967295ELNS1_3gpuE0ELNS1_3repE0EEENS1_47radix_sort_onesweep_sort_config_static_selectorELNS0_4arch9wavefront6targetE0EEEvSN_.numbered_sgpr, 0
	.set _ZN7rocprim17ROCPRIM_400000_NS6detail17trampoline_kernelINS0_14default_configENS1_35radix_sort_onesweep_config_selectorIjN6thrust23THRUST_200600_302600_NS5tupleIffNS6_9null_typeES8_S8_S8_S8_S8_S8_S8_EEEEZZNS1_29radix_sort_onesweep_iterationIS3_Lb0ENS6_6detail15normal_iteratorINS6_10device_ptrIjEEEESG_NSD_INSE_IS9_EEEESI_jNS0_19identity_decomposerENS1_16block_id_wrapperIjLb1EEEEE10hipError_tT1_PNSt15iterator_traitsISN_E10value_typeET2_T3_PNSO_IST_E10value_typeET4_T5_PSY_SZ_PNS1_23onesweep_lookback_stateEbbT6_jjT7_P12ihipStream_tbENKUlT_T0_SN_SS_E_clISG_SG_SI_SI_EEDaS16_S17_SN_SS_EUlS16_E_NS1_11comp_targetILNS1_3genE0ELNS1_11target_archE4294967295ELNS1_3gpuE0ELNS1_3repE0EEENS1_47radix_sort_onesweep_sort_config_static_selectorELNS0_4arch9wavefront6targetE0EEEvSN_.num_named_barrier, 0
	.set _ZN7rocprim17ROCPRIM_400000_NS6detail17trampoline_kernelINS0_14default_configENS1_35radix_sort_onesweep_config_selectorIjN6thrust23THRUST_200600_302600_NS5tupleIffNS6_9null_typeES8_S8_S8_S8_S8_S8_S8_EEEEZZNS1_29radix_sort_onesweep_iterationIS3_Lb0ENS6_6detail15normal_iteratorINS6_10device_ptrIjEEEESG_NSD_INSE_IS9_EEEESI_jNS0_19identity_decomposerENS1_16block_id_wrapperIjLb1EEEEE10hipError_tT1_PNSt15iterator_traitsISN_E10value_typeET2_T3_PNSO_IST_E10value_typeET4_T5_PSY_SZ_PNS1_23onesweep_lookback_stateEbbT6_jjT7_P12ihipStream_tbENKUlT_T0_SN_SS_E_clISG_SG_SI_SI_EEDaS16_S17_SN_SS_EUlS16_E_NS1_11comp_targetILNS1_3genE0ELNS1_11target_archE4294967295ELNS1_3gpuE0ELNS1_3repE0EEENS1_47radix_sort_onesweep_sort_config_static_selectorELNS0_4arch9wavefront6targetE0EEEvSN_.private_seg_size, 0
	.set _ZN7rocprim17ROCPRIM_400000_NS6detail17trampoline_kernelINS0_14default_configENS1_35radix_sort_onesweep_config_selectorIjN6thrust23THRUST_200600_302600_NS5tupleIffNS6_9null_typeES8_S8_S8_S8_S8_S8_S8_EEEEZZNS1_29radix_sort_onesweep_iterationIS3_Lb0ENS6_6detail15normal_iteratorINS6_10device_ptrIjEEEESG_NSD_INSE_IS9_EEEESI_jNS0_19identity_decomposerENS1_16block_id_wrapperIjLb1EEEEE10hipError_tT1_PNSt15iterator_traitsISN_E10value_typeET2_T3_PNSO_IST_E10value_typeET4_T5_PSY_SZ_PNS1_23onesweep_lookback_stateEbbT6_jjT7_P12ihipStream_tbENKUlT_T0_SN_SS_E_clISG_SG_SI_SI_EEDaS16_S17_SN_SS_EUlS16_E_NS1_11comp_targetILNS1_3genE0ELNS1_11target_archE4294967295ELNS1_3gpuE0ELNS1_3repE0EEENS1_47radix_sort_onesweep_sort_config_static_selectorELNS0_4arch9wavefront6targetE0EEEvSN_.uses_vcc, 0
	.set _ZN7rocprim17ROCPRIM_400000_NS6detail17trampoline_kernelINS0_14default_configENS1_35radix_sort_onesweep_config_selectorIjN6thrust23THRUST_200600_302600_NS5tupleIffNS6_9null_typeES8_S8_S8_S8_S8_S8_S8_EEEEZZNS1_29radix_sort_onesweep_iterationIS3_Lb0ENS6_6detail15normal_iteratorINS6_10device_ptrIjEEEESG_NSD_INSE_IS9_EEEESI_jNS0_19identity_decomposerENS1_16block_id_wrapperIjLb1EEEEE10hipError_tT1_PNSt15iterator_traitsISN_E10value_typeET2_T3_PNSO_IST_E10value_typeET4_T5_PSY_SZ_PNS1_23onesweep_lookback_stateEbbT6_jjT7_P12ihipStream_tbENKUlT_T0_SN_SS_E_clISG_SG_SI_SI_EEDaS16_S17_SN_SS_EUlS16_E_NS1_11comp_targetILNS1_3genE0ELNS1_11target_archE4294967295ELNS1_3gpuE0ELNS1_3repE0EEENS1_47radix_sort_onesweep_sort_config_static_selectorELNS0_4arch9wavefront6targetE0EEEvSN_.uses_flat_scratch, 0
	.set _ZN7rocprim17ROCPRIM_400000_NS6detail17trampoline_kernelINS0_14default_configENS1_35radix_sort_onesweep_config_selectorIjN6thrust23THRUST_200600_302600_NS5tupleIffNS6_9null_typeES8_S8_S8_S8_S8_S8_S8_EEEEZZNS1_29radix_sort_onesweep_iterationIS3_Lb0ENS6_6detail15normal_iteratorINS6_10device_ptrIjEEEESG_NSD_INSE_IS9_EEEESI_jNS0_19identity_decomposerENS1_16block_id_wrapperIjLb1EEEEE10hipError_tT1_PNSt15iterator_traitsISN_E10value_typeET2_T3_PNSO_IST_E10value_typeET4_T5_PSY_SZ_PNS1_23onesweep_lookback_stateEbbT6_jjT7_P12ihipStream_tbENKUlT_T0_SN_SS_E_clISG_SG_SI_SI_EEDaS16_S17_SN_SS_EUlS16_E_NS1_11comp_targetILNS1_3genE0ELNS1_11target_archE4294967295ELNS1_3gpuE0ELNS1_3repE0EEENS1_47radix_sort_onesweep_sort_config_static_selectorELNS0_4arch9wavefront6targetE0EEEvSN_.has_dyn_sized_stack, 0
	.set _ZN7rocprim17ROCPRIM_400000_NS6detail17trampoline_kernelINS0_14default_configENS1_35radix_sort_onesweep_config_selectorIjN6thrust23THRUST_200600_302600_NS5tupleIffNS6_9null_typeES8_S8_S8_S8_S8_S8_S8_EEEEZZNS1_29radix_sort_onesweep_iterationIS3_Lb0ENS6_6detail15normal_iteratorINS6_10device_ptrIjEEEESG_NSD_INSE_IS9_EEEESI_jNS0_19identity_decomposerENS1_16block_id_wrapperIjLb1EEEEE10hipError_tT1_PNSt15iterator_traitsISN_E10value_typeET2_T3_PNSO_IST_E10value_typeET4_T5_PSY_SZ_PNS1_23onesweep_lookback_stateEbbT6_jjT7_P12ihipStream_tbENKUlT_T0_SN_SS_E_clISG_SG_SI_SI_EEDaS16_S17_SN_SS_EUlS16_E_NS1_11comp_targetILNS1_3genE0ELNS1_11target_archE4294967295ELNS1_3gpuE0ELNS1_3repE0EEENS1_47radix_sort_onesweep_sort_config_static_selectorELNS0_4arch9wavefront6targetE0EEEvSN_.has_recursion, 0
	.set _ZN7rocprim17ROCPRIM_400000_NS6detail17trampoline_kernelINS0_14default_configENS1_35radix_sort_onesweep_config_selectorIjN6thrust23THRUST_200600_302600_NS5tupleIffNS6_9null_typeES8_S8_S8_S8_S8_S8_S8_EEEEZZNS1_29radix_sort_onesweep_iterationIS3_Lb0ENS6_6detail15normal_iteratorINS6_10device_ptrIjEEEESG_NSD_INSE_IS9_EEEESI_jNS0_19identity_decomposerENS1_16block_id_wrapperIjLb1EEEEE10hipError_tT1_PNSt15iterator_traitsISN_E10value_typeET2_T3_PNSO_IST_E10value_typeET4_T5_PSY_SZ_PNS1_23onesweep_lookback_stateEbbT6_jjT7_P12ihipStream_tbENKUlT_T0_SN_SS_E_clISG_SG_SI_SI_EEDaS16_S17_SN_SS_EUlS16_E_NS1_11comp_targetILNS1_3genE0ELNS1_11target_archE4294967295ELNS1_3gpuE0ELNS1_3repE0EEENS1_47radix_sort_onesweep_sort_config_static_selectorELNS0_4arch9wavefront6targetE0EEEvSN_.has_indirect_call, 0
	.section	.AMDGPU.csdata,"",@progbits
; Kernel info:
; codeLenInByte = 0
; TotalNumSgprs: 0
; NumVgprs: 0
; ScratchSize: 0
; MemoryBound: 0
; FloatMode: 240
; IeeeMode: 1
; LDSByteSize: 0 bytes/workgroup (compile time only)
; SGPRBlocks: 0
; VGPRBlocks: 0
; NumSGPRsForWavesPerEU: 1
; NumVGPRsForWavesPerEU: 1
; Occupancy: 16
; WaveLimiterHint : 0
; COMPUTE_PGM_RSRC2:SCRATCH_EN: 0
; COMPUTE_PGM_RSRC2:USER_SGPR: 6
; COMPUTE_PGM_RSRC2:TRAP_HANDLER: 0
; COMPUTE_PGM_RSRC2:TGID_X_EN: 1
; COMPUTE_PGM_RSRC2:TGID_Y_EN: 0
; COMPUTE_PGM_RSRC2:TGID_Z_EN: 0
; COMPUTE_PGM_RSRC2:TIDIG_COMP_CNT: 0
	.section	.text._ZN7rocprim17ROCPRIM_400000_NS6detail17trampoline_kernelINS0_14default_configENS1_35radix_sort_onesweep_config_selectorIjN6thrust23THRUST_200600_302600_NS5tupleIffNS6_9null_typeES8_S8_S8_S8_S8_S8_S8_EEEEZZNS1_29radix_sort_onesweep_iterationIS3_Lb0ENS6_6detail15normal_iteratorINS6_10device_ptrIjEEEESG_NSD_INSE_IS9_EEEESI_jNS0_19identity_decomposerENS1_16block_id_wrapperIjLb1EEEEE10hipError_tT1_PNSt15iterator_traitsISN_E10value_typeET2_T3_PNSO_IST_E10value_typeET4_T5_PSY_SZ_PNS1_23onesweep_lookback_stateEbbT6_jjT7_P12ihipStream_tbENKUlT_T0_SN_SS_E_clISG_SG_SI_SI_EEDaS16_S17_SN_SS_EUlS16_E_NS1_11comp_targetILNS1_3genE6ELNS1_11target_archE950ELNS1_3gpuE13ELNS1_3repE0EEENS1_47radix_sort_onesweep_sort_config_static_selectorELNS0_4arch9wavefront6targetE0EEEvSN_,"axG",@progbits,_ZN7rocprim17ROCPRIM_400000_NS6detail17trampoline_kernelINS0_14default_configENS1_35radix_sort_onesweep_config_selectorIjN6thrust23THRUST_200600_302600_NS5tupleIffNS6_9null_typeES8_S8_S8_S8_S8_S8_S8_EEEEZZNS1_29radix_sort_onesweep_iterationIS3_Lb0ENS6_6detail15normal_iteratorINS6_10device_ptrIjEEEESG_NSD_INSE_IS9_EEEESI_jNS0_19identity_decomposerENS1_16block_id_wrapperIjLb1EEEEE10hipError_tT1_PNSt15iterator_traitsISN_E10value_typeET2_T3_PNSO_IST_E10value_typeET4_T5_PSY_SZ_PNS1_23onesweep_lookback_stateEbbT6_jjT7_P12ihipStream_tbENKUlT_T0_SN_SS_E_clISG_SG_SI_SI_EEDaS16_S17_SN_SS_EUlS16_E_NS1_11comp_targetILNS1_3genE6ELNS1_11target_archE950ELNS1_3gpuE13ELNS1_3repE0EEENS1_47radix_sort_onesweep_sort_config_static_selectorELNS0_4arch9wavefront6targetE0EEEvSN_,comdat
	.protected	_ZN7rocprim17ROCPRIM_400000_NS6detail17trampoline_kernelINS0_14default_configENS1_35radix_sort_onesweep_config_selectorIjN6thrust23THRUST_200600_302600_NS5tupleIffNS6_9null_typeES8_S8_S8_S8_S8_S8_S8_EEEEZZNS1_29radix_sort_onesweep_iterationIS3_Lb0ENS6_6detail15normal_iteratorINS6_10device_ptrIjEEEESG_NSD_INSE_IS9_EEEESI_jNS0_19identity_decomposerENS1_16block_id_wrapperIjLb1EEEEE10hipError_tT1_PNSt15iterator_traitsISN_E10value_typeET2_T3_PNSO_IST_E10value_typeET4_T5_PSY_SZ_PNS1_23onesweep_lookback_stateEbbT6_jjT7_P12ihipStream_tbENKUlT_T0_SN_SS_E_clISG_SG_SI_SI_EEDaS16_S17_SN_SS_EUlS16_E_NS1_11comp_targetILNS1_3genE6ELNS1_11target_archE950ELNS1_3gpuE13ELNS1_3repE0EEENS1_47radix_sort_onesweep_sort_config_static_selectorELNS0_4arch9wavefront6targetE0EEEvSN_ ; -- Begin function _ZN7rocprim17ROCPRIM_400000_NS6detail17trampoline_kernelINS0_14default_configENS1_35radix_sort_onesweep_config_selectorIjN6thrust23THRUST_200600_302600_NS5tupleIffNS6_9null_typeES8_S8_S8_S8_S8_S8_S8_EEEEZZNS1_29radix_sort_onesweep_iterationIS3_Lb0ENS6_6detail15normal_iteratorINS6_10device_ptrIjEEEESG_NSD_INSE_IS9_EEEESI_jNS0_19identity_decomposerENS1_16block_id_wrapperIjLb1EEEEE10hipError_tT1_PNSt15iterator_traitsISN_E10value_typeET2_T3_PNSO_IST_E10value_typeET4_T5_PSY_SZ_PNS1_23onesweep_lookback_stateEbbT6_jjT7_P12ihipStream_tbENKUlT_T0_SN_SS_E_clISG_SG_SI_SI_EEDaS16_S17_SN_SS_EUlS16_E_NS1_11comp_targetILNS1_3genE6ELNS1_11target_archE950ELNS1_3gpuE13ELNS1_3repE0EEENS1_47radix_sort_onesweep_sort_config_static_selectorELNS0_4arch9wavefront6targetE0EEEvSN_
	.globl	_ZN7rocprim17ROCPRIM_400000_NS6detail17trampoline_kernelINS0_14default_configENS1_35radix_sort_onesweep_config_selectorIjN6thrust23THRUST_200600_302600_NS5tupleIffNS6_9null_typeES8_S8_S8_S8_S8_S8_S8_EEEEZZNS1_29radix_sort_onesweep_iterationIS3_Lb0ENS6_6detail15normal_iteratorINS6_10device_ptrIjEEEESG_NSD_INSE_IS9_EEEESI_jNS0_19identity_decomposerENS1_16block_id_wrapperIjLb1EEEEE10hipError_tT1_PNSt15iterator_traitsISN_E10value_typeET2_T3_PNSO_IST_E10value_typeET4_T5_PSY_SZ_PNS1_23onesweep_lookback_stateEbbT6_jjT7_P12ihipStream_tbENKUlT_T0_SN_SS_E_clISG_SG_SI_SI_EEDaS16_S17_SN_SS_EUlS16_E_NS1_11comp_targetILNS1_3genE6ELNS1_11target_archE950ELNS1_3gpuE13ELNS1_3repE0EEENS1_47radix_sort_onesweep_sort_config_static_selectorELNS0_4arch9wavefront6targetE0EEEvSN_
	.p2align	8
	.type	_ZN7rocprim17ROCPRIM_400000_NS6detail17trampoline_kernelINS0_14default_configENS1_35radix_sort_onesweep_config_selectorIjN6thrust23THRUST_200600_302600_NS5tupleIffNS6_9null_typeES8_S8_S8_S8_S8_S8_S8_EEEEZZNS1_29radix_sort_onesweep_iterationIS3_Lb0ENS6_6detail15normal_iteratorINS6_10device_ptrIjEEEESG_NSD_INSE_IS9_EEEESI_jNS0_19identity_decomposerENS1_16block_id_wrapperIjLb1EEEEE10hipError_tT1_PNSt15iterator_traitsISN_E10value_typeET2_T3_PNSO_IST_E10value_typeET4_T5_PSY_SZ_PNS1_23onesweep_lookback_stateEbbT6_jjT7_P12ihipStream_tbENKUlT_T0_SN_SS_E_clISG_SG_SI_SI_EEDaS16_S17_SN_SS_EUlS16_E_NS1_11comp_targetILNS1_3genE6ELNS1_11target_archE950ELNS1_3gpuE13ELNS1_3repE0EEENS1_47radix_sort_onesweep_sort_config_static_selectorELNS0_4arch9wavefront6targetE0EEEvSN_,@function
_ZN7rocprim17ROCPRIM_400000_NS6detail17trampoline_kernelINS0_14default_configENS1_35radix_sort_onesweep_config_selectorIjN6thrust23THRUST_200600_302600_NS5tupleIffNS6_9null_typeES8_S8_S8_S8_S8_S8_S8_EEEEZZNS1_29radix_sort_onesweep_iterationIS3_Lb0ENS6_6detail15normal_iteratorINS6_10device_ptrIjEEEESG_NSD_INSE_IS9_EEEESI_jNS0_19identity_decomposerENS1_16block_id_wrapperIjLb1EEEEE10hipError_tT1_PNSt15iterator_traitsISN_E10value_typeET2_T3_PNSO_IST_E10value_typeET4_T5_PSY_SZ_PNS1_23onesweep_lookback_stateEbbT6_jjT7_P12ihipStream_tbENKUlT_T0_SN_SS_E_clISG_SG_SI_SI_EEDaS16_S17_SN_SS_EUlS16_E_NS1_11comp_targetILNS1_3genE6ELNS1_11target_archE950ELNS1_3gpuE13ELNS1_3repE0EEENS1_47radix_sort_onesweep_sort_config_static_selectorELNS0_4arch9wavefront6targetE0EEEvSN_: ; @_ZN7rocprim17ROCPRIM_400000_NS6detail17trampoline_kernelINS0_14default_configENS1_35radix_sort_onesweep_config_selectorIjN6thrust23THRUST_200600_302600_NS5tupleIffNS6_9null_typeES8_S8_S8_S8_S8_S8_S8_EEEEZZNS1_29radix_sort_onesweep_iterationIS3_Lb0ENS6_6detail15normal_iteratorINS6_10device_ptrIjEEEESG_NSD_INSE_IS9_EEEESI_jNS0_19identity_decomposerENS1_16block_id_wrapperIjLb1EEEEE10hipError_tT1_PNSt15iterator_traitsISN_E10value_typeET2_T3_PNSO_IST_E10value_typeET4_T5_PSY_SZ_PNS1_23onesweep_lookback_stateEbbT6_jjT7_P12ihipStream_tbENKUlT_T0_SN_SS_E_clISG_SG_SI_SI_EEDaS16_S17_SN_SS_EUlS16_E_NS1_11comp_targetILNS1_3genE6ELNS1_11target_archE950ELNS1_3gpuE13ELNS1_3repE0EEENS1_47radix_sort_onesweep_sort_config_static_selectorELNS0_4arch9wavefront6targetE0EEEvSN_
; %bb.0:
	.section	.rodata,"a",@progbits
	.p2align	6, 0x0
	.amdhsa_kernel _ZN7rocprim17ROCPRIM_400000_NS6detail17trampoline_kernelINS0_14default_configENS1_35radix_sort_onesweep_config_selectorIjN6thrust23THRUST_200600_302600_NS5tupleIffNS6_9null_typeES8_S8_S8_S8_S8_S8_S8_EEEEZZNS1_29radix_sort_onesweep_iterationIS3_Lb0ENS6_6detail15normal_iteratorINS6_10device_ptrIjEEEESG_NSD_INSE_IS9_EEEESI_jNS0_19identity_decomposerENS1_16block_id_wrapperIjLb1EEEEE10hipError_tT1_PNSt15iterator_traitsISN_E10value_typeET2_T3_PNSO_IST_E10value_typeET4_T5_PSY_SZ_PNS1_23onesweep_lookback_stateEbbT6_jjT7_P12ihipStream_tbENKUlT_T0_SN_SS_E_clISG_SG_SI_SI_EEDaS16_S17_SN_SS_EUlS16_E_NS1_11comp_targetILNS1_3genE6ELNS1_11target_archE950ELNS1_3gpuE13ELNS1_3repE0EEENS1_47radix_sort_onesweep_sort_config_static_selectorELNS0_4arch9wavefront6targetE0EEEvSN_
		.amdhsa_group_segment_fixed_size 0
		.amdhsa_private_segment_fixed_size 0
		.amdhsa_kernarg_size 88
		.amdhsa_user_sgpr_count 6
		.amdhsa_user_sgpr_private_segment_buffer 1
		.amdhsa_user_sgpr_dispatch_ptr 0
		.amdhsa_user_sgpr_queue_ptr 0
		.amdhsa_user_sgpr_kernarg_segment_ptr 1
		.amdhsa_user_sgpr_dispatch_id 0
		.amdhsa_user_sgpr_flat_scratch_init 0
		.amdhsa_user_sgpr_private_segment_size 0
		.amdhsa_wavefront_size32 1
		.amdhsa_uses_dynamic_stack 0
		.amdhsa_system_sgpr_private_segment_wavefront_offset 0
		.amdhsa_system_sgpr_workgroup_id_x 1
		.amdhsa_system_sgpr_workgroup_id_y 0
		.amdhsa_system_sgpr_workgroup_id_z 0
		.amdhsa_system_sgpr_workgroup_info 0
		.amdhsa_system_vgpr_workitem_id 0
		.amdhsa_next_free_vgpr 1
		.amdhsa_next_free_sgpr 1
		.amdhsa_reserve_vcc 0
		.amdhsa_reserve_flat_scratch 0
		.amdhsa_float_round_mode_32 0
		.amdhsa_float_round_mode_16_64 0
		.amdhsa_float_denorm_mode_32 3
		.amdhsa_float_denorm_mode_16_64 3
		.amdhsa_dx10_clamp 1
		.amdhsa_ieee_mode 1
		.amdhsa_fp16_overflow 0
		.amdhsa_workgroup_processor_mode 1
		.amdhsa_memory_ordered 1
		.amdhsa_forward_progress 1
		.amdhsa_shared_vgpr_count 0
		.amdhsa_exception_fp_ieee_invalid_op 0
		.amdhsa_exception_fp_denorm_src 0
		.amdhsa_exception_fp_ieee_div_zero 0
		.amdhsa_exception_fp_ieee_overflow 0
		.amdhsa_exception_fp_ieee_underflow 0
		.amdhsa_exception_fp_ieee_inexact 0
		.amdhsa_exception_int_div_zero 0
	.end_amdhsa_kernel
	.section	.text._ZN7rocprim17ROCPRIM_400000_NS6detail17trampoline_kernelINS0_14default_configENS1_35radix_sort_onesweep_config_selectorIjN6thrust23THRUST_200600_302600_NS5tupleIffNS6_9null_typeES8_S8_S8_S8_S8_S8_S8_EEEEZZNS1_29radix_sort_onesweep_iterationIS3_Lb0ENS6_6detail15normal_iteratorINS6_10device_ptrIjEEEESG_NSD_INSE_IS9_EEEESI_jNS0_19identity_decomposerENS1_16block_id_wrapperIjLb1EEEEE10hipError_tT1_PNSt15iterator_traitsISN_E10value_typeET2_T3_PNSO_IST_E10value_typeET4_T5_PSY_SZ_PNS1_23onesweep_lookback_stateEbbT6_jjT7_P12ihipStream_tbENKUlT_T0_SN_SS_E_clISG_SG_SI_SI_EEDaS16_S17_SN_SS_EUlS16_E_NS1_11comp_targetILNS1_3genE6ELNS1_11target_archE950ELNS1_3gpuE13ELNS1_3repE0EEENS1_47radix_sort_onesweep_sort_config_static_selectorELNS0_4arch9wavefront6targetE0EEEvSN_,"axG",@progbits,_ZN7rocprim17ROCPRIM_400000_NS6detail17trampoline_kernelINS0_14default_configENS1_35radix_sort_onesweep_config_selectorIjN6thrust23THRUST_200600_302600_NS5tupleIffNS6_9null_typeES8_S8_S8_S8_S8_S8_S8_EEEEZZNS1_29radix_sort_onesweep_iterationIS3_Lb0ENS6_6detail15normal_iteratorINS6_10device_ptrIjEEEESG_NSD_INSE_IS9_EEEESI_jNS0_19identity_decomposerENS1_16block_id_wrapperIjLb1EEEEE10hipError_tT1_PNSt15iterator_traitsISN_E10value_typeET2_T3_PNSO_IST_E10value_typeET4_T5_PSY_SZ_PNS1_23onesweep_lookback_stateEbbT6_jjT7_P12ihipStream_tbENKUlT_T0_SN_SS_E_clISG_SG_SI_SI_EEDaS16_S17_SN_SS_EUlS16_E_NS1_11comp_targetILNS1_3genE6ELNS1_11target_archE950ELNS1_3gpuE13ELNS1_3repE0EEENS1_47radix_sort_onesweep_sort_config_static_selectorELNS0_4arch9wavefront6targetE0EEEvSN_,comdat
.Lfunc_end176:
	.size	_ZN7rocprim17ROCPRIM_400000_NS6detail17trampoline_kernelINS0_14default_configENS1_35radix_sort_onesweep_config_selectorIjN6thrust23THRUST_200600_302600_NS5tupleIffNS6_9null_typeES8_S8_S8_S8_S8_S8_S8_EEEEZZNS1_29radix_sort_onesweep_iterationIS3_Lb0ENS6_6detail15normal_iteratorINS6_10device_ptrIjEEEESG_NSD_INSE_IS9_EEEESI_jNS0_19identity_decomposerENS1_16block_id_wrapperIjLb1EEEEE10hipError_tT1_PNSt15iterator_traitsISN_E10value_typeET2_T3_PNSO_IST_E10value_typeET4_T5_PSY_SZ_PNS1_23onesweep_lookback_stateEbbT6_jjT7_P12ihipStream_tbENKUlT_T0_SN_SS_E_clISG_SG_SI_SI_EEDaS16_S17_SN_SS_EUlS16_E_NS1_11comp_targetILNS1_3genE6ELNS1_11target_archE950ELNS1_3gpuE13ELNS1_3repE0EEENS1_47radix_sort_onesweep_sort_config_static_selectorELNS0_4arch9wavefront6targetE0EEEvSN_, .Lfunc_end176-_ZN7rocprim17ROCPRIM_400000_NS6detail17trampoline_kernelINS0_14default_configENS1_35radix_sort_onesweep_config_selectorIjN6thrust23THRUST_200600_302600_NS5tupleIffNS6_9null_typeES8_S8_S8_S8_S8_S8_S8_EEEEZZNS1_29radix_sort_onesweep_iterationIS3_Lb0ENS6_6detail15normal_iteratorINS6_10device_ptrIjEEEESG_NSD_INSE_IS9_EEEESI_jNS0_19identity_decomposerENS1_16block_id_wrapperIjLb1EEEEE10hipError_tT1_PNSt15iterator_traitsISN_E10value_typeET2_T3_PNSO_IST_E10value_typeET4_T5_PSY_SZ_PNS1_23onesweep_lookback_stateEbbT6_jjT7_P12ihipStream_tbENKUlT_T0_SN_SS_E_clISG_SG_SI_SI_EEDaS16_S17_SN_SS_EUlS16_E_NS1_11comp_targetILNS1_3genE6ELNS1_11target_archE950ELNS1_3gpuE13ELNS1_3repE0EEENS1_47radix_sort_onesweep_sort_config_static_selectorELNS0_4arch9wavefront6targetE0EEEvSN_
                                        ; -- End function
	.set _ZN7rocprim17ROCPRIM_400000_NS6detail17trampoline_kernelINS0_14default_configENS1_35radix_sort_onesweep_config_selectorIjN6thrust23THRUST_200600_302600_NS5tupleIffNS6_9null_typeES8_S8_S8_S8_S8_S8_S8_EEEEZZNS1_29radix_sort_onesweep_iterationIS3_Lb0ENS6_6detail15normal_iteratorINS6_10device_ptrIjEEEESG_NSD_INSE_IS9_EEEESI_jNS0_19identity_decomposerENS1_16block_id_wrapperIjLb1EEEEE10hipError_tT1_PNSt15iterator_traitsISN_E10value_typeET2_T3_PNSO_IST_E10value_typeET4_T5_PSY_SZ_PNS1_23onesweep_lookback_stateEbbT6_jjT7_P12ihipStream_tbENKUlT_T0_SN_SS_E_clISG_SG_SI_SI_EEDaS16_S17_SN_SS_EUlS16_E_NS1_11comp_targetILNS1_3genE6ELNS1_11target_archE950ELNS1_3gpuE13ELNS1_3repE0EEENS1_47radix_sort_onesweep_sort_config_static_selectorELNS0_4arch9wavefront6targetE0EEEvSN_.num_vgpr, 0
	.set _ZN7rocprim17ROCPRIM_400000_NS6detail17trampoline_kernelINS0_14default_configENS1_35radix_sort_onesweep_config_selectorIjN6thrust23THRUST_200600_302600_NS5tupleIffNS6_9null_typeES8_S8_S8_S8_S8_S8_S8_EEEEZZNS1_29radix_sort_onesweep_iterationIS3_Lb0ENS6_6detail15normal_iteratorINS6_10device_ptrIjEEEESG_NSD_INSE_IS9_EEEESI_jNS0_19identity_decomposerENS1_16block_id_wrapperIjLb1EEEEE10hipError_tT1_PNSt15iterator_traitsISN_E10value_typeET2_T3_PNSO_IST_E10value_typeET4_T5_PSY_SZ_PNS1_23onesweep_lookback_stateEbbT6_jjT7_P12ihipStream_tbENKUlT_T0_SN_SS_E_clISG_SG_SI_SI_EEDaS16_S17_SN_SS_EUlS16_E_NS1_11comp_targetILNS1_3genE6ELNS1_11target_archE950ELNS1_3gpuE13ELNS1_3repE0EEENS1_47radix_sort_onesweep_sort_config_static_selectorELNS0_4arch9wavefront6targetE0EEEvSN_.num_agpr, 0
	.set _ZN7rocprim17ROCPRIM_400000_NS6detail17trampoline_kernelINS0_14default_configENS1_35radix_sort_onesweep_config_selectorIjN6thrust23THRUST_200600_302600_NS5tupleIffNS6_9null_typeES8_S8_S8_S8_S8_S8_S8_EEEEZZNS1_29radix_sort_onesweep_iterationIS3_Lb0ENS6_6detail15normal_iteratorINS6_10device_ptrIjEEEESG_NSD_INSE_IS9_EEEESI_jNS0_19identity_decomposerENS1_16block_id_wrapperIjLb1EEEEE10hipError_tT1_PNSt15iterator_traitsISN_E10value_typeET2_T3_PNSO_IST_E10value_typeET4_T5_PSY_SZ_PNS1_23onesweep_lookback_stateEbbT6_jjT7_P12ihipStream_tbENKUlT_T0_SN_SS_E_clISG_SG_SI_SI_EEDaS16_S17_SN_SS_EUlS16_E_NS1_11comp_targetILNS1_3genE6ELNS1_11target_archE950ELNS1_3gpuE13ELNS1_3repE0EEENS1_47radix_sort_onesweep_sort_config_static_selectorELNS0_4arch9wavefront6targetE0EEEvSN_.numbered_sgpr, 0
	.set _ZN7rocprim17ROCPRIM_400000_NS6detail17trampoline_kernelINS0_14default_configENS1_35radix_sort_onesweep_config_selectorIjN6thrust23THRUST_200600_302600_NS5tupleIffNS6_9null_typeES8_S8_S8_S8_S8_S8_S8_EEEEZZNS1_29radix_sort_onesweep_iterationIS3_Lb0ENS6_6detail15normal_iteratorINS6_10device_ptrIjEEEESG_NSD_INSE_IS9_EEEESI_jNS0_19identity_decomposerENS1_16block_id_wrapperIjLb1EEEEE10hipError_tT1_PNSt15iterator_traitsISN_E10value_typeET2_T3_PNSO_IST_E10value_typeET4_T5_PSY_SZ_PNS1_23onesweep_lookback_stateEbbT6_jjT7_P12ihipStream_tbENKUlT_T0_SN_SS_E_clISG_SG_SI_SI_EEDaS16_S17_SN_SS_EUlS16_E_NS1_11comp_targetILNS1_3genE6ELNS1_11target_archE950ELNS1_3gpuE13ELNS1_3repE0EEENS1_47radix_sort_onesweep_sort_config_static_selectorELNS0_4arch9wavefront6targetE0EEEvSN_.num_named_barrier, 0
	.set _ZN7rocprim17ROCPRIM_400000_NS6detail17trampoline_kernelINS0_14default_configENS1_35radix_sort_onesweep_config_selectorIjN6thrust23THRUST_200600_302600_NS5tupleIffNS6_9null_typeES8_S8_S8_S8_S8_S8_S8_EEEEZZNS1_29radix_sort_onesweep_iterationIS3_Lb0ENS6_6detail15normal_iteratorINS6_10device_ptrIjEEEESG_NSD_INSE_IS9_EEEESI_jNS0_19identity_decomposerENS1_16block_id_wrapperIjLb1EEEEE10hipError_tT1_PNSt15iterator_traitsISN_E10value_typeET2_T3_PNSO_IST_E10value_typeET4_T5_PSY_SZ_PNS1_23onesweep_lookback_stateEbbT6_jjT7_P12ihipStream_tbENKUlT_T0_SN_SS_E_clISG_SG_SI_SI_EEDaS16_S17_SN_SS_EUlS16_E_NS1_11comp_targetILNS1_3genE6ELNS1_11target_archE950ELNS1_3gpuE13ELNS1_3repE0EEENS1_47radix_sort_onesweep_sort_config_static_selectorELNS0_4arch9wavefront6targetE0EEEvSN_.private_seg_size, 0
	.set _ZN7rocprim17ROCPRIM_400000_NS6detail17trampoline_kernelINS0_14default_configENS1_35radix_sort_onesweep_config_selectorIjN6thrust23THRUST_200600_302600_NS5tupleIffNS6_9null_typeES8_S8_S8_S8_S8_S8_S8_EEEEZZNS1_29radix_sort_onesweep_iterationIS3_Lb0ENS6_6detail15normal_iteratorINS6_10device_ptrIjEEEESG_NSD_INSE_IS9_EEEESI_jNS0_19identity_decomposerENS1_16block_id_wrapperIjLb1EEEEE10hipError_tT1_PNSt15iterator_traitsISN_E10value_typeET2_T3_PNSO_IST_E10value_typeET4_T5_PSY_SZ_PNS1_23onesweep_lookback_stateEbbT6_jjT7_P12ihipStream_tbENKUlT_T0_SN_SS_E_clISG_SG_SI_SI_EEDaS16_S17_SN_SS_EUlS16_E_NS1_11comp_targetILNS1_3genE6ELNS1_11target_archE950ELNS1_3gpuE13ELNS1_3repE0EEENS1_47radix_sort_onesweep_sort_config_static_selectorELNS0_4arch9wavefront6targetE0EEEvSN_.uses_vcc, 0
	.set _ZN7rocprim17ROCPRIM_400000_NS6detail17trampoline_kernelINS0_14default_configENS1_35radix_sort_onesweep_config_selectorIjN6thrust23THRUST_200600_302600_NS5tupleIffNS6_9null_typeES8_S8_S8_S8_S8_S8_S8_EEEEZZNS1_29radix_sort_onesweep_iterationIS3_Lb0ENS6_6detail15normal_iteratorINS6_10device_ptrIjEEEESG_NSD_INSE_IS9_EEEESI_jNS0_19identity_decomposerENS1_16block_id_wrapperIjLb1EEEEE10hipError_tT1_PNSt15iterator_traitsISN_E10value_typeET2_T3_PNSO_IST_E10value_typeET4_T5_PSY_SZ_PNS1_23onesweep_lookback_stateEbbT6_jjT7_P12ihipStream_tbENKUlT_T0_SN_SS_E_clISG_SG_SI_SI_EEDaS16_S17_SN_SS_EUlS16_E_NS1_11comp_targetILNS1_3genE6ELNS1_11target_archE950ELNS1_3gpuE13ELNS1_3repE0EEENS1_47radix_sort_onesweep_sort_config_static_selectorELNS0_4arch9wavefront6targetE0EEEvSN_.uses_flat_scratch, 0
	.set _ZN7rocprim17ROCPRIM_400000_NS6detail17trampoline_kernelINS0_14default_configENS1_35radix_sort_onesweep_config_selectorIjN6thrust23THRUST_200600_302600_NS5tupleIffNS6_9null_typeES8_S8_S8_S8_S8_S8_S8_EEEEZZNS1_29radix_sort_onesweep_iterationIS3_Lb0ENS6_6detail15normal_iteratorINS6_10device_ptrIjEEEESG_NSD_INSE_IS9_EEEESI_jNS0_19identity_decomposerENS1_16block_id_wrapperIjLb1EEEEE10hipError_tT1_PNSt15iterator_traitsISN_E10value_typeET2_T3_PNSO_IST_E10value_typeET4_T5_PSY_SZ_PNS1_23onesweep_lookback_stateEbbT6_jjT7_P12ihipStream_tbENKUlT_T0_SN_SS_E_clISG_SG_SI_SI_EEDaS16_S17_SN_SS_EUlS16_E_NS1_11comp_targetILNS1_3genE6ELNS1_11target_archE950ELNS1_3gpuE13ELNS1_3repE0EEENS1_47radix_sort_onesweep_sort_config_static_selectorELNS0_4arch9wavefront6targetE0EEEvSN_.has_dyn_sized_stack, 0
	.set _ZN7rocprim17ROCPRIM_400000_NS6detail17trampoline_kernelINS0_14default_configENS1_35radix_sort_onesweep_config_selectorIjN6thrust23THRUST_200600_302600_NS5tupleIffNS6_9null_typeES8_S8_S8_S8_S8_S8_S8_EEEEZZNS1_29radix_sort_onesweep_iterationIS3_Lb0ENS6_6detail15normal_iteratorINS6_10device_ptrIjEEEESG_NSD_INSE_IS9_EEEESI_jNS0_19identity_decomposerENS1_16block_id_wrapperIjLb1EEEEE10hipError_tT1_PNSt15iterator_traitsISN_E10value_typeET2_T3_PNSO_IST_E10value_typeET4_T5_PSY_SZ_PNS1_23onesweep_lookback_stateEbbT6_jjT7_P12ihipStream_tbENKUlT_T0_SN_SS_E_clISG_SG_SI_SI_EEDaS16_S17_SN_SS_EUlS16_E_NS1_11comp_targetILNS1_3genE6ELNS1_11target_archE950ELNS1_3gpuE13ELNS1_3repE0EEENS1_47radix_sort_onesweep_sort_config_static_selectorELNS0_4arch9wavefront6targetE0EEEvSN_.has_recursion, 0
	.set _ZN7rocprim17ROCPRIM_400000_NS6detail17trampoline_kernelINS0_14default_configENS1_35radix_sort_onesweep_config_selectorIjN6thrust23THRUST_200600_302600_NS5tupleIffNS6_9null_typeES8_S8_S8_S8_S8_S8_S8_EEEEZZNS1_29radix_sort_onesweep_iterationIS3_Lb0ENS6_6detail15normal_iteratorINS6_10device_ptrIjEEEESG_NSD_INSE_IS9_EEEESI_jNS0_19identity_decomposerENS1_16block_id_wrapperIjLb1EEEEE10hipError_tT1_PNSt15iterator_traitsISN_E10value_typeET2_T3_PNSO_IST_E10value_typeET4_T5_PSY_SZ_PNS1_23onesweep_lookback_stateEbbT6_jjT7_P12ihipStream_tbENKUlT_T0_SN_SS_E_clISG_SG_SI_SI_EEDaS16_S17_SN_SS_EUlS16_E_NS1_11comp_targetILNS1_3genE6ELNS1_11target_archE950ELNS1_3gpuE13ELNS1_3repE0EEENS1_47radix_sort_onesweep_sort_config_static_selectorELNS0_4arch9wavefront6targetE0EEEvSN_.has_indirect_call, 0
	.section	.AMDGPU.csdata,"",@progbits
; Kernel info:
; codeLenInByte = 0
; TotalNumSgprs: 0
; NumVgprs: 0
; ScratchSize: 0
; MemoryBound: 0
; FloatMode: 240
; IeeeMode: 1
; LDSByteSize: 0 bytes/workgroup (compile time only)
; SGPRBlocks: 0
; VGPRBlocks: 0
; NumSGPRsForWavesPerEU: 1
; NumVGPRsForWavesPerEU: 1
; Occupancy: 16
; WaveLimiterHint : 0
; COMPUTE_PGM_RSRC2:SCRATCH_EN: 0
; COMPUTE_PGM_RSRC2:USER_SGPR: 6
; COMPUTE_PGM_RSRC2:TRAP_HANDLER: 0
; COMPUTE_PGM_RSRC2:TGID_X_EN: 1
; COMPUTE_PGM_RSRC2:TGID_Y_EN: 0
; COMPUTE_PGM_RSRC2:TGID_Z_EN: 0
; COMPUTE_PGM_RSRC2:TIDIG_COMP_CNT: 0
	.section	.text._ZN7rocprim17ROCPRIM_400000_NS6detail17trampoline_kernelINS0_14default_configENS1_35radix_sort_onesweep_config_selectorIjN6thrust23THRUST_200600_302600_NS5tupleIffNS6_9null_typeES8_S8_S8_S8_S8_S8_S8_EEEEZZNS1_29radix_sort_onesweep_iterationIS3_Lb0ENS6_6detail15normal_iteratorINS6_10device_ptrIjEEEESG_NSD_INSE_IS9_EEEESI_jNS0_19identity_decomposerENS1_16block_id_wrapperIjLb1EEEEE10hipError_tT1_PNSt15iterator_traitsISN_E10value_typeET2_T3_PNSO_IST_E10value_typeET4_T5_PSY_SZ_PNS1_23onesweep_lookback_stateEbbT6_jjT7_P12ihipStream_tbENKUlT_T0_SN_SS_E_clISG_SG_SI_SI_EEDaS16_S17_SN_SS_EUlS16_E_NS1_11comp_targetILNS1_3genE5ELNS1_11target_archE942ELNS1_3gpuE9ELNS1_3repE0EEENS1_47radix_sort_onesweep_sort_config_static_selectorELNS0_4arch9wavefront6targetE0EEEvSN_,"axG",@progbits,_ZN7rocprim17ROCPRIM_400000_NS6detail17trampoline_kernelINS0_14default_configENS1_35radix_sort_onesweep_config_selectorIjN6thrust23THRUST_200600_302600_NS5tupleIffNS6_9null_typeES8_S8_S8_S8_S8_S8_S8_EEEEZZNS1_29radix_sort_onesweep_iterationIS3_Lb0ENS6_6detail15normal_iteratorINS6_10device_ptrIjEEEESG_NSD_INSE_IS9_EEEESI_jNS0_19identity_decomposerENS1_16block_id_wrapperIjLb1EEEEE10hipError_tT1_PNSt15iterator_traitsISN_E10value_typeET2_T3_PNSO_IST_E10value_typeET4_T5_PSY_SZ_PNS1_23onesweep_lookback_stateEbbT6_jjT7_P12ihipStream_tbENKUlT_T0_SN_SS_E_clISG_SG_SI_SI_EEDaS16_S17_SN_SS_EUlS16_E_NS1_11comp_targetILNS1_3genE5ELNS1_11target_archE942ELNS1_3gpuE9ELNS1_3repE0EEENS1_47radix_sort_onesweep_sort_config_static_selectorELNS0_4arch9wavefront6targetE0EEEvSN_,comdat
	.protected	_ZN7rocprim17ROCPRIM_400000_NS6detail17trampoline_kernelINS0_14default_configENS1_35radix_sort_onesweep_config_selectorIjN6thrust23THRUST_200600_302600_NS5tupleIffNS6_9null_typeES8_S8_S8_S8_S8_S8_S8_EEEEZZNS1_29radix_sort_onesweep_iterationIS3_Lb0ENS6_6detail15normal_iteratorINS6_10device_ptrIjEEEESG_NSD_INSE_IS9_EEEESI_jNS0_19identity_decomposerENS1_16block_id_wrapperIjLb1EEEEE10hipError_tT1_PNSt15iterator_traitsISN_E10value_typeET2_T3_PNSO_IST_E10value_typeET4_T5_PSY_SZ_PNS1_23onesweep_lookback_stateEbbT6_jjT7_P12ihipStream_tbENKUlT_T0_SN_SS_E_clISG_SG_SI_SI_EEDaS16_S17_SN_SS_EUlS16_E_NS1_11comp_targetILNS1_3genE5ELNS1_11target_archE942ELNS1_3gpuE9ELNS1_3repE0EEENS1_47radix_sort_onesweep_sort_config_static_selectorELNS0_4arch9wavefront6targetE0EEEvSN_ ; -- Begin function _ZN7rocprim17ROCPRIM_400000_NS6detail17trampoline_kernelINS0_14default_configENS1_35radix_sort_onesweep_config_selectorIjN6thrust23THRUST_200600_302600_NS5tupleIffNS6_9null_typeES8_S8_S8_S8_S8_S8_S8_EEEEZZNS1_29radix_sort_onesweep_iterationIS3_Lb0ENS6_6detail15normal_iteratorINS6_10device_ptrIjEEEESG_NSD_INSE_IS9_EEEESI_jNS0_19identity_decomposerENS1_16block_id_wrapperIjLb1EEEEE10hipError_tT1_PNSt15iterator_traitsISN_E10value_typeET2_T3_PNSO_IST_E10value_typeET4_T5_PSY_SZ_PNS1_23onesweep_lookback_stateEbbT6_jjT7_P12ihipStream_tbENKUlT_T0_SN_SS_E_clISG_SG_SI_SI_EEDaS16_S17_SN_SS_EUlS16_E_NS1_11comp_targetILNS1_3genE5ELNS1_11target_archE942ELNS1_3gpuE9ELNS1_3repE0EEENS1_47radix_sort_onesweep_sort_config_static_selectorELNS0_4arch9wavefront6targetE0EEEvSN_
	.globl	_ZN7rocprim17ROCPRIM_400000_NS6detail17trampoline_kernelINS0_14default_configENS1_35radix_sort_onesweep_config_selectorIjN6thrust23THRUST_200600_302600_NS5tupleIffNS6_9null_typeES8_S8_S8_S8_S8_S8_S8_EEEEZZNS1_29radix_sort_onesweep_iterationIS3_Lb0ENS6_6detail15normal_iteratorINS6_10device_ptrIjEEEESG_NSD_INSE_IS9_EEEESI_jNS0_19identity_decomposerENS1_16block_id_wrapperIjLb1EEEEE10hipError_tT1_PNSt15iterator_traitsISN_E10value_typeET2_T3_PNSO_IST_E10value_typeET4_T5_PSY_SZ_PNS1_23onesweep_lookback_stateEbbT6_jjT7_P12ihipStream_tbENKUlT_T0_SN_SS_E_clISG_SG_SI_SI_EEDaS16_S17_SN_SS_EUlS16_E_NS1_11comp_targetILNS1_3genE5ELNS1_11target_archE942ELNS1_3gpuE9ELNS1_3repE0EEENS1_47radix_sort_onesweep_sort_config_static_selectorELNS0_4arch9wavefront6targetE0EEEvSN_
	.p2align	8
	.type	_ZN7rocprim17ROCPRIM_400000_NS6detail17trampoline_kernelINS0_14default_configENS1_35radix_sort_onesweep_config_selectorIjN6thrust23THRUST_200600_302600_NS5tupleIffNS6_9null_typeES8_S8_S8_S8_S8_S8_S8_EEEEZZNS1_29radix_sort_onesweep_iterationIS3_Lb0ENS6_6detail15normal_iteratorINS6_10device_ptrIjEEEESG_NSD_INSE_IS9_EEEESI_jNS0_19identity_decomposerENS1_16block_id_wrapperIjLb1EEEEE10hipError_tT1_PNSt15iterator_traitsISN_E10value_typeET2_T3_PNSO_IST_E10value_typeET4_T5_PSY_SZ_PNS1_23onesweep_lookback_stateEbbT6_jjT7_P12ihipStream_tbENKUlT_T0_SN_SS_E_clISG_SG_SI_SI_EEDaS16_S17_SN_SS_EUlS16_E_NS1_11comp_targetILNS1_3genE5ELNS1_11target_archE942ELNS1_3gpuE9ELNS1_3repE0EEENS1_47radix_sort_onesweep_sort_config_static_selectorELNS0_4arch9wavefront6targetE0EEEvSN_,@function
_ZN7rocprim17ROCPRIM_400000_NS6detail17trampoline_kernelINS0_14default_configENS1_35radix_sort_onesweep_config_selectorIjN6thrust23THRUST_200600_302600_NS5tupleIffNS6_9null_typeES8_S8_S8_S8_S8_S8_S8_EEEEZZNS1_29radix_sort_onesweep_iterationIS3_Lb0ENS6_6detail15normal_iteratorINS6_10device_ptrIjEEEESG_NSD_INSE_IS9_EEEESI_jNS0_19identity_decomposerENS1_16block_id_wrapperIjLb1EEEEE10hipError_tT1_PNSt15iterator_traitsISN_E10value_typeET2_T3_PNSO_IST_E10value_typeET4_T5_PSY_SZ_PNS1_23onesweep_lookback_stateEbbT6_jjT7_P12ihipStream_tbENKUlT_T0_SN_SS_E_clISG_SG_SI_SI_EEDaS16_S17_SN_SS_EUlS16_E_NS1_11comp_targetILNS1_3genE5ELNS1_11target_archE942ELNS1_3gpuE9ELNS1_3repE0EEENS1_47radix_sort_onesweep_sort_config_static_selectorELNS0_4arch9wavefront6targetE0EEEvSN_: ; @_ZN7rocprim17ROCPRIM_400000_NS6detail17trampoline_kernelINS0_14default_configENS1_35radix_sort_onesweep_config_selectorIjN6thrust23THRUST_200600_302600_NS5tupleIffNS6_9null_typeES8_S8_S8_S8_S8_S8_S8_EEEEZZNS1_29radix_sort_onesweep_iterationIS3_Lb0ENS6_6detail15normal_iteratorINS6_10device_ptrIjEEEESG_NSD_INSE_IS9_EEEESI_jNS0_19identity_decomposerENS1_16block_id_wrapperIjLb1EEEEE10hipError_tT1_PNSt15iterator_traitsISN_E10value_typeET2_T3_PNSO_IST_E10value_typeET4_T5_PSY_SZ_PNS1_23onesweep_lookback_stateEbbT6_jjT7_P12ihipStream_tbENKUlT_T0_SN_SS_E_clISG_SG_SI_SI_EEDaS16_S17_SN_SS_EUlS16_E_NS1_11comp_targetILNS1_3genE5ELNS1_11target_archE942ELNS1_3gpuE9ELNS1_3repE0EEENS1_47radix_sort_onesweep_sort_config_static_selectorELNS0_4arch9wavefront6targetE0EEEvSN_
; %bb.0:
	.section	.rodata,"a",@progbits
	.p2align	6, 0x0
	.amdhsa_kernel _ZN7rocprim17ROCPRIM_400000_NS6detail17trampoline_kernelINS0_14default_configENS1_35radix_sort_onesweep_config_selectorIjN6thrust23THRUST_200600_302600_NS5tupleIffNS6_9null_typeES8_S8_S8_S8_S8_S8_S8_EEEEZZNS1_29radix_sort_onesweep_iterationIS3_Lb0ENS6_6detail15normal_iteratorINS6_10device_ptrIjEEEESG_NSD_INSE_IS9_EEEESI_jNS0_19identity_decomposerENS1_16block_id_wrapperIjLb1EEEEE10hipError_tT1_PNSt15iterator_traitsISN_E10value_typeET2_T3_PNSO_IST_E10value_typeET4_T5_PSY_SZ_PNS1_23onesweep_lookback_stateEbbT6_jjT7_P12ihipStream_tbENKUlT_T0_SN_SS_E_clISG_SG_SI_SI_EEDaS16_S17_SN_SS_EUlS16_E_NS1_11comp_targetILNS1_3genE5ELNS1_11target_archE942ELNS1_3gpuE9ELNS1_3repE0EEENS1_47radix_sort_onesweep_sort_config_static_selectorELNS0_4arch9wavefront6targetE0EEEvSN_
		.amdhsa_group_segment_fixed_size 0
		.amdhsa_private_segment_fixed_size 0
		.amdhsa_kernarg_size 88
		.amdhsa_user_sgpr_count 6
		.amdhsa_user_sgpr_private_segment_buffer 1
		.amdhsa_user_sgpr_dispatch_ptr 0
		.amdhsa_user_sgpr_queue_ptr 0
		.amdhsa_user_sgpr_kernarg_segment_ptr 1
		.amdhsa_user_sgpr_dispatch_id 0
		.amdhsa_user_sgpr_flat_scratch_init 0
		.amdhsa_user_sgpr_private_segment_size 0
		.amdhsa_wavefront_size32 1
		.amdhsa_uses_dynamic_stack 0
		.amdhsa_system_sgpr_private_segment_wavefront_offset 0
		.amdhsa_system_sgpr_workgroup_id_x 1
		.amdhsa_system_sgpr_workgroup_id_y 0
		.amdhsa_system_sgpr_workgroup_id_z 0
		.amdhsa_system_sgpr_workgroup_info 0
		.amdhsa_system_vgpr_workitem_id 0
		.amdhsa_next_free_vgpr 1
		.amdhsa_next_free_sgpr 1
		.amdhsa_reserve_vcc 0
		.amdhsa_reserve_flat_scratch 0
		.amdhsa_float_round_mode_32 0
		.amdhsa_float_round_mode_16_64 0
		.amdhsa_float_denorm_mode_32 3
		.amdhsa_float_denorm_mode_16_64 3
		.amdhsa_dx10_clamp 1
		.amdhsa_ieee_mode 1
		.amdhsa_fp16_overflow 0
		.amdhsa_workgroup_processor_mode 1
		.amdhsa_memory_ordered 1
		.amdhsa_forward_progress 1
		.amdhsa_shared_vgpr_count 0
		.amdhsa_exception_fp_ieee_invalid_op 0
		.amdhsa_exception_fp_denorm_src 0
		.amdhsa_exception_fp_ieee_div_zero 0
		.amdhsa_exception_fp_ieee_overflow 0
		.amdhsa_exception_fp_ieee_underflow 0
		.amdhsa_exception_fp_ieee_inexact 0
		.amdhsa_exception_int_div_zero 0
	.end_amdhsa_kernel
	.section	.text._ZN7rocprim17ROCPRIM_400000_NS6detail17trampoline_kernelINS0_14default_configENS1_35radix_sort_onesweep_config_selectorIjN6thrust23THRUST_200600_302600_NS5tupleIffNS6_9null_typeES8_S8_S8_S8_S8_S8_S8_EEEEZZNS1_29radix_sort_onesweep_iterationIS3_Lb0ENS6_6detail15normal_iteratorINS6_10device_ptrIjEEEESG_NSD_INSE_IS9_EEEESI_jNS0_19identity_decomposerENS1_16block_id_wrapperIjLb1EEEEE10hipError_tT1_PNSt15iterator_traitsISN_E10value_typeET2_T3_PNSO_IST_E10value_typeET4_T5_PSY_SZ_PNS1_23onesweep_lookback_stateEbbT6_jjT7_P12ihipStream_tbENKUlT_T0_SN_SS_E_clISG_SG_SI_SI_EEDaS16_S17_SN_SS_EUlS16_E_NS1_11comp_targetILNS1_3genE5ELNS1_11target_archE942ELNS1_3gpuE9ELNS1_3repE0EEENS1_47radix_sort_onesweep_sort_config_static_selectorELNS0_4arch9wavefront6targetE0EEEvSN_,"axG",@progbits,_ZN7rocprim17ROCPRIM_400000_NS6detail17trampoline_kernelINS0_14default_configENS1_35radix_sort_onesweep_config_selectorIjN6thrust23THRUST_200600_302600_NS5tupleIffNS6_9null_typeES8_S8_S8_S8_S8_S8_S8_EEEEZZNS1_29radix_sort_onesweep_iterationIS3_Lb0ENS6_6detail15normal_iteratorINS6_10device_ptrIjEEEESG_NSD_INSE_IS9_EEEESI_jNS0_19identity_decomposerENS1_16block_id_wrapperIjLb1EEEEE10hipError_tT1_PNSt15iterator_traitsISN_E10value_typeET2_T3_PNSO_IST_E10value_typeET4_T5_PSY_SZ_PNS1_23onesweep_lookback_stateEbbT6_jjT7_P12ihipStream_tbENKUlT_T0_SN_SS_E_clISG_SG_SI_SI_EEDaS16_S17_SN_SS_EUlS16_E_NS1_11comp_targetILNS1_3genE5ELNS1_11target_archE942ELNS1_3gpuE9ELNS1_3repE0EEENS1_47radix_sort_onesweep_sort_config_static_selectorELNS0_4arch9wavefront6targetE0EEEvSN_,comdat
.Lfunc_end177:
	.size	_ZN7rocprim17ROCPRIM_400000_NS6detail17trampoline_kernelINS0_14default_configENS1_35radix_sort_onesweep_config_selectorIjN6thrust23THRUST_200600_302600_NS5tupleIffNS6_9null_typeES8_S8_S8_S8_S8_S8_S8_EEEEZZNS1_29radix_sort_onesweep_iterationIS3_Lb0ENS6_6detail15normal_iteratorINS6_10device_ptrIjEEEESG_NSD_INSE_IS9_EEEESI_jNS0_19identity_decomposerENS1_16block_id_wrapperIjLb1EEEEE10hipError_tT1_PNSt15iterator_traitsISN_E10value_typeET2_T3_PNSO_IST_E10value_typeET4_T5_PSY_SZ_PNS1_23onesweep_lookback_stateEbbT6_jjT7_P12ihipStream_tbENKUlT_T0_SN_SS_E_clISG_SG_SI_SI_EEDaS16_S17_SN_SS_EUlS16_E_NS1_11comp_targetILNS1_3genE5ELNS1_11target_archE942ELNS1_3gpuE9ELNS1_3repE0EEENS1_47radix_sort_onesweep_sort_config_static_selectorELNS0_4arch9wavefront6targetE0EEEvSN_, .Lfunc_end177-_ZN7rocprim17ROCPRIM_400000_NS6detail17trampoline_kernelINS0_14default_configENS1_35radix_sort_onesweep_config_selectorIjN6thrust23THRUST_200600_302600_NS5tupleIffNS6_9null_typeES8_S8_S8_S8_S8_S8_S8_EEEEZZNS1_29radix_sort_onesweep_iterationIS3_Lb0ENS6_6detail15normal_iteratorINS6_10device_ptrIjEEEESG_NSD_INSE_IS9_EEEESI_jNS0_19identity_decomposerENS1_16block_id_wrapperIjLb1EEEEE10hipError_tT1_PNSt15iterator_traitsISN_E10value_typeET2_T3_PNSO_IST_E10value_typeET4_T5_PSY_SZ_PNS1_23onesweep_lookback_stateEbbT6_jjT7_P12ihipStream_tbENKUlT_T0_SN_SS_E_clISG_SG_SI_SI_EEDaS16_S17_SN_SS_EUlS16_E_NS1_11comp_targetILNS1_3genE5ELNS1_11target_archE942ELNS1_3gpuE9ELNS1_3repE0EEENS1_47radix_sort_onesweep_sort_config_static_selectorELNS0_4arch9wavefront6targetE0EEEvSN_
                                        ; -- End function
	.set _ZN7rocprim17ROCPRIM_400000_NS6detail17trampoline_kernelINS0_14default_configENS1_35radix_sort_onesweep_config_selectorIjN6thrust23THRUST_200600_302600_NS5tupleIffNS6_9null_typeES8_S8_S8_S8_S8_S8_S8_EEEEZZNS1_29radix_sort_onesweep_iterationIS3_Lb0ENS6_6detail15normal_iteratorINS6_10device_ptrIjEEEESG_NSD_INSE_IS9_EEEESI_jNS0_19identity_decomposerENS1_16block_id_wrapperIjLb1EEEEE10hipError_tT1_PNSt15iterator_traitsISN_E10value_typeET2_T3_PNSO_IST_E10value_typeET4_T5_PSY_SZ_PNS1_23onesweep_lookback_stateEbbT6_jjT7_P12ihipStream_tbENKUlT_T0_SN_SS_E_clISG_SG_SI_SI_EEDaS16_S17_SN_SS_EUlS16_E_NS1_11comp_targetILNS1_3genE5ELNS1_11target_archE942ELNS1_3gpuE9ELNS1_3repE0EEENS1_47radix_sort_onesweep_sort_config_static_selectorELNS0_4arch9wavefront6targetE0EEEvSN_.num_vgpr, 0
	.set _ZN7rocprim17ROCPRIM_400000_NS6detail17trampoline_kernelINS0_14default_configENS1_35radix_sort_onesweep_config_selectorIjN6thrust23THRUST_200600_302600_NS5tupleIffNS6_9null_typeES8_S8_S8_S8_S8_S8_S8_EEEEZZNS1_29radix_sort_onesweep_iterationIS3_Lb0ENS6_6detail15normal_iteratorINS6_10device_ptrIjEEEESG_NSD_INSE_IS9_EEEESI_jNS0_19identity_decomposerENS1_16block_id_wrapperIjLb1EEEEE10hipError_tT1_PNSt15iterator_traitsISN_E10value_typeET2_T3_PNSO_IST_E10value_typeET4_T5_PSY_SZ_PNS1_23onesweep_lookback_stateEbbT6_jjT7_P12ihipStream_tbENKUlT_T0_SN_SS_E_clISG_SG_SI_SI_EEDaS16_S17_SN_SS_EUlS16_E_NS1_11comp_targetILNS1_3genE5ELNS1_11target_archE942ELNS1_3gpuE9ELNS1_3repE0EEENS1_47radix_sort_onesweep_sort_config_static_selectorELNS0_4arch9wavefront6targetE0EEEvSN_.num_agpr, 0
	.set _ZN7rocprim17ROCPRIM_400000_NS6detail17trampoline_kernelINS0_14default_configENS1_35radix_sort_onesweep_config_selectorIjN6thrust23THRUST_200600_302600_NS5tupleIffNS6_9null_typeES8_S8_S8_S8_S8_S8_S8_EEEEZZNS1_29radix_sort_onesweep_iterationIS3_Lb0ENS6_6detail15normal_iteratorINS6_10device_ptrIjEEEESG_NSD_INSE_IS9_EEEESI_jNS0_19identity_decomposerENS1_16block_id_wrapperIjLb1EEEEE10hipError_tT1_PNSt15iterator_traitsISN_E10value_typeET2_T3_PNSO_IST_E10value_typeET4_T5_PSY_SZ_PNS1_23onesweep_lookback_stateEbbT6_jjT7_P12ihipStream_tbENKUlT_T0_SN_SS_E_clISG_SG_SI_SI_EEDaS16_S17_SN_SS_EUlS16_E_NS1_11comp_targetILNS1_3genE5ELNS1_11target_archE942ELNS1_3gpuE9ELNS1_3repE0EEENS1_47radix_sort_onesweep_sort_config_static_selectorELNS0_4arch9wavefront6targetE0EEEvSN_.numbered_sgpr, 0
	.set _ZN7rocprim17ROCPRIM_400000_NS6detail17trampoline_kernelINS0_14default_configENS1_35radix_sort_onesweep_config_selectorIjN6thrust23THRUST_200600_302600_NS5tupleIffNS6_9null_typeES8_S8_S8_S8_S8_S8_S8_EEEEZZNS1_29radix_sort_onesweep_iterationIS3_Lb0ENS6_6detail15normal_iteratorINS6_10device_ptrIjEEEESG_NSD_INSE_IS9_EEEESI_jNS0_19identity_decomposerENS1_16block_id_wrapperIjLb1EEEEE10hipError_tT1_PNSt15iterator_traitsISN_E10value_typeET2_T3_PNSO_IST_E10value_typeET4_T5_PSY_SZ_PNS1_23onesweep_lookback_stateEbbT6_jjT7_P12ihipStream_tbENKUlT_T0_SN_SS_E_clISG_SG_SI_SI_EEDaS16_S17_SN_SS_EUlS16_E_NS1_11comp_targetILNS1_3genE5ELNS1_11target_archE942ELNS1_3gpuE9ELNS1_3repE0EEENS1_47radix_sort_onesweep_sort_config_static_selectorELNS0_4arch9wavefront6targetE0EEEvSN_.num_named_barrier, 0
	.set _ZN7rocprim17ROCPRIM_400000_NS6detail17trampoline_kernelINS0_14default_configENS1_35radix_sort_onesweep_config_selectorIjN6thrust23THRUST_200600_302600_NS5tupleIffNS6_9null_typeES8_S8_S8_S8_S8_S8_S8_EEEEZZNS1_29radix_sort_onesweep_iterationIS3_Lb0ENS6_6detail15normal_iteratorINS6_10device_ptrIjEEEESG_NSD_INSE_IS9_EEEESI_jNS0_19identity_decomposerENS1_16block_id_wrapperIjLb1EEEEE10hipError_tT1_PNSt15iterator_traitsISN_E10value_typeET2_T3_PNSO_IST_E10value_typeET4_T5_PSY_SZ_PNS1_23onesweep_lookback_stateEbbT6_jjT7_P12ihipStream_tbENKUlT_T0_SN_SS_E_clISG_SG_SI_SI_EEDaS16_S17_SN_SS_EUlS16_E_NS1_11comp_targetILNS1_3genE5ELNS1_11target_archE942ELNS1_3gpuE9ELNS1_3repE0EEENS1_47radix_sort_onesweep_sort_config_static_selectorELNS0_4arch9wavefront6targetE0EEEvSN_.private_seg_size, 0
	.set _ZN7rocprim17ROCPRIM_400000_NS6detail17trampoline_kernelINS0_14default_configENS1_35radix_sort_onesweep_config_selectorIjN6thrust23THRUST_200600_302600_NS5tupleIffNS6_9null_typeES8_S8_S8_S8_S8_S8_S8_EEEEZZNS1_29radix_sort_onesweep_iterationIS3_Lb0ENS6_6detail15normal_iteratorINS6_10device_ptrIjEEEESG_NSD_INSE_IS9_EEEESI_jNS0_19identity_decomposerENS1_16block_id_wrapperIjLb1EEEEE10hipError_tT1_PNSt15iterator_traitsISN_E10value_typeET2_T3_PNSO_IST_E10value_typeET4_T5_PSY_SZ_PNS1_23onesweep_lookback_stateEbbT6_jjT7_P12ihipStream_tbENKUlT_T0_SN_SS_E_clISG_SG_SI_SI_EEDaS16_S17_SN_SS_EUlS16_E_NS1_11comp_targetILNS1_3genE5ELNS1_11target_archE942ELNS1_3gpuE9ELNS1_3repE0EEENS1_47radix_sort_onesweep_sort_config_static_selectorELNS0_4arch9wavefront6targetE0EEEvSN_.uses_vcc, 0
	.set _ZN7rocprim17ROCPRIM_400000_NS6detail17trampoline_kernelINS0_14default_configENS1_35radix_sort_onesweep_config_selectorIjN6thrust23THRUST_200600_302600_NS5tupleIffNS6_9null_typeES8_S8_S8_S8_S8_S8_S8_EEEEZZNS1_29radix_sort_onesweep_iterationIS3_Lb0ENS6_6detail15normal_iteratorINS6_10device_ptrIjEEEESG_NSD_INSE_IS9_EEEESI_jNS0_19identity_decomposerENS1_16block_id_wrapperIjLb1EEEEE10hipError_tT1_PNSt15iterator_traitsISN_E10value_typeET2_T3_PNSO_IST_E10value_typeET4_T5_PSY_SZ_PNS1_23onesweep_lookback_stateEbbT6_jjT7_P12ihipStream_tbENKUlT_T0_SN_SS_E_clISG_SG_SI_SI_EEDaS16_S17_SN_SS_EUlS16_E_NS1_11comp_targetILNS1_3genE5ELNS1_11target_archE942ELNS1_3gpuE9ELNS1_3repE0EEENS1_47radix_sort_onesweep_sort_config_static_selectorELNS0_4arch9wavefront6targetE0EEEvSN_.uses_flat_scratch, 0
	.set _ZN7rocprim17ROCPRIM_400000_NS6detail17trampoline_kernelINS0_14default_configENS1_35radix_sort_onesweep_config_selectorIjN6thrust23THRUST_200600_302600_NS5tupleIffNS6_9null_typeES8_S8_S8_S8_S8_S8_S8_EEEEZZNS1_29radix_sort_onesweep_iterationIS3_Lb0ENS6_6detail15normal_iteratorINS6_10device_ptrIjEEEESG_NSD_INSE_IS9_EEEESI_jNS0_19identity_decomposerENS1_16block_id_wrapperIjLb1EEEEE10hipError_tT1_PNSt15iterator_traitsISN_E10value_typeET2_T3_PNSO_IST_E10value_typeET4_T5_PSY_SZ_PNS1_23onesweep_lookback_stateEbbT6_jjT7_P12ihipStream_tbENKUlT_T0_SN_SS_E_clISG_SG_SI_SI_EEDaS16_S17_SN_SS_EUlS16_E_NS1_11comp_targetILNS1_3genE5ELNS1_11target_archE942ELNS1_3gpuE9ELNS1_3repE0EEENS1_47radix_sort_onesweep_sort_config_static_selectorELNS0_4arch9wavefront6targetE0EEEvSN_.has_dyn_sized_stack, 0
	.set _ZN7rocprim17ROCPRIM_400000_NS6detail17trampoline_kernelINS0_14default_configENS1_35radix_sort_onesweep_config_selectorIjN6thrust23THRUST_200600_302600_NS5tupleIffNS6_9null_typeES8_S8_S8_S8_S8_S8_S8_EEEEZZNS1_29radix_sort_onesweep_iterationIS3_Lb0ENS6_6detail15normal_iteratorINS6_10device_ptrIjEEEESG_NSD_INSE_IS9_EEEESI_jNS0_19identity_decomposerENS1_16block_id_wrapperIjLb1EEEEE10hipError_tT1_PNSt15iterator_traitsISN_E10value_typeET2_T3_PNSO_IST_E10value_typeET4_T5_PSY_SZ_PNS1_23onesweep_lookback_stateEbbT6_jjT7_P12ihipStream_tbENKUlT_T0_SN_SS_E_clISG_SG_SI_SI_EEDaS16_S17_SN_SS_EUlS16_E_NS1_11comp_targetILNS1_3genE5ELNS1_11target_archE942ELNS1_3gpuE9ELNS1_3repE0EEENS1_47radix_sort_onesweep_sort_config_static_selectorELNS0_4arch9wavefront6targetE0EEEvSN_.has_recursion, 0
	.set _ZN7rocprim17ROCPRIM_400000_NS6detail17trampoline_kernelINS0_14default_configENS1_35radix_sort_onesweep_config_selectorIjN6thrust23THRUST_200600_302600_NS5tupleIffNS6_9null_typeES8_S8_S8_S8_S8_S8_S8_EEEEZZNS1_29radix_sort_onesweep_iterationIS3_Lb0ENS6_6detail15normal_iteratorINS6_10device_ptrIjEEEESG_NSD_INSE_IS9_EEEESI_jNS0_19identity_decomposerENS1_16block_id_wrapperIjLb1EEEEE10hipError_tT1_PNSt15iterator_traitsISN_E10value_typeET2_T3_PNSO_IST_E10value_typeET4_T5_PSY_SZ_PNS1_23onesweep_lookback_stateEbbT6_jjT7_P12ihipStream_tbENKUlT_T0_SN_SS_E_clISG_SG_SI_SI_EEDaS16_S17_SN_SS_EUlS16_E_NS1_11comp_targetILNS1_3genE5ELNS1_11target_archE942ELNS1_3gpuE9ELNS1_3repE0EEENS1_47radix_sort_onesweep_sort_config_static_selectorELNS0_4arch9wavefront6targetE0EEEvSN_.has_indirect_call, 0
	.section	.AMDGPU.csdata,"",@progbits
; Kernel info:
; codeLenInByte = 0
; TotalNumSgprs: 0
; NumVgprs: 0
; ScratchSize: 0
; MemoryBound: 0
; FloatMode: 240
; IeeeMode: 1
; LDSByteSize: 0 bytes/workgroup (compile time only)
; SGPRBlocks: 0
; VGPRBlocks: 0
; NumSGPRsForWavesPerEU: 1
; NumVGPRsForWavesPerEU: 1
; Occupancy: 16
; WaveLimiterHint : 0
; COMPUTE_PGM_RSRC2:SCRATCH_EN: 0
; COMPUTE_PGM_RSRC2:USER_SGPR: 6
; COMPUTE_PGM_RSRC2:TRAP_HANDLER: 0
; COMPUTE_PGM_RSRC2:TGID_X_EN: 1
; COMPUTE_PGM_RSRC2:TGID_Y_EN: 0
; COMPUTE_PGM_RSRC2:TGID_Z_EN: 0
; COMPUTE_PGM_RSRC2:TIDIG_COMP_CNT: 0
	.section	.text._ZN7rocprim17ROCPRIM_400000_NS6detail17trampoline_kernelINS0_14default_configENS1_35radix_sort_onesweep_config_selectorIjN6thrust23THRUST_200600_302600_NS5tupleIffNS6_9null_typeES8_S8_S8_S8_S8_S8_S8_EEEEZZNS1_29radix_sort_onesweep_iterationIS3_Lb0ENS6_6detail15normal_iteratorINS6_10device_ptrIjEEEESG_NSD_INSE_IS9_EEEESI_jNS0_19identity_decomposerENS1_16block_id_wrapperIjLb1EEEEE10hipError_tT1_PNSt15iterator_traitsISN_E10value_typeET2_T3_PNSO_IST_E10value_typeET4_T5_PSY_SZ_PNS1_23onesweep_lookback_stateEbbT6_jjT7_P12ihipStream_tbENKUlT_T0_SN_SS_E_clISG_SG_SI_SI_EEDaS16_S17_SN_SS_EUlS16_E_NS1_11comp_targetILNS1_3genE2ELNS1_11target_archE906ELNS1_3gpuE6ELNS1_3repE0EEENS1_47radix_sort_onesweep_sort_config_static_selectorELNS0_4arch9wavefront6targetE0EEEvSN_,"axG",@progbits,_ZN7rocprim17ROCPRIM_400000_NS6detail17trampoline_kernelINS0_14default_configENS1_35radix_sort_onesweep_config_selectorIjN6thrust23THRUST_200600_302600_NS5tupleIffNS6_9null_typeES8_S8_S8_S8_S8_S8_S8_EEEEZZNS1_29radix_sort_onesweep_iterationIS3_Lb0ENS6_6detail15normal_iteratorINS6_10device_ptrIjEEEESG_NSD_INSE_IS9_EEEESI_jNS0_19identity_decomposerENS1_16block_id_wrapperIjLb1EEEEE10hipError_tT1_PNSt15iterator_traitsISN_E10value_typeET2_T3_PNSO_IST_E10value_typeET4_T5_PSY_SZ_PNS1_23onesweep_lookback_stateEbbT6_jjT7_P12ihipStream_tbENKUlT_T0_SN_SS_E_clISG_SG_SI_SI_EEDaS16_S17_SN_SS_EUlS16_E_NS1_11comp_targetILNS1_3genE2ELNS1_11target_archE906ELNS1_3gpuE6ELNS1_3repE0EEENS1_47radix_sort_onesweep_sort_config_static_selectorELNS0_4arch9wavefront6targetE0EEEvSN_,comdat
	.protected	_ZN7rocprim17ROCPRIM_400000_NS6detail17trampoline_kernelINS0_14default_configENS1_35radix_sort_onesweep_config_selectorIjN6thrust23THRUST_200600_302600_NS5tupleIffNS6_9null_typeES8_S8_S8_S8_S8_S8_S8_EEEEZZNS1_29radix_sort_onesweep_iterationIS3_Lb0ENS6_6detail15normal_iteratorINS6_10device_ptrIjEEEESG_NSD_INSE_IS9_EEEESI_jNS0_19identity_decomposerENS1_16block_id_wrapperIjLb1EEEEE10hipError_tT1_PNSt15iterator_traitsISN_E10value_typeET2_T3_PNSO_IST_E10value_typeET4_T5_PSY_SZ_PNS1_23onesweep_lookback_stateEbbT6_jjT7_P12ihipStream_tbENKUlT_T0_SN_SS_E_clISG_SG_SI_SI_EEDaS16_S17_SN_SS_EUlS16_E_NS1_11comp_targetILNS1_3genE2ELNS1_11target_archE906ELNS1_3gpuE6ELNS1_3repE0EEENS1_47radix_sort_onesweep_sort_config_static_selectorELNS0_4arch9wavefront6targetE0EEEvSN_ ; -- Begin function _ZN7rocprim17ROCPRIM_400000_NS6detail17trampoline_kernelINS0_14default_configENS1_35radix_sort_onesweep_config_selectorIjN6thrust23THRUST_200600_302600_NS5tupleIffNS6_9null_typeES8_S8_S8_S8_S8_S8_S8_EEEEZZNS1_29radix_sort_onesweep_iterationIS3_Lb0ENS6_6detail15normal_iteratorINS6_10device_ptrIjEEEESG_NSD_INSE_IS9_EEEESI_jNS0_19identity_decomposerENS1_16block_id_wrapperIjLb1EEEEE10hipError_tT1_PNSt15iterator_traitsISN_E10value_typeET2_T3_PNSO_IST_E10value_typeET4_T5_PSY_SZ_PNS1_23onesweep_lookback_stateEbbT6_jjT7_P12ihipStream_tbENKUlT_T0_SN_SS_E_clISG_SG_SI_SI_EEDaS16_S17_SN_SS_EUlS16_E_NS1_11comp_targetILNS1_3genE2ELNS1_11target_archE906ELNS1_3gpuE6ELNS1_3repE0EEENS1_47radix_sort_onesweep_sort_config_static_selectorELNS0_4arch9wavefront6targetE0EEEvSN_
	.globl	_ZN7rocprim17ROCPRIM_400000_NS6detail17trampoline_kernelINS0_14default_configENS1_35radix_sort_onesweep_config_selectorIjN6thrust23THRUST_200600_302600_NS5tupleIffNS6_9null_typeES8_S8_S8_S8_S8_S8_S8_EEEEZZNS1_29radix_sort_onesweep_iterationIS3_Lb0ENS6_6detail15normal_iteratorINS6_10device_ptrIjEEEESG_NSD_INSE_IS9_EEEESI_jNS0_19identity_decomposerENS1_16block_id_wrapperIjLb1EEEEE10hipError_tT1_PNSt15iterator_traitsISN_E10value_typeET2_T3_PNSO_IST_E10value_typeET4_T5_PSY_SZ_PNS1_23onesweep_lookback_stateEbbT6_jjT7_P12ihipStream_tbENKUlT_T0_SN_SS_E_clISG_SG_SI_SI_EEDaS16_S17_SN_SS_EUlS16_E_NS1_11comp_targetILNS1_3genE2ELNS1_11target_archE906ELNS1_3gpuE6ELNS1_3repE0EEENS1_47radix_sort_onesweep_sort_config_static_selectorELNS0_4arch9wavefront6targetE0EEEvSN_
	.p2align	8
	.type	_ZN7rocprim17ROCPRIM_400000_NS6detail17trampoline_kernelINS0_14default_configENS1_35radix_sort_onesweep_config_selectorIjN6thrust23THRUST_200600_302600_NS5tupleIffNS6_9null_typeES8_S8_S8_S8_S8_S8_S8_EEEEZZNS1_29radix_sort_onesweep_iterationIS3_Lb0ENS6_6detail15normal_iteratorINS6_10device_ptrIjEEEESG_NSD_INSE_IS9_EEEESI_jNS0_19identity_decomposerENS1_16block_id_wrapperIjLb1EEEEE10hipError_tT1_PNSt15iterator_traitsISN_E10value_typeET2_T3_PNSO_IST_E10value_typeET4_T5_PSY_SZ_PNS1_23onesweep_lookback_stateEbbT6_jjT7_P12ihipStream_tbENKUlT_T0_SN_SS_E_clISG_SG_SI_SI_EEDaS16_S17_SN_SS_EUlS16_E_NS1_11comp_targetILNS1_3genE2ELNS1_11target_archE906ELNS1_3gpuE6ELNS1_3repE0EEENS1_47radix_sort_onesweep_sort_config_static_selectorELNS0_4arch9wavefront6targetE0EEEvSN_,@function
_ZN7rocprim17ROCPRIM_400000_NS6detail17trampoline_kernelINS0_14default_configENS1_35radix_sort_onesweep_config_selectorIjN6thrust23THRUST_200600_302600_NS5tupleIffNS6_9null_typeES8_S8_S8_S8_S8_S8_S8_EEEEZZNS1_29radix_sort_onesweep_iterationIS3_Lb0ENS6_6detail15normal_iteratorINS6_10device_ptrIjEEEESG_NSD_INSE_IS9_EEEESI_jNS0_19identity_decomposerENS1_16block_id_wrapperIjLb1EEEEE10hipError_tT1_PNSt15iterator_traitsISN_E10value_typeET2_T3_PNSO_IST_E10value_typeET4_T5_PSY_SZ_PNS1_23onesweep_lookback_stateEbbT6_jjT7_P12ihipStream_tbENKUlT_T0_SN_SS_E_clISG_SG_SI_SI_EEDaS16_S17_SN_SS_EUlS16_E_NS1_11comp_targetILNS1_3genE2ELNS1_11target_archE906ELNS1_3gpuE6ELNS1_3repE0EEENS1_47radix_sort_onesweep_sort_config_static_selectorELNS0_4arch9wavefront6targetE0EEEvSN_: ; @_ZN7rocprim17ROCPRIM_400000_NS6detail17trampoline_kernelINS0_14default_configENS1_35radix_sort_onesweep_config_selectorIjN6thrust23THRUST_200600_302600_NS5tupleIffNS6_9null_typeES8_S8_S8_S8_S8_S8_S8_EEEEZZNS1_29radix_sort_onesweep_iterationIS3_Lb0ENS6_6detail15normal_iteratorINS6_10device_ptrIjEEEESG_NSD_INSE_IS9_EEEESI_jNS0_19identity_decomposerENS1_16block_id_wrapperIjLb1EEEEE10hipError_tT1_PNSt15iterator_traitsISN_E10value_typeET2_T3_PNSO_IST_E10value_typeET4_T5_PSY_SZ_PNS1_23onesweep_lookback_stateEbbT6_jjT7_P12ihipStream_tbENKUlT_T0_SN_SS_E_clISG_SG_SI_SI_EEDaS16_S17_SN_SS_EUlS16_E_NS1_11comp_targetILNS1_3genE2ELNS1_11target_archE906ELNS1_3gpuE6ELNS1_3repE0EEENS1_47radix_sort_onesweep_sort_config_static_selectorELNS0_4arch9wavefront6targetE0EEEvSN_
; %bb.0:
	.section	.rodata,"a",@progbits
	.p2align	6, 0x0
	.amdhsa_kernel _ZN7rocprim17ROCPRIM_400000_NS6detail17trampoline_kernelINS0_14default_configENS1_35radix_sort_onesweep_config_selectorIjN6thrust23THRUST_200600_302600_NS5tupleIffNS6_9null_typeES8_S8_S8_S8_S8_S8_S8_EEEEZZNS1_29radix_sort_onesweep_iterationIS3_Lb0ENS6_6detail15normal_iteratorINS6_10device_ptrIjEEEESG_NSD_INSE_IS9_EEEESI_jNS0_19identity_decomposerENS1_16block_id_wrapperIjLb1EEEEE10hipError_tT1_PNSt15iterator_traitsISN_E10value_typeET2_T3_PNSO_IST_E10value_typeET4_T5_PSY_SZ_PNS1_23onesweep_lookback_stateEbbT6_jjT7_P12ihipStream_tbENKUlT_T0_SN_SS_E_clISG_SG_SI_SI_EEDaS16_S17_SN_SS_EUlS16_E_NS1_11comp_targetILNS1_3genE2ELNS1_11target_archE906ELNS1_3gpuE6ELNS1_3repE0EEENS1_47radix_sort_onesweep_sort_config_static_selectorELNS0_4arch9wavefront6targetE0EEEvSN_
		.amdhsa_group_segment_fixed_size 0
		.amdhsa_private_segment_fixed_size 0
		.amdhsa_kernarg_size 88
		.amdhsa_user_sgpr_count 6
		.amdhsa_user_sgpr_private_segment_buffer 1
		.amdhsa_user_sgpr_dispatch_ptr 0
		.amdhsa_user_sgpr_queue_ptr 0
		.amdhsa_user_sgpr_kernarg_segment_ptr 1
		.amdhsa_user_sgpr_dispatch_id 0
		.amdhsa_user_sgpr_flat_scratch_init 0
		.amdhsa_user_sgpr_private_segment_size 0
		.amdhsa_wavefront_size32 1
		.amdhsa_uses_dynamic_stack 0
		.amdhsa_system_sgpr_private_segment_wavefront_offset 0
		.amdhsa_system_sgpr_workgroup_id_x 1
		.amdhsa_system_sgpr_workgroup_id_y 0
		.amdhsa_system_sgpr_workgroup_id_z 0
		.amdhsa_system_sgpr_workgroup_info 0
		.amdhsa_system_vgpr_workitem_id 0
		.amdhsa_next_free_vgpr 1
		.amdhsa_next_free_sgpr 1
		.amdhsa_reserve_vcc 0
		.amdhsa_reserve_flat_scratch 0
		.amdhsa_float_round_mode_32 0
		.amdhsa_float_round_mode_16_64 0
		.amdhsa_float_denorm_mode_32 3
		.amdhsa_float_denorm_mode_16_64 3
		.amdhsa_dx10_clamp 1
		.amdhsa_ieee_mode 1
		.amdhsa_fp16_overflow 0
		.amdhsa_workgroup_processor_mode 1
		.amdhsa_memory_ordered 1
		.amdhsa_forward_progress 1
		.amdhsa_shared_vgpr_count 0
		.amdhsa_exception_fp_ieee_invalid_op 0
		.amdhsa_exception_fp_denorm_src 0
		.amdhsa_exception_fp_ieee_div_zero 0
		.amdhsa_exception_fp_ieee_overflow 0
		.amdhsa_exception_fp_ieee_underflow 0
		.amdhsa_exception_fp_ieee_inexact 0
		.amdhsa_exception_int_div_zero 0
	.end_amdhsa_kernel
	.section	.text._ZN7rocprim17ROCPRIM_400000_NS6detail17trampoline_kernelINS0_14default_configENS1_35radix_sort_onesweep_config_selectorIjN6thrust23THRUST_200600_302600_NS5tupleIffNS6_9null_typeES8_S8_S8_S8_S8_S8_S8_EEEEZZNS1_29radix_sort_onesweep_iterationIS3_Lb0ENS6_6detail15normal_iteratorINS6_10device_ptrIjEEEESG_NSD_INSE_IS9_EEEESI_jNS0_19identity_decomposerENS1_16block_id_wrapperIjLb1EEEEE10hipError_tT1_PNSt15iterator_traitsISN_E10value_typeET2_T3_PNSO_IST_E10value_typeET4_T5_PSY_SZ_PNS1_23onesweep_lookback_stateEbbT6_jjT7_P12ihipStream_tbENKUlT_T0_SN_SS_E_clISG_SG_SI_SI_EEDaS16_S17_SN_SS_EUlS16_E_NS1_11comp_targetILNS1_3genE2ELNS1_11target_archE906ELNS1_3gpuE6ELNS1_3repE0EEENS1_47radix_sort_onesweep_sort_config_static_selectorELNS0_4arch9wavefront6targetE0EEEvSN_,"axG",@progbits,_ZN7rocprim17ROCPRIM_400000_NS6detail17trampoline_kernelINS0_14default_configENS1_35radix_sort_onesweep_config_selectorIjN6thrust23THRUST_200600_302600_NS5tupleIffNS6_9null_typeES8_S8_S8_S8_S8_S8_S8_EEEEZZNS1_29radix_sort_onesweep_iterationIS3_Lb0ENS6_6detail15normal_iteratorINS6_10device_ptrIjEEEESG_NSD_INSE_IS9_EEEESI_jNS0_19identity_decomposerENS1_16block_id_wrapperIjLb1EEEEE10hipError_tT1_PNSt15iterator_traitsISN_E10value_typeET2_T3_PNSO_IST_E10value_typeET4_T5_PSY_SZ_PNS1_23onesweep_lookback_stateEbbT6_jjT7_P12ihipStream_tbENKUlT_T0_SN_SS_E_clISG_SG_SI_SI_EEDaS16_S17_SN_SS_EUlS16_E_NS1_11comp_targetILNS1_3genE2ELNS1_11target_archE906ELNS1_3gpuE6ELNS1_3repE0EEENS1_47radix_sort_onesweep_sort_config_static_selectorELNS0_4arch9wavefront6targetE0EEEvSN_,comdat
.Lfunc_end178:
	.size	_ZN7rocprim17ROCPRIM_400000_NS6detail17trampoline_kernelINS0_14default_configENS1_35radix_sort_onesweep_config_selectorIjN6thrust23THRUST_200600_302600_NS5tupleIffNS6_9null_typeES8_S8_S8_S8_S8_S8_S8_EEEEZZNS1_29radix_sort_onesweep_iterationIS3_Lb0ENS6_6detail15normal_iteratorINS6_10device_ptrIjEEEESG_NSD_INSE_IS9_EEEESI_jNS0_19identity_decomposerENS1_16block_id_wrapperIjLb1EEEEE10hipError_tT1_PNSt15iterator_traitsISN_E10value_typeET2_T3_PNSO_IST_E10value_typeET4_T5_PSY_SZ_PNS1_23onesweep_lookback_stateEbbT6_jjT7_P12ihipStream_tbENKUlT_T0_SN_SS_E_clISG_SG_SI_SI_EEDaS16_S17_SN_SS_EUlS16_E_NS1_11comp_targetILNS1_3genE2ELNS1_11target_archE906ELNS1_3gpuE6ELNS1_3repE0EEENS1_47radix_sort_onesweep_sort_config_static_selectorELNS0_4arch9wavefront6targetE0EEEvSN_, .Lfunc_end178-_ZN7rocprim17ROCPRIM_400000_NS6detail17trampoline_kernelINS0_14default_configENS1_35radix_sort_onesweep_config_selectorIjN6thrust23THRUST_200600_302600_NS5tupleIffNS6_9null_typeES8_S8_S8_S8_S8_S8_S8_EEEEZZNS1_29radix_sort_onesweep_iterationIS3_Lb0ENS6_6detail15normal_iteratorINS6_10device_ptrIjEEEESG_NSD_INSE_IS9_EEEESI_jNS0_19identity_decomposerENS1_16block_id_wrapperIjLb1EEEEE10hipError_tT1_PNSt15iterator_traitsISN_E10value_typeET2_T3_PNSO_IST_E10value_typeET4_T5_PSY_SZ_PNS1_23onesweep_lookback_stateEbbT6_jjT7_P12ihipStream_tbENKUlT_T0_SN_SS_E_clISG_SG_SI_SI_EEDaS16_S17_SN_SS_EUlS16_E_NS1_11comp_targetILNS1_3genE2ELNS1_11target_archE906ELNS1_3gpuE6ELNS1_3repE0EEENS1_47radix_sort_onesweep_sort_config_static_selectorELNS0_4arch9wavefront6targetE0EEEvSN_
                                        ; -- End function
	.set _ZN7rocprim17ROCPRIM_400000_NS6detail17trampoline_kernelINS0_14default_configENS1_35radix_sort_onesweep_config_selectorIjN6thrust23THRUST_200600_302600_NS5tupleIffNS6_9null_typeES8_S8_S8_S8_S8_S8_S8_EEEEZZNS1_29radix_sort_onesweep_iterationIS3_Lb0ENS6_6detail15normal_iteratorINS6_10device_ptrIjEEEESG_NSD_INSE_IS9_EEEESI_jNS0_19identity_decomposerENS1_16block_id_wrapperIjLb1EEEEE10hipError_tT1_PNSt15iterator_traitsISN_E10value_typeET2_T3_PNSO_IST_E10value_typeET4_T5_PSY_SZ_PNS1_23onesweep_lookback_stateEbbT6_jjT7_P12ihipStream_tbENKUlT_T0_SN_SS_E_clISG_SG_SI_SI_EEDaS16_S17_SN_SS_EUlS16_E_NS1_11comp_targetILNS1_3genE2ELNS1_11target_archE906ELNS1_3gpuE6ELNS1_3repE0EEENS1_47radix_sort_onesweep_sort_config_static_selectorELNS0_4arch9wavefront6targetE0EEEvSN_.num_vgpr, 0
	.set _ZN7rocprim17ROCPRIM_400000_NS6detail17trampoline_kernelINS0_14default_configENS1_35radix_sort_onesweep_config_selectorIjN6thrust23THRUST_200600_302600_NS5tupleIffNS6_9null_typeES8_S8_S8_S8_S8_S8_S8_EEEEZZNS1_29radix_sort_onesweep_iterationIS3_Lb0ENS6_6detail15normal_iteratorINS6_10device_ptrIjEEEESG_NSD_INSE_IS9_EEEESI_jNS0_19identity_decomposerENS1_16block_id_wrapperIjLb1EEEEE10hipError_tT1_PNSt15iterator_traitsISN_E10value_typeET2_T3_PNSO_IST_E10value_typeET4_T5_PSY_SZ_PNS1_23onesweep_lookback_stateEbbT6_jjT7_P12ihipStream_tbENKUlT_T0_SN_SS_E_clISG_SG_SI_SI_EEDaS16_S17_SN_SS_EUlS16_E_NS1_11comp_targetILNS1_3genE2ELNS1_11target_archE906ELNS1_3gpuE6ELNS1_3repE0EEENS1_47radix_sort_onesweep_sort_config_static_selectorELNS0_4arch9wavefront6targetE0EEEvSN_.num_agpr, 0
	.set _ZN7rocprim17ROCPRIM_400000_NS6detail17trampoline_kernelINS0_14default_configENS1_35radix_sort_onesweep_config_selectorIjN6thrust23THRUST_200600_302600_NS5tupleIffNS6_9null_typeES8_S8_S8_S8_S8_S8_S8_EEEEZZNS1_29radix_sort_onesweep_iterationIS3_Lb0ENS6_6detail15normal_iteratorINS6_10device_ptrIjEEEESG_NSD_INSE_IS9_EEEESI_jNS0_19identity_decomposerENS1_16block_id_wrapperIjLb1EEEEE10hipError_tT1_PNSt15iterator_traitsISN_E10value_typeET2_T3_PNSO_IST_E10value_typeET4_T5_PSY_SZ_PNS1_23onesweep_lookback_stateEbbT6_jjT7_P12ihipStream_tbENKUlT_T0_SN_SS_E_clISG_SG_SI_SI_EEDaS16_S17_SN_SS_EUlS16_E_NS1_11comp_targetILNS1_3genE2ELNS1_11target_archE906ELNS1_3gpuE6ELNS1_3repE0EEENS1_47radix_sort_onesweep_sort_config_static_selectorELNS0_4arch9wavefront6targetE0EEEvSN_.numbered_sgpr, 0
	.set _ZN7rocprim17ROCPRIM_400000_NS6detail17trampoline_kernelINS0_14default_configENS1_35radix_sort_onesweep_config_selectorIjN6thrust23THRUST_200600_302600_NS5tupleIffNS6_9null_typeES8_S8_S8_S8_S8_S8_S8_EEEEZZNS1_29radix_sort_onesweep_iterationIS3_Lb0ENS6_6detail15normal_iteratorINS6_10device_ptrIjEEEESG_NSD_INSE_IS9_EEEESI_jNS0_19identity_decomposerENS1_16block_id_wrapperIjLb1EEEEE10hipError_tT1_PNSt15iterator_traitsISN_E10value_typeET2_T3_PNSO_IST_E10value_typeET4_T5_PSY_SZ_PNS1_23onesweep_lookback_stateEbbT6_jjT7_P12ihipStream_tbENKUlT_T0_SN_SS_E_clISG_SG_SI_SI_EEDaS16_S17_SN_SS_EUlS16_E_NS1_11comp_targetILNS1_3genE2ELNS1_11target_archE906ELNS1_3gpuE6ELNS1_3repE0EEENS1_47radix_sort_onesweep_sort_config_static_selectorELNS0_4arch9wavefront6targetE0EEEvSN_.num_named_barrier, 0
	.set _ZN7rocprim17ROCPRIM_400000_NS6detail17trampoline_kernelINS0_14default_configENS1_35radix_sort_onesweep_config_selectorIjN6thrust23THRUST_200600_302600_NS5tupleIffNS6_9null_typeES8_S8_S8_S8_S8_S8_S8_EEEEZZNS1_29radix_sort_onesweep_iterationIS3_Lb0ENS6_6detail15normal_iteratorINS6_10device_ptrIjEEEESG_NSD_INSE_IS9_EEEESI_jNS0_19identity_decomposerENS1_16block_id_wrapperIjLb1EEEEE10hipError_tT1_PNSt15iterator_traitsISN_E10value_typeET2_T3_PNSO_IST_E10value_typeET4_T5_PSY_SZ_PNS1_23onesweep_lookback_stateEbbT6_jjT7_P12ihipStream_tbENKUlT_T0_SN_SS_E_clISG_SG_SI_SI_EEDaS16_S17_SN_SS_EUlS16_E_NS1_11comp_targetILNS1_3genE2ELNS1_11target_archE906ELNS1_3gpuE6ELNS1_3repE0EEENS1_47radix_sort_onesweep_sort_config_static_selectorELNS0_4arch9wavefront6targetE0EEEvSN_.private_seg_size, 0
	.set _ZN7rocprim17ROCPRIM_400000_NS6detail17trampoline_kernelINS0_14default_configENS1_35radix_sort_onesweep_config_selectorIjN6thrust23THRUST_200600_302600_NS5tupleIffNS6_9null_typeES8_S8_S8_S8_S8_S8_S8_EEEEZZNS1_29radix_sort_onesweep_iterationIS3_Lb0ENS6_6detail15normal_iteratorINS6_10device_ptrIjEEEESG_NSD_INSE_IS9_EEEESI_jNS0_19identity_decomposerENS1_16block_id_wrapperIjLb1EEEEE10hipError_tT1_PNSt15iterator_traitsISN_E10value_typeET2_T3_PNSO_IST_E10value_typeET4_T5_PSY_SZ_PNS1_23onesweep_lookback_stateEbbT6_jjT7_P12ihipStream_tbENKUlT_T0_SN_SS_E_clISG_SG_SI_SI_EEDaS16_S17_SN_SS_EUlS16_E_NS1_11comp_targetILNS1_3genE2ELNS1_11target_archE906ELNS1_3gpuE6ELNS1_3repE0EEENS1_47radix_sort_onesweep_sort_config_static_selectorELNS0_4arch9wavefront6targetE0EEEvSN_.uses_vcc, 0
	.set _ZN7rocprim17ROCPRIM_400000_NS6detail17trampoline_kernelINS0_14default_configENS1_35radix_sort_onesweep_config_selectorIjN6thrust23THRUST_200600_302600_NS5tupleIffNS6_9null_typeES8_S8_S8_S8_S8_S8_S8_EEEEZZNS1_29radix_sort_onesweep_iterationIS3_Lb0ENS6_6detail15normal_iteratorINS6_10device_ptrIjEEEESG_NSD_INSE_IS9_EEEESI_jNS0_19identity_decomposerENS1_16block_id_wrapperIjLb1EEEEE10hipError_tT1_PNSt15iterator_traitsISN_E10value_typeET2_T3_PNSO_IST_E10value_typeET4_T5_PSY_SZ_PNS1_23onesweep_lookback_stateEbbT6_jjT7_P12ihipStream_tbENKUlT_T0_SN_SS_E_clISG_SG_SI_SI_EEDaS16_S17_SN_SS_EUlS16_E_NS1_11comp_targetILNS1_3genE2ELNS1_11target_archE906ELNS1_3gpuE6ELNS1_3repE0EEENS1_47radix_sort_onesweep_sort_config_static_selectorELNS0_4arch9wavefront6targetE0EEEvSN_.uses_flat_scratch, 0
	.set _ZN7rocprim17ROCPRIM_400000_NS6detail17trampoline_kernelINS0_14default_configENS1_35radix_sort_onesweep_config_selectorIjN6thrust23THRUST_200600_302600_NS5tupleIffNS6_9null_typeES8_S8_S8_S8_S8_S8_S8_EEEEZZNS1_29radix_sort_onesweep_iterationIS3_Lb0ENS6_6detail15normal_iteratorINS6_10device_ptrIjEEEESG_NSD_INSE_IS9_EEEESI_jNS0_19identity_decomposerENS1_16block_id_wrapperIjLb1EEEEE10hipError_tT1_PNSt15iterator_traitsISN_E10value_typeET2_T3_PNSO_IST_E10value_typeET4_T5_PSY_SZ_PNS1_23onesweep_lookback_stateEbbT6_jjT7_P12ihipStream_tbENKUlT_T0_SN_SS_E_clISG_SG_SI_SI_EEDaS16_S17_SN_SS_EUlS16_E_NS1_11comp_targetILNS1_3genE2ELNS1_11target_archE906ELNS1_3gpuE6ELNS1_3repE0EEENS1_47radix_sort_onesweep_sort_config_static_selectorELNS0_4arch9wavefront6targetE0EEEvSN_.has_dyn_sized_stack, 0
	.set _ZN7rocprim17ROCPRIM_400000_NS6detail17trampoline_kernelINS0_14default_configENS1_35radix_sort_onesweep_config_selectorIjN6thrust23THRUST_200600_302600_NS5tupleIffNS6_9null_typeES8_S8_S8_S8_S8_S8_S8_EEEEZZNS1_29radix_sort_onesweep_iterationIS3_Lb0ENS6_6detail15normal_iteratorINS6_10device_ptrIjEEEESG_NSD_INSE_IS9_EEEESI_jNS0_19identity_decomposerENS1_16block_id_wrapperIjLb1EEEEE10hipError_tT1_PNSt15iterator_traitsISN_E10value_typeET2_T3_PNSO_IST_E10value_typeET4_T5_PSY_SZ_PNS1_23onesweep_lookback_stateEbbT6_jjT7_P12ihipStream_tbENKUlT_T0_SN_SS_E_clISG_SG_SI_SI_EEDaS16_S17_SN_SS_EUlS16_E_NS1_11comp_targetILNS1_3genE2ELNS1_11target_archE906ELNS1_3gpuE6ELNS1_3repE0EEENS1_47radix_sort_onesweep_sort_config_static_selectorELNS0_4arch9wavefront6targetE0EEEvSN_.has_recursion, 0
	.set _ZN7rocprim17ROCPRIM_400000_NS6detail17trampoline_kernelINS0_14default_configENS1_35radix_sort_onesweep_config_selectorIjN6thrust23THRUST_200600_302600_NS5tupleIffNS6_9null_typeES8_S8_S8_S8_S8_S8_S8_EEEEZZNS1_29radix_sort_onesweep_iterationIS3_Lb0ENS6_6detail15normal_iteratorINS6_10device_ptrIjEEEESG_NSD_INSE_IS9_EEEESI_jNS0_19identity_decomposerENS1_16block_id_wrapperIjLb1EEEEE10hipError_tT1_PNSt15iterator_traitsISN_E10value_typeET2_T3_PNSO_IST_E10value_typeET4_T5_PSY_SZ_PNS1_23onesweep_lookback_stateEbbT6_jjT7_P12ihipStream_tbENKUlT_T0_SN_SS_E_clISG_SG_SI_SI_EEDaS16_S17_SN_SS_EUlS16_E_NS1_11comp_targetILNS1_3genE2ELNS1_11target_archE906ELNS1_3gpuE6ELNS1_3repE0EEENS1_47radix_sort_onesweep_sort_config_static_selectorELNS0_4arch9wavefront6targetE0EEEvSN_.has_indirect_call, 0
	.section	.AMDGPU.csdata,"",@progbits
; Kernel info:
; codeLenInByte = 0
; TotalNumSgprs: 0
; NumVgprs: 0
; ScratchSize: 0
; MemoryBound: 0
; FloatMode: 240
; IeeeMode: 1
; LDSByteSize: 0 bytes/workgroup (compile time only)
; SGPRBlocks: 0
; VGPRBlocks: 0
; NumSGPRsForWavesPerEU: 1
; NumVGPRsForWavesPerEU: 1
; Occupancy: 16
; WaveLimiterHint : 0
; COMPUTE_PGM_RSRC2:SCRATCH_EN: 0
; COMPUTE_PGM_RSRC2:USER_SGPR: 6
; COMPUTE_PGM_RSRC2:TRAP_HANDLER: 0
; COMPUTE_PGM_RSRC2:TGID_X_EN: 1
; COMPUTE_PGM_RSRC2:TGID_Y_EN: 0
; COMPUTE_PGM_RSRC2:TGID_Z_EN: 0
; COMPUTE_PGM_RSRC2:TIDIG_COMP_CNT: 0
	.section	.text._ZN7rocprim17ROCPRIM_400000_NS6detail17trampoline_kernelINS0_14default_configENS1_35radix_sort_onesweep_config_selectorIjN6thrust23THRUST_200600_302600_NS5tupleIffNS6_9null_typeES8_S8_S8_S8_S8_S8_S8_EEEEZZNS1_29radix_sort_onesweep_iterationIS3_Lb0ENS6_6detail15normal_iteratorINS6_10device_ptrIjEEEESG_NSD_INSE_IS9_EEEESI_jNS0_19identity_decomposerENS1_16block_id_wrapperIjLb1EEEEE10hipError_tT1_PNSt15iterator_traitsISN_E10value_typeET2_T3_PNSO_IST_E10value_typeET4_T5_PSY_SZ_PNS1_23onesweep_lookback_stateEbbT6_jjT7_P12ihipStream_tbENKUlT_T0_SN_SS_E_clISG_SG_SI_SI_EEDaS16_S17_SN_SS_EUlS16_E_NS1_11comp_targetILNS1_3genE4ELNS1_11target_archE910ELNS1_3gpuE8ELNS1_3repE0EEENS1_47radix_sort_onesweep_sort_config_static_selectorELNS0_4arch9wavefront6targetE0EEEvSN_,"axG",@progbits,_ZN7rocprim17ROCPRIM_400000_NS6detail17trampoline_kernelINS0_14default_configENS1_35radix_sort_onesweep_config_selectorIjN6thrust23THRUST_200600_302600_NS5tupleIffNS6_9null_typeES8_S8_S8_S8_S8_S8_S8_EEEEZZNS1_29radix_sort_onesweep_iterationIS3_Lb0ENS6_6detail15normal_iteratorINS6_10device_ptrIjEEEESG_NSD_INSE_IS9_EEEESI_jNS0_19identity_decomposerENS1_16block_id_wrapperIjLb1EEEEE10hipError_tT1_PNSt15iterator_traitsISN_E10value_typeET2_T3_PNSO_IST_E10value_typeET4_T5_PSY_SZ_PNS1_23onesweep_lookback_stateEbbT6_jjT7_P12ihipStream_tbENKUlT_T0_SN_SS_E_clISG_SG_SI_SI_EEDaS16_S17_SN_SS_EUlS16_E_NS1_11comp_targetILNS1_3genE4ELNS1_11target_archE910ELNS1_3gpuE8ELNS1_3repE0EEENS1_47radix_sort_onesweep_sort_config_static_selectorELNS0_4arch9wavefront6targetE0EEEvSN_,comdat
	.protected	_ZN7rocprim17ROCPRIM_400000_NS6detail17trampoline_kernelINS0_14default_configENS1_35radix_sort_onesweep_config_selectorIjN6thrust23THRUST_200600_302600_NS5tupleIffNS6_9null_typeES8_S8_S8_S8_S8_S8_S8_EEEEZZNS1_29radix_sort_onesweep_iterationIS3_Lb0ENS6_6detail15normal_iteratorINS6_10device_ptrIjEEEESG_NSD_INSE_IS9_EEEESI_jNS0_19identity_decomposerENS1_16block_id_wrapperIjLb1EEEEE10hipError_tT1_PNSt15iterator_traitsISN_E10value_typeET2_T3_PNSO_IST_E10value_typeET4_T5_PSY_SZ_PNS1_23onesweep_lookback_stateEbbT6_jjT7_P12ihipStream_tbENKUlT_T0_SN_SS_E_clISG_SG_SI_SI_EEDaS16_S17_SN_SS_EUlS16_E_NS1_11comp_targetILNS1_3genE4ELNS1_11target_archE910ELNS1_3gpuE8ELNS1_3repE0EEENS1_47radix_sort_onesweep_sort_config_static_selectorELNS0_4arch9wavefront6targetE0EEEvSN_ ; -- Begin function _ZN7rocprim17ROCPRIM_400000_NS6detail17trampoline_kernelINS0_14default_configENS1_35radix_sort_onesweep_config_selectorIjN6thrust23THRUST_200600_302600_NS5tupleIffNS6_9null_typeES8_S8_S8_S8_S8_S8_S8_EEEEZZNS1_29radix_sort_onesweep_iterationIS3_Lb0ENS6_6detail15normal_iteratorINS6_10device_ptrIjEEEESG_NSD_INSE_IS9_EEEESI_jNS0_19identity_decomposerENS1_16block_id_wrapperIjLb1EEEEE10hipError_tT1_PNSt15iterator_traitsISN_E10value_typeET2_T3_PNSO_IST_E10value_typeET4_T5_PSY_SZ_PNS1_23onesweep_lookback_stateEbbT6_jjT7_P12ihipStream_tbENKUlT_T0_SN_SS_E_clISG_SG_SI_SI_EEDaS16_S17_SN_SS_EUlS16_E_NS1_11comp_targetILNS1_3genE4ELNS1_11target_archE910ELNS1_3gpuE8ELNS1_3repE0EEENS1_47radix_sort_onesweep_sort_config_static_selectorELNS0_4arch9wavefront6targetE0EEEvSN_
	.globl	_ZN7rocprim17ROCPRIM_400000_NS6detail17trampoline_kernelINS0_14default_configENS1_35radix_sort_onesweep_config_selectorIjN6thrust23THRUST_200600_302600_NS5tupleIffNS6_9null_typeES8_S8_S8_S8_S8_S8_S8_EEEEZZNS1_29radix_sort_onesweep_iterationIS3_Lb0ENS6_6detail15normal_iteratorINS6_10device_ptrIjEEEESG_NSD_INSE_IS9_EEEESI_jNS0_19identity_decomposerENS1_16block_id_wrapperIjLb1EEEEE10hipError_tT1_PNSt15iterator_traitsISN_E10value_typeET2_T3_PNSO_IST_E10value_typeET4_T5_PSY_SZ_PNS1_23onesweep_lookback_stateEbbT6_jjT7_P12ihipStream_tbENKUlT_T0_SN_SS_E_clISG_SG_SI_SI_EEDaS16_S17_SN_SS_EUlS16_E_NS1_11comp_targetILNS1_3genE4ELNS1_11target_archE910ELNS1_3gpuE8ELNS1_3repE0EEENS1_47radix_sort_onesweep_sort_config_static_selectorELNS0_4arch9wavefront6targetE0EEEvSN_
	.p2align	8
	.type	_ZN7rocprim17ROCPRIM_400000_NS6detail17trampoline_kernelINS0_14default_configENS1_35radix_sort_onesweep_config_selectorIjN6thrust23THRUST_200600_302600_NS5tupleIffNS6_9null_typeES8_S8_S8_S8_S8_S8_S8_EEEEZZNS1_29radix_sort_onesweep_iterationIS3_Lb0ENS6_6detail15normal_iteratorINS6_10device_ptrIjEEEESG_NSD_INSE_IS9_EEEESI_jNS0_19identity_decomposerENS1_16block_id_wrapperIjLb1EEEEE10hipError_tT1_PNSt15iterator_traitsISN_E10value_typeET2_T3_PNSO_IST_E10value_typeET4_T5_PSY_SZ_PNS1_23onesweep_lookback_stateEbbT6_jjT7_P12ihipStream_tbENKUlT_T0_SN_SS_E_clISG_SG_SI_SI_EEDaS16_S17_SN_SS_EUlS16_E_NS1_11comp_targetILNS1_3genE4ELNS1_11target_archE910ELNS1_3gpuE8ELNS1_3repE0EEENS1_47radix_sort_onesweep_sort_config_static_selectorELNS0_4arch9wavefront6targetE0EEEvSN_,@function
_ZN7rocprim17ROCPRIM_400000_NS6detail17trampoline_kernelINS0_14default_configENS1_35radix_sort_onesweep_config_selectorIjN6thrust23THRUST_200600_302600_NS5tupleIffNS6_9null_typeES8_S8_S8_S8_S8_S8_S8_EEEEZZNS1_29radix_sort_onesweep_iterationIS3_Lb0ENS6_6detail15normal_iteratorINS6_10device_ptrIjEEEESG_NSD_INSE_IS9_EEEESI_jNS0_19identity_decomposerENS1_16block_id_wrapperIjLb1EEEEE10hipError_tT1_PNSt15iterator_traitsISN_E10value_typeET2_T3_PNSO_IST_E10value_typeET4_T5_PSY_SZ_PNS1_23onesweep_lookback_stateEbbT6_jjT7_P12ihipStream_tbENKUlT_T0_SN_SS_E_clISG_SG_SI_SI_EEDaS16_S17_SN_SS_EUlS16_E_NS1_11comp_targetILNS1_3genE4ELNS1_11target_archE910ELNS1_3gpuE8ELNS1_3repE0EEENS1_47radix_sort_onesweep_sort_config_static_selectorELNS0_4arch9wavefront6targetE0EEEvSN_: ; @_ZN7rocprim17ROCPRIM_400000_NS6detail17trampoline_kernelINS0_14default_configENS1_35radix_sort_onesweep_config_selectorIjN6thrust23THRUST_200600_302600_NS5tupleIffNS6_9null_typeES8_S8_S8_S8_S8_S8_S8_EEEEZZNS1_29radix_sort_onesweep_iterationIS3_Lb0ENS6_6detail15normal_iteratorINS6_10device_ptrIjEEEESG_NSD_INSE_IS9_EEEESI_jNS0_19identity_decomposerENS1_16block_id_wrapperIjLb1EEEEE10hipError_tT1_PNSt15iterator_traitsISN_E10value_typeET2_T3_PNSO_IST_E10value_typeET4_T5_PSY_SZ_PNS1_23onesweep_lookback_stateEbbT6_jjT7_P12ihipStream_tbENKUlT_T0_SN_SS_E_clISG_SG_SI_SI_EEDaS16_S17_SN_SS_EUlS16_E_NS1_11comp_targetILNS1_3genE4ELNS1_11target_archE910ELNS1_3gpuE8ELNS1_3repE0EEENS1_47radix_sort_onesweep_sort_config_static_selectorELNS0_4arch9wavefront6targetE0EEEvSN_
; %bb.0:
	.section	.rodata,"a",@progbits
	.p2align	6, 0x0
	.amdhsa_kernel _ZN7rocprim17ROCPRIM_400000_NS6detail17trampoline_kernelINS0_14default_configENS1_35radix_sort_onesweep_config_selectorIjN6thrust23THRUST_200600_302600_NS5tupleIffNS6_9null_typeES8_S8_S8_S8_S8_S8_S8_EEEEZZNS1_29radix_sort_onesweep_iterationIS3_Lb0ENS6_6detail15normal_iteratorINS6_10device_ptrIjEEEESG_NSD_INSE_IS9_EEEESI_jNS0_19identity_decomposerENS1_16block_id_wrapperIjLb1EEEEE10hipError_tT1_PNSt15iterator_traitsISN_E10value_typeET2_T3_PNSO_IST_E10value_typeET4_T5_PSY_SZ_PNS1_23onesweep_lookback_stateEbbT6_jjT7_P12ihipStream_tbENKUlT_T0_SN_SS_E_clISG_SG_SI_SI_EEDaS16_S17_SN_SS_EUlS16_E_NS1_11comp_targetILNS1_3genE4ELNS1_11target_archE910ELNS1_3gpuE8ELNS1_3repE0EEENS1_47radix_sort_onesweep_sort_config_static_selectorELNS0_4arch9wavefront6targetE0EEEvSN_
		.amdhsa_group_segment_fixed_size 0
		.amdhsa_private_segment_fixed_size 0
		.amdhsa_kernarg_size 88
		.amdhsa_user_sgpr_count 6
		.amdhsa_user_sgpr_private_segment_buffer 1
		.amdhsa_user_sgpr_dispatch_ptr 0
		.amdhsa_user_sgpr_queue_ptr 0
		.amdhsa_user_sgpr_kernarg_segment_ptr 1
		.amdhsa_user_sgpr_dispatch_id 0
		.amdhsa_user_sgpr_flat_scratch_init 0
		.amdhsa_user_sgpr_private_segment_size 0
		.amdhsa_wavefront_size32 1
		.amdhsa_uses_dynamic_stack 0
		.amdhsa_system_sgpr_private_segment_wavefront_offset 0
		.amdhsa_system_sgpr_workgroup_id_x 1
		.amdhsa_system_sgpr_workgroup_id_y 0
		.amdhsa_system_sgpr_workgroup_id_z 0
		.amdhsa_system_sgpr_workgroup_info 0
		.amdhsa_system_vgpr_workitem_id 0
		.amdhsa_next_free_vgpr 1
		.amdhsa_next_free_sgpr 1
		.amdhsa_reserve_vcc 0
		.amdhsa_reserve_flat_scratch 0
		.amdhsa_float_round_mode_32 0
		.amdhsa_float_round_mode_16_64 0
		.amdhsa_float_denorm_mode_32 3
		.amdhsa_float_denorm_mode_16_64 3
		.amdhsa_dx10_clamp 1
		.amdhsa_ieee_mode 1
		.amdhsa_fp16_overflow 0
		.amdhsa_workgroup_processor_mode 1
		.amdhsa_memory_ordered 1
		.amdhsa_forward_progress 1
		.amdhsa_shared_vgpr_count 0
		.amdhsa_exception_fp_ieee_invalid_op 0
		.amdhsa_exception_fp_denorm_src 0
		.amdhsa_exception_fp_ieee_div_zero 0
		.amdhsa_exception_fp_ieee_overflow 0
		.amdhsa_exception_fp_ieee_underflow 0
		.amdhsa_exception_fp_ieee_inexact 0
		.amdhsa_exception_int_div_zero 0
	.end_amdhsa_kernel
	.section	.text._ZN7rocprim17ROCPRIM_400000_NS6detail17trampoline_kernelINS0_14default_configENS1_35radix_sort_onesweep_config_selectorIjN6thrust23THRUST_200600_302600_NS5tupleIffNS6_9null_typeES8_S8_S8_S8_S8_S8_S8_EEEEZZNS1_29radix_sort_onesweep_iterationIS3_Lb0ENS6_6detail15normal_iteratorINS6_10device_ptrIjEEEESG_NSD_INSE_IS9_EEEESI_jNS0_19identity_decomposerENS1_16block_id_wrapperIjLb1EEEEE10hipError_tT1_PNSt15iterator_traitsISN_E10value_typeET2_T3_PNSO_IST_E10value_typeET4_T5_PSY_SZ_PNS1_23onesweep_lookback_stateEbbT6_jjT7_P12ihipStream_tbENKUlT_T0_SN_SS_E_clISG_SG_SI_SI_EEDaS16_S17_SN_SS_EUlS16_E_NS1_11comp_targetILNS1_3genE4ELNS1_11target_archE910ELNS1_3gpuE8ELNS1_3repE0EEENS1_47radix_sort_onesweep_sort_config_static_selectorELNS0_4arch9wavefront6targetE0EEEvSN_,"axG",@progbits,_ZN7rocprim17ROCPRIM_400000_NS6detail17trampoline_kernelINS0_14default_configENS1_35radix_sort_onesweep_config_selectorIjN6thrust23THRUST_200600_302600_NS5tupleIffNS6_9null_typeES8_S8_S8_S8_S8_S8_S8_EEEEZZNS1_29radix_sort_onesweep_iterationIS3_Lb0ENS6_6detail15normal_iteratorINS6_10device_ptrIjEEEESG_NSD_INSE_IS9_EEEESI_jNS0_19identity_decomposerENS1_16block_id_wrapperIjLb1EEEEE10hipError_tT1_PNSt15iterator_traitsISN_E10value_typeET2_T3_PNSO_IST_E10value_typeET4_T5_PSY_SZ_PNS1_23onesweep_lookback_stateEbbT6_jjT7_P12ihipStream_tbENKUlT_T0_SN_SS_E_clISG_SG_SI_SI_EEDaS16_S17_SN_SS_EUlS16_E_NS1_11comp_targetILNS1_3genE4ELNS1_11target_archE910ELNS1_3gpuE8ELNS1_3repE0EEENS1_47radix_sort_onesweep_sort_config_static_selectorELNS0_4arch9wavefront6targetE0EEEvSN_,comdat
.Lfunc_end179:
	.size	_ZN7rocprim17ROCPRIM_400000_NS6detail17trampoline_kernelINS0_14default_configENS1_35radix_sort_onesweep_config_selectorIjN6thrust23THRUST_200600_302600_NS5tupleIffNS6_9null_typeES8_S8_S8_S8_S8_S8_S8_EEEEZZNS1_29radix_sort_onesweep_iterationIS3_Lb0ENS6_6detail15normal_iteratorINS6_10device_ptrIjEEEESG_NSD_INSE_IS9_EEEESI_jNS0_19identity_decomposerENS1_16block_id_wrapperIjLb1EEEEE10hipError_tT1_PNSt15iterator_traitsISN_E10value_typeET2_T3_PNSO_IST_E10value_typeET4_T5_PSY_SZ_PNS1_23onesweep_lookback_stateEbbT6_jjT7_P12ihipStream_tbENKUlT_T0_SN_SS_E_clISG_SG_SI_SI_EEDaS16_S17_SN_SS_EUlS16_E_NS1_11comp_targetILNS1_3genE4ELNS1_11target_archE910ELNS1_3gpuE8ELNS1_3repE0EEENS1_47radix_sort_onesweep_sort_config_static_selectorELNS0_4arch9wavefront6targetE0EEEvSN_, .Lfunc_end179-_ZN7rocprim17ROCPRIM_400000_NS6detail17trampoline_kernelINS0_14default_configENS1_35radix_sort_onesweep_config_selectorIjN6thrust23THRUST_200600_302600_NS5tupleIffNS6_9null_typeES8_S8_S8_S8_S8_S8_S8_EEEEZZNS1_29radix_sort_onesweep_iterationIS3_Lb0ENS6_6detail15normal_iteratorINS6_10device_ptrIjEEEESG_NSD_INSE_IS9_EEEESI_jNS0_19identity_decomposerENS1_16block_id_wrapperIjLb1EEEEE10hipError_tT1_PNSt15iterator_traitsISN_E10value_typeET2_T3_PNSO_IST_E10value_typeET4_T5_PSY_SZ_PNS1_23onesweep_lookback_stateEbbT6_jjT7_P12ihipStream_tbENKUlT_T0_SN_SS_E_clISG_SG_SI_SI_EEDaS16_S17_SN_SS_EUlS16_E_NS1_11comp_targetILNS1_3genE4ELNS1_11target_archE910ELNS1_3gpuE8ELNS1_3repE0EEENS1_47radix_sort_onesweep_sort_config_static_selectorELNS0_4arch9wavefront6targetE0EEEvSN_
                                        ; -- End function
	.set _ZN7rocprim17ROCPRIM_400000_NS6detail17trampoline_kernelINS0_14default_configENS1_35radix_sort_onesweep_config_selectorIjN6thrust23THRUST_200600_302600_NS5tupleIffNS6_9null_typeES8_S8_S8_S8_S8_S8_S8_EEEEZZNS1_29radix_sort_onesweep_iterationIS3_Lb0ENS6_6detail15normal_iteratorINS6_10device_ptrIjEEEESG_NSD_INSE_IS9_EEEESI_jNS0_19identity_decomposerENS1_16block_id_wrapperIjLb1EEEEE10hipError_tT1_PNSt15iterator_traitsISN_E10value_typeET2_T3_PNSO_IST_E10value_typeET4_T5_PSY_SZ_PNS1_23onesweep_lookback_stateEbbT6_jjT7_P12ihipStream_tbENKUlT_T0_SN_SS_E_clISG_SG_SI_SI_EEDaS16_S17_SN_SS_EUlS16_E_NS1_11comp_targetILNS1_3genE4ELNS1_11target_archE910ELNS1_3gpuE8ELNS1_3repE0EEENS1_47radix_sort_onesweep_sort_config_static_selectorELNS0_4arch9wavefront6targetE0EEEvSN_.num_vgpr, 0
	.set _ZN7rocprim17ROCPRIM_400000_NS6detail17trampoline_kernelINS0_14default_configENS1_35radix_sort_onesweep_config_selectorIjN6thrust23THRUST_200600_302600_NS5tupleIffNS6_9null_typeES8_S8_S8_S8_S8_S8_S8_EEEEZZNS1_29radix_sort_onesweep_iterationIS3_Lb0ENS6_6detail15normal_iteratorINS6_10device_ptrIjEEEESG_NSD_INSE_IS9_EEEESI_jNS0_19identity_decomposerENS1_16block_id_wrapperIjLb1EEEEE10hipError_tT1_PNSt15iterator_traitsISN_E10value_typeET2_T3_PNSO_IST_E10value_typeET4_T5_PSY_SZ_PNS1_23onesweep_lookback_stateEbbT6_jjT7_P12ihipStream_tbENKUlT_T0_SN_SS_E_clISG_SG_SI_SI_EEDaS16_S17_SN_SS_EUlS16_E_NS1_11comp_targetILNS1_3genE4ELNS1_11target_archE910ELNS1_3gpuE8ELNS1_3repE0EEENS1_47radix_sort_onesweep_sort_config_static_selectorELNS0_4arch9wavefront6targetE0EEEvSN_.num_agpr, 0
	.set _ZN7rocprim17ROCPRIM_400000_NS6detail17trampoline_kernelINS0_14default_configENS1_35radix_sort_onesweep_config_selectorIjN6thrust23THRUST_200600_302600_NS5tupleIffNS6_9null_typeES8_S8_S8_S8_S8_S8_S8_EEEEZZNS1_29radix_sort_onesweep_iterationIS3_Lb0ENS6_6detail15normal_iteratorINS6_10device_ptrIjEEEESG_NSD_INSE_IS9_EEEESI_jNS0_19identity_decomposerENS1_16block_id_wrapperIjLb1EEEEE10hipError_tT1_PNSt15iterator_traitsISN_E10value_typeET2_T3_PNSO_IST_E10value_typeET4_T5_PSY_SZ_PNS1_23onesweep_lookback_stateEbbT6_jjT7_P12ihipStream_tbENKUlT_T0_SN_SS_E_clISG_SG_SI_SI_EEDaS16_S17_SN_SS_EUlS16_E_NS1_11comp_targetILNS1_3genE4ELNS1_11target_archE910ELNS1_3gpuE8ELNS1_3repE0EEENS1_47radix_sort_onesweep_sort_config_static_selectorELNS0_4arch9wavefront6targetE0EEEvSN_.numbered_sgpr, 0
	.set _ZN7rocprim17ROCPRIM_400000_NS6detail17trampoline_kernelINS0_14default_configENS1_35radix_sort_onesweep_config_selectorIjN6thrust23THRUST_200600_302600_NS5tupleIffNS6_9null_typeES8_S8_S8_S8_S8_S8_S8_EEEEZZNS1_29radix_sort_onesweep_iterationIS3_Lb0ENS6_6detail15normal_iteratorINS6_10device_ptrIjEEEESG_NSD_INSE_IS9_EEEESI_jNS0_19identity_decomposerENS1_16block_id_wrapperIjLb1EEEEE10hipError_tT1_PNSt15iterator_traitsISN_E10value_typeET2_T3_PNSO_IST_E10value_typeET4_T5_PSY_SZ_PNS1_23onesweep_lookback_stateEbbT6_jjT7_P12ihipStream_tbENKUlT_T0_SN_SS_E_clISG_SG_SI_SI_EEDaS16_S17_SN_SS_EUlS16_E_NS1_11comp_targetILNS1_3genE4ELNS1_11target_archE910ELNS1_3gpuE8ELNS1_3repE0EEENS1_47radix_sort_onesweep_sort_config_static_selectorELNS0_4arch9wavefront6targetE0EEEvSN_.num_named_barrier, 0
	.set _ZN7rocprim17ROCPRIM_400000_NS6detail17trampoline_kernelINS0_14default_configENS1_35radix_sort_onesweep_config_selectorIjN6thrust23THRUST_200600_302600_NS5tupleIffNS6_9null_typeES8_S8_S8_S8_S8_S8_S8_EEEEZZNS1_29radix_sort_onesweep_iterationIS3_Lb0ENS6_6detail15normal_iteratorINS6_10device_ptrIjEEEESG_NSD_INSE_IS9_EEEESI_jNS0_19identity_decomposerENS1_16block_id_wrapperIjLb1EEEEE10hipError_tT1_PNSt15iterator_traitsISN_E10value_typeET2_T3_PNSO_IST_E10value_typeET4_T5_PSY_SZ_PNS1_23onesweep_lookback_stateEbbT6_jjT7_P12ihipStream_tbENKUlT_T0_SN_SS_E_clISG_SG_SI_SI_EEDaS16_S17_SN_SS_EUlS16_E_NS1_11comp_targetILNS1_3genE4ELNS1_11target_archE910ELNS1_3gpuE8ELNS1_3repE0EEENS1_47radix_sort_onesweep_sort_config_static_selectorELNS0_4arch9wavefront6targetE0EEEvSN_.private_seg_size, 0
	.set _ZN7rocprim17ROCPRIM_400000_NS6detail17trampoline_kernelINS0_14default_configENS1_35radix_sort_onesweep_config_selectorIjN6thrust23THRUST_200600_302600_NS5tupleIffNS6_9null_typeES8_S8_S8_S8_S8_S8_S8_EEEEZZNS1_29radix_sort_onesweep_iterationIS3_Lb0ENS6_6detail15normal_iteratorINS6_10device_ptrIjEEEESG_NSD_INSE_IS9_EEEESI_jNS0_19identity_decomposerENS1_16block_id_wrapperIjLb1EEEEE10hipError_tT1_PNSt15iterator_traitsISN_E10value_typeET2_T3_PNSO_IST_E10value_typeET4_T5_PSY_SZ_PNS1_23onesweep_lookback_stateEbbT6_jjT7_P12ihipStream_tbENKUlT_T0_SN_SS_E_clISG_SG_SI_SI_EEDaS16_S17_SN_SS_EUlS16_E_NS1_11comp_targetILNS1_3genE4ELNS1_11target_archE910ELNS1_3gpuE8ELNS1_3repE0EEENS1_47radix_sort_onesweep_sort_config_static_selectorELNS0_4arch9wavefront6targetE0EEEvSN_.uses_vcc, 0
	.set _ZN7rocprim17ROCPRIM_400000_NS6detail17trampoline_kernelINS0_14default_configENS1_35radix_sort_onesweep_config_selectorIjN6thrust23THRUST_200600_302600_NS5tupleIffNS6_9null_typeES8_S8_S8_S8_S8_S8_S8_EEEEZZNS1_29radix_sort_onesweep_iterationIS3_Lb0ENS6_6detail15normal_iteratorINS6_10device_ptrIjEEEESG_NSD_INSE_IS9_EEEESI_jNS0_19identity_decomposerENS1_16block_id_wrapperIjLb1EEEEE10hipError_tT1_PNSt15iterator_traitsISN_E10value_typeET2_T3_PNSO_IST_E10value_typeET4_T5_PSY_SZ_PNS1_23onesweep_lookback_stateEbbT6_jjT7_P12ihipStream_tbENKUlT_T0_SN_SS_E_clISG_SG_SI_SI_EEDaS16_S17_SN_SS_EUlS16_E_NS1_11comp_targetILNS1_3genE4ELNS1_11target_archE910ELNS1_3gpuE8ELNS1_3repE0EEENS1_47radix_sort_onesweep_sort_config_static_selectorELNS0_4arch9wavefront6targetE0EEEvSN_.uses_flat_scratch, 0
	.set _ZN7rocprim17ROCPRIM_400000_NS6detail17trampoline_kernelINS0_14default_configENS1_35radix_sort_onesweep_config_selectorIjN6thrust23THRUST_200600_302600_NS5tupleIffNS6_9null_typeES8_S8_S8_S8_S8_S8_S8_EEEEZZNS1_29radix_sort_onesweep_iterationIS3_Lb0ENS6_6detail15normal_iteratorINS6_10device_ptrIjEEEESG_NSD_INSE_IS9_EEEESI_jNS0_19identity_decomposerENS1_16block_id_wrapperIjLb1EEEEE10hipError_tT1_PNSt15iterator_traitsISN_E10value_typeET2_T3_PNSO_IST_E10value_typeET4_T5_PSY_SZ_PNS1_23onesweep_lookback_stateEbbT6_jjT7_P12ihipStream_tbENKUlT_T0_SN_SS_E_clISG_SG_SI_SI_EEDaS16_S17_SN_SS_EUlS16_E_NS1_11comp_targetILNS1_3genE4ELNS1_11target_archE910ELNS1_3gpuE8ELNS1_3repE0EEENS1_47radix_sort_onesweep_sort_config_static_selectorELNS0_4arch9wavefront6targetE0EEEvSN_.has_dyn_sized_stack, 0
	.set _ZN7rocprim17ROCPRIM_400000_NS6detail17trampoline_kernelINS0_14default_configENS1_35radix_sort_onesweep_config_selectorIjN6thrust23THRUST_200600_302600_NS5tupleIffNS6_9null_typeES8_S8_S8_S8_S8_S8_S8_EEEEZZNS1_29radix_sort_onesweep_iterationIS3_Lb0ENS6_6detail15normal_iteratorINS6_10device_ptrIjEEEESG_NSD_INSE_IS9_EEEESI_jNS0_19identity_decomposerENS1_16block_id_wrapperIjLb1EEEEE10hipError_tT1_PNSt15iterator_traitsISN_E10value_typeET2_T3_PNSO_IST_E10value_typeET4_T5_PSY_SZ_PNS1_23onesweep_lookback_stateEbbT6_jjT7_P12ihipStream_tbENKUlT_T0_SN_SS_E_clISG_SG_SI_SI_EEDaS16_S17_SN_SS_EUlS16_E_NS1_11comp_targetILNS1_3genE4ELNS1_11target_archE910ELNS1_3gpuE8ELNS1_3repE0EEENS1_47radix_sort_onesweep_sort_config_static_selectorELNS0_4arch9wavefront6targetE0EEEvSN_.has_recursion, 0
	.set _ZN7rocprim17ROCPRIM_400000_NS6detail17trampoline_kernelINS0_14default_configENS1_35radix_sort_onesweep_config_selectorIjN6thrust23THRUST_200600_302600_NS5tupleIffNS6_9null_typeES8_S8_S8_S8_S8_S8_S8_EEEEZZNS1_29radix_sort_onesweep_iterationIS3_Lb0ENS6_6detail15normal_iteratorINS6_10device_ptrIjEEEESG_NSD_INSE_IS9_EEEESI_jNS0_19identity_decomposerENS1_16block_id_wrapperIjLb1EEEEE10hipError_tT1_PNSt15iterator_traitsISN_E10value_typeET2_T3_PNSO_IST_E10value_typeET4_T5_PSY_SZ_PNS1_23onesweep_lookback_stateEbbT6_jjT7_P12ihipStream_tbENKUlT_T0_SN_SS_E_clISG_SG_SI_SI_EEDaS16_S17_SN_SS_EUlS16_E_NS1_11comp_targetILNS1_3genE4ELNS1_11target_archE910ELNS1_3gpuE8ELNS1_3repE0EEENS1_47radix_sort_onesweep_sort_config_static_selectorELNS0_4arch9wavefront6targetE0EEEvSN_.has_indirect_call, 0
	.section	.AMDGPU.csdata,"",@progbits
; Kernel info:
; codeLenInByte = 0
; TotalNumSgprs: 0
; NumVgprs: 0
; ScratchSize: 0
; MemoryBound: 0
; FloatMode: 240
; IeeeMode: 1
; LDSByteSize: 0 bytes/workgroup (compile time only)
; SGPRBlocks: 0
; VGPRBlocks: 0
; NumSGPRsForWavesPerEU: 1
; NumVGPRsForWavesPerEU: 1
; Occupancy: 16
; WaveLimiterHint : 0
; COMPUTE_PGM_RSRC2:SCRATCH_EN: 0
; COMPUTE_PGM_RSRC2:USER_SGPR: 6
; COMPUTE_PGM_RSRC2:TRAP_HANDLER: 0
; COMPUTE_PGM_RSRC2:TGID_X_EN: 1
; COMPUTE_PGM_RSRC2:TGID_Y_EN: 0
; COMPUTE_PGM_RSRC2:TGID_Z_EN: 0
; COMPUTE_PGM_RSRC2:TIDIG_COMP_CNT: 0
	.section	.text._ZN7rocprim17ROCPRIM_400000_NS6detail17trampoline_kernelINS0_14default_configENS1_35radix_sort_onesweep_config_selectorIjN6thrust23THRUST_200600_302600_NS5tupleIffNS6_9null_typeES8_S8_S8_S8_S8_S8_S8_EEEEZZNS1_29radix_sort_onesweep_iterationIS3_Lb0ENS6_6detail15normal_iteratorINS6_10device_ptrIjEEEESG_NSD_INSE_IS9_EEEESI_jNS0_19identity_decomposerENS1_16block_id_wrapperIjLb1EEEEE10hipError_tT1_PNSt15iterator_traitsISN_E10value_typeET2_T3_PNSO_IST_E10value_typeET4_T5_PSY_SZ_PNS1_23onesweep_lookback_stateEbbT6_jjT7_P12ihipStream_tbENKUlT_T0_SN_SS_E_clISG_SG_SI_SI_EEDaS16_S17_SN_SS_EUlS16_E_NS1_11comp_targetILNS1_3genE3ELNS1_11target_archE908ELNS1_3gpuE7ELNS1_3repE0EEENS1_47radix_sort_onesweep_sort_config_static_selectorELNS0_4arch9wavefront6targetE0EEEvSN_,"axG",@progbits,_ZN7rocprim17ROCPRIM_400000_NS6detail17trampoline_kernelINS0_14default_configENS1_35radix_sort_onesweep_config_selectorIjN6thrust23THRUST_200600_302600_NS5tupleIffNS6_9null_typeES8_S8_S8_S8_S8_S8_S8_EEEEZZNS1_29radix_sort_onesweep_iterationIS3_Lb0ENS6_6detail15normal_iteratorINS6_10device_ptrIjEEEESG_NSD_INSE_IS9_EEEESI_jNS0_19identity_decomposerENS1_16block_id_wrapperIjLb1EEEEE10hipError_tT1_PNSt15iterator_traitsISN_E10value_typeET2_T3_PNSO_IST_E10value_typeET4_T5_PSY_SZ_PNS1_23onesweep_lookback_stateEbbT6_jjT7_P12ihipStream_tbENKUlT_T0_SN_SS_E_clISG_SG_SI_SI_EEDaS16_S17_SN_SS_EUlS16_E_NS1_11comp_targetILNS1_3genE3ELNS1_11target_archE908ELNS1_3gpuE7ELNS1_3repE0EEENS1_47radix_sort_onesweep_sort_config_static_selectorELNS0_4arch9wavefront6targetE0EEEvSN_,comdat
	.protected	_ZN7rocprim17ROCPRIM_400000_NS6detail17trampoline_kernelINS0_14default_configENS1_35radix_sort_onesweep_config_selectorIjN6thrust23THRUST_200600_302600_NS5tupleIffNS6_9null_typeES8_S8_S8_S8_S8_S8_S8_EEEEZZNS1_29radix_sort_onesweep_iterationIS3_Lb0ENS6_6detail15normal_iteratorINS6_10device_ptrIjEEEESG_NSD_INSE_IS9_EEEESI_jNS0_19identity_decomposerENS1_16block_id_wrapperIjLb1EEEEE10hipError_tT1_PNSt15iterator_traitsISN_E10value_typeET2_T3_PNSO_IST_E10value_typeET4_T5_PSY_SZ_PNS1_23onesweep_lookback_stateEbbT6_jjT7_P12ihipStream_tbENKUlT_T0_SN_SS_E_clISG_SG_SI_SI_EEDaS16_S17_SN_SS_EUlS16_E_NS1_11comp_targetILNS1_3genE3ELNS1_11target_archE908ELNS1_3gpuE7ELNS1_3repE0EEENS1_47radix_sort_onesweep_sort_config_static_selectorELNS0_4arch9wavefront6targetE0EEEvSN_ ; -- Begin function _ZN7rocprim17ROCPRIM_400000_NS6detail17trampoline_kernelINS0_14default_configENS1_35radix_sort_onesweep_config_selectorIjN6thrust23THRUST_200600_302600_NS5tupleIffNS6_9null_typeES8_S8_S8_S8_S8_S8_S8_EEEEZZNS1_29radix_sort_onesweep_iterationIS3_Lb0ENS6_6detail15normal_iteratorINS6_10device_ptrIjEEEESG_NSD_INSE_IS9_EEEESI_jNS0_19identity_decomposerENS1_16block_id_wrapperIjLb1EEEEE10hipError_tT1_PNSt15iterator_traitsISN_E10value_typeET2_T3_PNSO_IST_E10value_typeET4_T5_PSY_SZ_PNS1_23onesweep_lookback_stateEbbT6_jjT7_P12ihipStream_tbENKUlT_T0_SN_SS_E_clISG_SG_SI_SI_EEDaS16_S17_SN_SS_EUlS16_E_NS1_11comp_targetILNS1_3genE3ELNS1_11target_archE908ELNS1_3gpuE7ELNS1_3repE0EEENS1_47radix_sort_onesweep_sort_config_static_selectorELNS0_4arch9wavefront6targetE0EEEvSN_
	.globl	_ZN7rocprim17ROCPRIM_400000_NS6detail17trampoline_kernelINS0_14default_configENS1_35radix_sort_onesweep_config_selectorIjN6thrust23THRUST_200600_302600_NS5tupleIffNS6_9null_typeES8_S8_S8_S8_S8_S8_S8_EEEEZZNS1_29radix_sort_onesweep_iterationIS3_Lb0ENS6_6detail15normal_iteratorINS6_10device_ptrIjEEEESG_NSD_INSE_IS9_EEEESI_jNS0_19identity_decomposerENS1_16block_id_wrapperIjLb1EEEEE10hipError_tT1_PNSt15iterator_traitsISN_E10value_typeET2_T3_PNSO_IST_E10value_typeET4_T5_PSY_SZ_PNS1_23onesweep_lookback_stateEbbT6_jjT7_P12ihipStream_tbENKUlT_T0_SN_SS_E_clISG_SG_SI_SI_EEDaS16_S17_SN_SS_EUlS16_E_NS1_11comp_targetILNS1_3genE3ELNS1_11target_archE908ELNS1_3gpuE7ELNS1_3repE0EEENS1_47radix_sort_onesweep_sort_config_static_selectorELNS0_4arch9wavefront6targetE0EEEvSN_
	.p2align	8
	.type	_ZN7rocprim17ROCPRIM_400000_NS6detail17trampoline_kernelINS0_14default_configENS1_35radix_sort_onesweep_config_selectorIjN6thrust23THRUST_200600_302600_NS5tupleIffNS6_9null_typeES8_S8_S8_S8_S8_S8_S8_EEEEZZNS1_29radix_sort_onesweep_iterationIS3_Lb0ENS6_6detail15normal_iteratorINS6_10device_ptrIjEEEESG_NSD_INSE_IS9_EEEESI_jNS0_19identity_decomposerENS1_16block_id_wrapperIjLb1EEEEE10hipError_tT1_PNSt15iterator_traitsISN_E10value_typeET2_T3_PNSO_IST_E10value_typeET4_T5_PSY_SZ_PNS1_23onesweep_lookback_stateEbbT6_jjT7_P12ihipStream_tbENKUlT_T0_SN_SS_E_clISG_SG_SI_SI_EEDaS16_S17_SN_SS_EUlS16_E_NS1_11comp_targetILNS1_3genE3ELNS1_11target_archE908ELNS1_3gpuE7ELNS1_3repE0EEENS1_47radix_sort_onesweep_sort_config_static_selectorELNS0_4arch9wavefront6targetE0EEEvSN_,@function
_ZN7rocprim17ROCPRIM_400000_NS6detail17trampoline_kernelINS0_14default_configENS1_35radix_sort_onesweep_config_selectorIjN6thrust23THRUST_200600_302600_NS5tupleIffNS6_9null_typeES8_S8_S8_S8_S8_S8_S8_EEEEZZNS1_29radix_sort_onesweep_iterationIS3_Lb0ENS6_6detail15normal_iteratorINS6_10device_ptrIjEEEESG_NSD_INSE_IS9_EEEESI_jNS0_19identity_decomposerENS1_16block_id_wrapperIjLb1EEEEE10hipError_tT1_PNSt15iterator_traitsISN_E10value_typeET2_T3_PNSO_IST_E10value_typeET4_T5_PSY_SZ_PNS1_23onesweep_lookback_stateEbbT6_jjT7_P12ihipStream_tbENKUlT_T0_SN_SS_E_clISG_SG_SI_SI_EEDaS16_S17_SN_SS_EUlS16_E_NS1_11comp_targetILNS1_3genE3ELNS1_11target_archE908ELNS1_3gpuE7ELNS1_3repE0EEENS1_47radix_sort_onesweep_sort_config_static_selectorELNS0_4arch9wavefront6targetE0EEEvSN_: ; @_ZN7rocprim17ROCPRIM_400000_NS6detail17trampoline_kernelINS0_14default_configENS1_35radix_sort_onesweep_config_selectorIjN6thrust23THRUST_200600_302600_NS5tupleIffNS6_9null_typeES8_S8_S8_S8_S8_S8_S8_EEEEZZNS1_29radix_sort_onesweep_iterationIS3_Lb0ENS6_6detail15normal_iteratorINS6_10device_ptrIjEEEESG_NSD_INSE_IS9_EEEESI_jNS0_19identity_decomposerENS1_16block_id_wrapperIjLb1EEEEE10hipError_tT1_PNSt15iterator_traitsISN_E10value_typeET2_T3_PNSO_IST_E10value_typeET4_T5_PSY_SZ_PNS1_23onesweep_lookback_stateEbbT6_jjT7_P12ihipStream_tbENKUlT_T0_SN_SS_E_clISG_SG_SI_SI_EEDaS16_S17_SN_SS_EUlS16_E_NS1_11comp_targetILNS1_3genE3ELNS1_11target_archE908ELNS1_3gpuE7ELNS1_3repE0EEENS1_47radix_sort_onesweep_sort_config_static_selectorELNS0_4arch9wavefront6targetE0EEEvSN_
; %bb.0:
	.section	.rodata,"a",@progbits
	.p2align	6, 0x0
	.amdhsa_kernel _ZN7rocprim17ROCPRIM_400000_NS6detail17trampoline_kernelINS0_14default_configENS1_35radix_sort_onesweep_config_selectorIjN6thrust23THRUST_200600_302600_NS5tupleIffNS6_9null_typeES8_S8_S8_S8_S8_S8_S8_EEEEZZNS1_29radix_sort_onesweep_iterationIS3_Lb0ENS6_6detail15normal_iteratorINS6_10device_ptrIjEEEESG_NSD_INSE_IS9_EEEESI_jNS0_19identity_decomposerENS1_16block_id_wrapperIjLb1EEEEE10hipError_tT1_PNSt15iterator_traitsISN_E10value_typeET2_T3_PNSO_IST_E10value_typeET4_T5_PSY_SZ_PNS1_23onesweep_lookback_stateEbbT6_jjT7_P12ihipStream_tbENKUlT_T0_SN_SS_E_clISG_SG_SI_SI_EEDaS16_S17_SN_SS_EUlS16_E_NS1_11comp_targetILNS1_3genE3ELNS1_11target_archE908ELNS1_3gpuE7ELNS1_3repE0EEENS1_47radix_sort_onesweep_sort_config_static_selectorELNS0_4arch9wavefront6targetE0EEEvSN_
		.amdhsa_group_segment_fixed_size 0
		.amdhsa_private_segment_fixed_size 0
		.amdhsa_kernarg_size 88
		.amdhsa_user_sgpr_count 6
		.amdhsa_user_sgpr_private_segment_buffer 1
		.amdhsa_user_sgpr_dispatch_ptr 0
		.amdhsa_user_sgpr_queue_ptr 0
		.amdhsa_user_sgpr_kernarg_segment_ptr 1
		.amdhsa_user_sgpr_dispatch_id 0
		.amdhsa_user_sgpr_flat_scratch_init 0
		.amdhsa_user_sgpr_private_segment_size 0
		.amdhsa_wavefront_size32 1
		.amdhsa_uses_dynamic_stack 0
		.amdhsa_system_sgpr_private_segment_wavefront_offset 0
		.amdhsa_system_sgpr_workgroup_id_x 1
		.amdhsa_system_sgpr_workgroup_id_y 0
		.amdhsa_system_sgpr_workgroup_id_z 0
		.amdhsa_system_sgpr_workgroup_info 0
		.amdhsa_system_vgpr_workitem_id 0
		.amdhsa_next_free_vgpr 1
		.amdhsa_next_free_sgpr 1
		.amdhsa_reserve_vcc 0
		.amdhsa_reserve_flat_scratch 0
		.amdhsa_float_round_mode_32 0
		.amdhsa_float_round_mode_16_64 0
		.amdhsa_float_denorm_mode_32 3
		.amdhsa_float_denorm_mode_16_64 3
		.amdhsa_dx10_clamp 1
		.amdhsa_ieee_mode 1
		.amdhsa_fp16_overflow 0
		.amdhsa_workgroup_processor_mode 1
		.amdhsa_memory_ordered 1
		.amdhsa_forward_progress 1
		.amdhsa_shared_vgpr_count 0
		.amdhsa_exception_fp_ieee_invalid_op 0
		.amdhsa_exception_fp_denorm_src 0
		.amdhsa_exception_fp_ieee_div_zero 0
		.amdhsa_exception_fp_ieee_overflow 0
		.amdhsa_exception_fp_ieee_underflow 0
		.amdhsa_exception_fp_ieee_inexact 0
		.amdhsa_exception_int_div_zero 0
	.end_amdhsa_kernel
	.section	.text._ZN7rocprim17ROCPRIM_400000_NS6detail17trampoline_kernelINS0_14default_configENS1_35radix_sort_onesweep_config_selectorIjN6thrust23THRUST_200600_302600_NS5tupleIffNS6_9null_typeES8_S8_S8_S8_S8_S8_S8_EEEEZZNS1_29radix_sort_onesweep_iterationIS3_Lb0ENS6_6detail15normal_iteratorINS6_10device_ptrIjEEEESG_NSD_INSE_IS9_EEEESI_jNS0_19identity_decomposerENS1_16block_id_wrapperIjLb1EEEEE10hipError_tT1_PNSt15iterator_traitsISN_E10value_typeET2_T3_PNSO_IST_E10value_typeET4_T5_PSY_SZ_PNS1_23onesweep_lookback_stateEbbT6_jjT7_P12ihipStream_tbENKUlT_T0_SN_SS_E_clISG_SG_SI_SI_EEDaS16_S17_SN_SS_EUlS16_E_NS1_11comp_targetILNS1_3genE3ELNS1_11target_archE908ELNS1_3gpuE7ELNS1_3repE0EEENS1_47radix_sort_onesweep_sort_config_static_selectorELNS0_4arch9wavefront6targetE0EEEvSN_,"axG",@progbits,_ZN7rocprim17ROCPRIM_400000_NS6detail17trampoline_kernelINS0_14default_configENS1_35radix_sort_onesweep_config_selectorIjN6thrust23THRUST_200600_302600_NS5tupleIffNS6_9null_typeES8_S8_S8_S8_S8_S8_S8_EEEEZZNS1_29radix_sort_onesweep_iterationIS3_Lb0ENS6_6detail15normal_iteratorINS6_10device_ptrIjEEEESG_NSD_INSE_IS9_EEEESI_jNS0_19identity_decomposerENS1_16block_id_wrapperIjLb1EEEEE10hipError_tT1_PNSt15iterator_traitsISN_E10value_typeET2_T3_PNSO_IST_E10value_typeET4_T5_PSY_SZ_PNS1_23onesweep_lookback_stateEbbT6_jjT7_P12ihipStream_tbENKUlT_T0_SN_SS_E_clISG_SG_SI_SI_EEDaS16_S17_SN_SS_EUlS16_E_NS1_11comp_targetILNS1_3genE3ELNS1_11target_archE908ELNS1_3gpuE7ELNS1_3repE0EEENS1_47radix_sort_onesweep_sort_config_static_selectorELNS0_4arch9wavefront6targetE0EEEvSN_,comdat
.Lfunc_end180:
	.size	_ZN7rocprim17ROCPRIM_400000_NS6detail17trampoline_kernelINS0_14default_configENS1_35radix_sort_onesweep_config_selectorIjN6thrust23THRUST_200600_302600_NS5tupleIffNS6_9null_typeES8_S8_S8_S8_S8_S8_S8_EEEEZZNS1_29radix_sort_onesweep_iterationIS3_Lb0ENS6_6detail15normal_iteratorINS6_10device_ptrIjEEEESG_NSD_INSE_IS9_EEEESI_jNS0_19identity_decomposerENS1_16block_id_wrapperIjLb1EEEEE10hipError_tT1_PNSt15iterator_traitsISN_E10value_typeET2_T3_PNSO_IST_E10value_typeET4_T5_PSY_SZ_PNS1_23onesweep_lookback_stateEbbT6_jjT7_P12ihipStream_tbENKUlT_T0_SN_SS_E_clISG_SG_SI_SI_EEDaS16_S17_SN_SS_EUlS16_E_NS1_11comp_targetILNS1_3genE3ELNS1_11target_archE908ELNS1_3gpuE7ELNS1_3repE0EEENS1_47radix_sort_onesweep_sort_config_static_selectorELNS0_4arch9wavefront6targetE0EEEvSN_, .Lfunc_end180-_ZN7rocprim17ROCPRIM_400000_NS6detail17trampoline_kernelINS0_14default_configENS1_35radix_sort_onesweep_config_selectorIjN6thrust23THRUST_200600_302600_NS5tupleIffNS6_9null_typeES8_S8_S8_S8_S8_S8_S8_EEEEZZNS1_29radix_sort_onesweep_iterationIS3_Lb0ENS6_6detail15normal_iteratorINS6_10device_ptrIjEEEESG_NSD_INSE_IS9_EEEESI_jNS0_19identity_decomposerENS1_16block_id_wrapperIjLb1EEEEE10hipError_tT1_PNSt15iterator_traitsISN_E10value_typeET2_T3_PNSO_IST_E10value_typeET4_T5_PSY_SZ_PNS1_23onesweep_lookback_stateEbbT6_jjT7_P12ihipStream_tbENKUlT_T0_SN_SS_E_clISG_SG_SI_SI_EEDaS16_S17_SN_SS_EUlS16_E_NS1_11comp_targetILNS1_3genE3ELNS1_11target_archE908ELNS1_3gpuE7ELNS1_3repE0EEENS1_47radix_sort_onesweep_sort_config_static_selectorELNS0_4arch9wavefront6targetE0EEEvSN_
                                        ; -- End function
	.set _ZN7rocprim17ROCPRIM_400000_NS6detail17trampoline_kernelINS0_14default_configENS1_35radix_sort_onesweep_config_selectorIjN6thrust23THRUST_200600_302600_NS5tupleIffNS6_9null_typeES8_S8_S8_S8_S8_S8_S8_EEEEZZNS1_29radix_sort_onesweep_iterationIS3_Lb0ENS6_6detail15normal_iteratorINS6_10device_ptrIjEEEESG_NSD_INSE_IS9_EEEESI_jNS0_19identity_decomposerENS1_16block_id_wrapperIjLb1EEEEE10hipError_tT1_PNSt15iterator_traitsISN_E10value_typeET2_T3_PNSO_IST_E10value_typeET4_T5_PSY_SZ_PNS1_23onesweep_lookback_stateEbbT6_jjT7_P12ihipStream_tbENKUlT_T0_SN_SS_E_clISG_SG_SI_SI_EEDaS16_S17_SN_SS_EUlS16_E_NS1_11comp_targetILNS1_3genE3ELNS1_11target_archE908ELNS1_3gpuE7ELNS1_3repE0EEENS1_47radix_sort_onesweep_sort_config_static_selectorELNS0_4arch9wavefront6targetE0EEEvSN_.num_vgpr, 0
	.set _ZN7rocprim17ROCPRIM_400000_NS6detail17trampoline_kernelINS0_14default_configENS1_35radix_sort_onesweep_config_selectorIjN6thrust23THRUST_200600_302600_NS5tupleIffNS6_9null_typeES8_S8_S8_S8_S8_S8_S8_EEEEZZNS1_29radix_sort_onesweep_iterationIS3_Lb0ENS6_6detail15normal_iteratorINS6_10device_ptrIjEEEESG_NSD_INSE_IS9_EEEESI_jNS0_19identity_decomposerENS1_16block_id_wrapperIjLb1EEEEE10hipError_tT1_PNSt15iterator_traitsISN_E10value_typeET2_T3_PNSO_IST_E10value_typeET4_T5_PSY_SZ_PNS1_23onesweep_lookback_stateEbbT6_jjT7_P12ihipStream_tbENKUlT_T0_SN_SS_E_clISG_SG_SI_SI_EEDaS16_S17_SN_SS_EUlS16_E_NS1_11comp_targetILNS1_3genE3ELNS1_11target_archE908ELNS1_3gpuE7ELNS1_3repE0EEENS1_47radix_sort_onesweep_sort_config_static_selectorELNS0_4arch9wavefront6targetE0EEEvSN_.num_agpr, 0
	.set _ZN7rocprim17ROCPRIM_400000_NS6detail17trampoline_kernelINS0_14default_configENS1_35radix_sort_onesweep_config_selectorIjN6thrust23THRUST_200600_302600_NS5tupleIffNS6_9null_typeES8_S8_S8_S8_S8_S8_S8_EEEEZZNS1_29radix_sort_onesweep_iterationIS3_Lb0ENS6_6detail15normal_iteratorINS6_10device_ptrIjEEEESG_NSD_INSE_IS9_EEEESI_jNS0_19identity_decomposerENS1_16block_id_wrapperIjLb1EEEEE10hipError_tT1_PNSt15iterator_traitsISN_E10value_typeET2_T3_PNSO_IST_E10value_typeET4_T5_PSY_SZ_PNS1_23onesweep_lookback_stateEbbT6_jjT7_P12ihipStream_tbENKUlT_T0_SN_SS_E_clISG_SG_SI_SI_EEDaS16_S17_SN_SS_EUlS16_E_NS1_11comp_targetILNS1_3genE3ELNS1_11target_archE908ELNS1_3gpuE7ELNS1_3repE0EEENS1_47radix_sort_onesweep_sort_config_static_selectorELNS0_4arch9wavefront6targetE0EEEvSN_.numbered_sgpr, 0
	.set _ZN7rocprim17ROCPRIM_400000_NS6detail17trampoline_kernelINS0_14default_configENS1_35radix_sort_onesweep_config_selectorIjN6thrust23THRUST_200600_302600_NS5tupleIffNS6_9null_typeES8_S8_S8_S8_S8_S8_S8_EEEEZZNS1_29radix_sort_onesweep_iterationIS3_Lb0ENS6_6detail15normal_iteratorINS6_10device_ptrIjEEEESG_NSD_INSE_IS9_EEEESI_jNS0_19identity_decomposerENS1_16block_id_wrapperIjLb1EEEEE10hipError_tT1_PNSt15iterator_traitsISN_E10value_typeET2_T3_PNSO_IST_E10value_typeET4_T5_PSY_SZ_PNS1_23onesweep_lookback_stateEbbT6_jjT7_P12ihipStream_tbENKUlT_T0_SN_SS_E_clISG_SG_SI_SI_EEDaS16_S17_SN_SS_EUlS16_E_NS1_11comp_targetILNS1_3genE3ELNS1_11target_archE908ELNS1_3gpuE7ELNS1_3repE0EEENS1_47radix_sort_onesweep_sort_config_static_selectorELNS0_4arch9wavefront6targetE0EEEvSN_.num_named_barrier, 0
	.set _ZN7rocprim17ROCPRIM_400000_NS6detail17trampoline_kernelINS0_14default_configENS1_35radix_sort_onesweep_config_selectorIjN6thrust23THRUST_200600_302600_NS5tupleIffNS6_9null_typeES8_S8_S8_S8_S8_S8_S8_EEEEZZNS1_29radix_sort_onesweep_iterationIS3_Lb0ENS6_6detail15normal_iteratorINS6_10device_ptrIjEEEESG_NSD_INSE_IS9_EEEESI_jNS0_19identity_decomposerENS1_16block_id_wrapperIjLb1EEEEE10hipError_tT1_PNSt15iterator_traitsISN_E10value_typeET2_T3_PNSO_IST_E10value_typeET4_T5_PSY_SZ_PNS1_23onesweep_lookback_stateEbbT6_jjT7_P12ihipStream_tbENKUlT_T0_SN_SS_E_clISG_SG_SI_SI_EEDaS16_S17_SN_SS_EUlS16_E_NS1_11comp_targetILNS1_3genE3ELNS1_11target_archE908ELNS1_3gpuE7ELNS1_3repE0EEENS1_47radix_sort_onesweep_sort_config_static_selectorELNS0_4arch9wavefront6targetE0EEEvSN_.private_seg_size, 0
	.set _ZN7rocprim17ROCPRIM_400000_NS6detail17trampoline_kernelINS0_14default_configENS1_35radix_sort_onesweep_config_selectorIjN6thrust23THRUST_200600_302600_NS5tupleIffNS6_9null_typeES8_S8_S8_S8_S8_S8_S8_EEEEZZNS1_29radix_sort_onesweep_iterationIS3_Lb0ENS6_6detail15normal_iteratorINS6_10device_ptrIjEEEESG_NSD_INSE_IS9_EEEESI_jNS0_19identity_decomposerENS1_16block_id_wrapperIjLb1EEEEE10hipError_tT1_PNSt15iterator_traitsISN_E10value_typeET2_T3_PNSO_IST_E10value_typeET4_T5_PSY_SZ_PNS1_23onesweep_lookback_stateEbbT6_jjT7_P12ihipStream_tbENKUlT_T0_SN_SS_E_clISG_SG_SI_SI_EEDaS16_S17_SN_SS_EUlS16_E_NS1_11comp_targetILNS1_3genE3ELNS1_11target_archE908ELNS1_3gpuE7ELNS1_3repE0EEENS1_47radix_sort_onesweep_sort_config_static_selectorELNS0_4arch9wavefront6targetE0EEEvSN_.uses_vcc, 0
	.set _ZN7rocprim17ROCPRIM_400000_NS6detail17trampoline_kernelINS0_14default_configENS1_35radix_sort_onesweep_config_selectorIjN6thrust23THRUST_200600_302600_NS5tupleIffNS6_9null_typeES8_S8_S8_S8_S8_S8_S8_EEEEZZNS1_29radix_sort_onesweep_iterationIS3_Lb0ENS6_6detail15normal_iteratorINS6_10device_ptrIjEEEESG_NSD_INSE_IS9_EEEESI_jNS0_19identity_decomposerENS1_16block_id_wrapperIjLb1EEEEE10hipError_tT1_PNSt15iterator_traitsISN_E10value_typeET2_T3_PNSO_IST_E10value_typeET4_T5_PSY_SZ_PNS1_23onesweep_lookback_stateEbbT6_jjT7_P12ihipStream_tbENKUlT_T0_SN_SS_E_clISG_SG_SI_SI_EEDaS16_S17_SN_SS_EUlS16_E_NS1_11comp_targetILNS1_3genE3ELNS1_11target_archE908ELNS1_3gpuE7ELNS1_3repE0EEENS1_47radix_sort_onesweep_sort_config_static_selectorELNS0_4arch9wavefront6targetE0EEEvSN_.uses_flat_scratch, 0
	.set _ZN7rocprim17ROCPRIM_400000_NS6detail17trampoline_kernelINS0_14default_configENS1_35radix_sort_onesweep_config_selectorIjN6thrust23THRUST_200600_302600_NS5tupleIffNS6_9null_typeES8_S8_S8_S8_S8_S8_S8_EEEEZZNS1_29radix_sort_onesweep_iterationIS3_Lb0ENS6_6detail15normal_iteratorINS6_10device_ptrIjEEEESG_NSD_INSE_IS9_EEEESI_jNS0_19identity_decomposerENS1_16block_id_wrapperIjLb1EEEEE10hipError_tT1_PNSt15iterator_traitsISN_E10value_typeET2_T3_PNSO_IST_E10value_typeET4_T5_PSY_SZ_PNS1_23onesweep_lookback_stateEbbT6_jjT7_P12ihipStream_tbENKUlT_T0_SN_SS_E_clISG_SG_SI_SI_EEDaS16_S17_SN_SS_EUlS16_E_NS1_11comp_targetILNS1_3genE3ELNS1_11target_archE908ELNS1_3gpuE7ELNS1_3repE0EEENS1_47radix_sort_onesweep_sort_config_static_selectorELNS0_4arch9wavefront6targetE0EEEvSN_.has_dyn_sized_stack, 0
	.set _ZN7rocprim17ROCPRIM_400000_NS6detail17trampoline_kernelINS0_14default_configENS1_35radix_sort_onesweep_config_selectorIjN6thrust23THRUST_200600_302600_NS5tupleIffNS6_9null_typeES8_S8_S8_S8_S8_S8_S8_EEEEZZNS1_29radix_sort_onesweep_iterationIS3_Lb0ENS6_6detail15normal_iteratorINS6_10device_ptrIjEEEESG_NSD_INSE_IS9_EEEESI_jNS0_19identity_decomposerENS1_16block_id_wrapperIjLb1EEEEE10hipError_tT1_PNSt15iterator_traitsISN_E10value_typeET2_T3_PNSO_IST_E10value_typeET4_T5_PSY_SZ_PNS1_23onesweep_lookback_stateEbbT6_jjT7_P12ihipStream_tbENKUlT_T0_SN_SS_E_clISG_SG_SI_SI_EEDaS16_S17_SN_SS_EUlS16_E_NS1_11comp_targetILNS1_3genE3ELNS1_11target_archE908ELNS1_3gpuE7ELNS1_3repE0EEENS1_47radix_sort_onesweep_sort_config_static_selectorELNS0_4arch9wavefront6targetE0EEEvSN_.has_recursion, 0
	.set _ZN7rocprim17ROCPRIM_400000_NS6detail17trampoline_kernelINS0_14default_configENS1_35radix_sort_onesweep_config_selectorIjN6thrust23THRUST_200600_302600_NS5tupleIffNS6_9null_typeES8_S8_S8_S8_S8_S8_S8_EEEEZZNS1_29radix_sort_onesweep_iterationIS3_Lb0ENS6_6detail15normal_iteratorINS6_10device_ptrIjEEEESG_NSD_INSE_IS9_EEEESI_jNS0_19identity_decomposerENS1_16block_id_wrapperIjLb1EEEEE10hipError_tT1_PNSt15iterator_traitsISN_E10value_typeET2_T3_PNSO_IST_E10value_typeET4_T5_PSY_SZ_PNS1_23onesweep_lookback_stateEbbT6_jjT7_P12ihipStream_tbENKUlT_T0_SN_SS_E_clISG_SG_SI_SI_EEDaS16_S17_SN_SS_EUlS16_E_NS1_11comp_targetILNS1_3genE3ELNS1_11target_archE908ELNS1_3gpuE7ELNS1_3repE0EEENS1_47radix_sort_onesweep_sort_config_static_selectorELNS0_4arch9wavefront6targetE0EEEvSN_.has_indirect_call, 0
	.section	.AMDGPU.csdata,"",@progbits
; Kernel info:
; codeLenInByte = 0
; TotalNumSgprs: 0
; NumVgprs: 0
; ScratchSize: 0
; MemoryBound: 0
; FloatMode: 240
; IeeeMode: 1
; LDSByteSize: 0 bytes/workgroup (compile time only)
; SGPRBlocks: 0
; VGPRBlocks: 0
; NumSGPRsForWavesPerEU: 1
; NumVGPRsForWavesPerEU: 1
; Occupancy: 16
; WaveLimiterHint : 0
; COMPUTE_PGM_RSRC2:SCRATCH_EN: 0
; COMPUTE_PGM_RSRC2:USER_SGPR: 6
; COMPUTE_PGM_RSRC2:TRAP_HANDLER: 0
; COMPUTE_PGM_RSRC2:TGID_X_EN: 1
; COMPUTE_PGM_RSRC2:TGID_Y_EN: 0
; COMPUTE_PGM_RSRC2:TGID_Z_EN: 0
; COMPUTE_PGM_RSRC2:TIDIG_COMP_CNT: 0
	.section	.text._ZN7rocprim17ROCPRIM_400000_NS6detail17trampoline_kernelINS0_14default_configENS1_35radix_sort_onesweep_config_selectorIjN6thrust23THRUST_200600_302600_NS5tupleIffNS6_9null_typeES8_S8_S8_S8_S8_S8_S8_EEEEZZNS1_29radix_sort_onesweep_iterationIS3_Lb0ENS6_6detail15normal_iteratorINS6_10device_ptrIjEEEESG_NSD_INSE_IS9_EEEESI_jNS0_19identity_decomposerENS1_16block_id_wrapperIjLb1EEEEE10hipError_tT1_PNSt15iterator_traitsISN_E10value_typeET2_T3_PNSO_IST_E10value_typeET4_T5_PSY_SZ_PNS1_23onesweep_lookback_stateEbbT6_jjT7_P12ihipStream_tbENKUlT_T0_SN_SS_E_clISG_SG_SI_SI_EEDaS16_S17_SN_SS_EUlS16_E_NS1_11comp_targetILNS1_3genE10ELNS1_11target_archE1201ELNS1_3gpuE5ELNS1_3repE0EEENS1_47radix_sort_onesweep_sort_config_static_selectorELNS0_4arch9wavefront6targetE0EEEvSN_,"axG",@progbits,_ZN7rocprim17ROCPRIM_400000_NS6detail17trampoline_kernelINS0_14default_configENS1_35radix_sort_onesweep_config_selectorIjN6thrust23THRUST_200600_302600_NS5tupleIffNS6_9null_typeES8_S8_S8_S8_S8_S8_S8_EEEEZZNS1_29radix_sort_onesweep_iterationIS3_Lb0ENS6_6detail15normal_iteratorINS6_10device_ptrIjEEEESG_NSD_INSE_IS9_EEEESI_jNS0_19identity_decomposerENS1_16block_id_wrapperIjLb1EEEEE10hipError_tT1_PNSt15iterator_traitsISN_E10value_typeET2_T3_PNSO_IST_E10value_typeET4_T5_PSY_SZ_PNS1_23onesweep_lookback_stateEbbT6_jjT7_P12ihipStream_tbENKUlT_T0_SN_SS_E_clISG_SG_SI_SI_EEDaS16_S17_SN_SS_EUlS16_E_NS1_11comp_targetILNS1_3genE10ELNS1_11target_archE1201ELNS1_3gpuE5ELNS1_3repE0EEENS1_47radix_sort_onesweep_sort_config_static_selectorELNS0_4arch9wavefront6targetE0EEEvSN_,comdat
	.protected	_ZN7rocprim17ROCPRIM_400000_NS6detail17trampoline_kernelINS0_14default_configENS1_35radix_sort_onesweep_config_selectorIjN6thrust23THRUST_200600_302600_NS5tupleIffNS6_9null_typeES8_S8_S8_S8_S8_S8_S8_EEEEZZNS1_29radix_sort_onesweep_iterationIS3_Lb0ENS6_6detail15normal_iteratorINS6_10device_ptrIjEEEESG_NSD_INSE_IS9_EEEESI_jNS0_19identity_decomposerENS1_16block_id_wrapperIjLb1EEEEE10hipError_tT1_PNSt15iterator_traitsISN_E10value_typeET2_T3_PNSO_IST_E10value_typeET4_T5_PSY_SZ_PNS1_23onesweep_lookback_stateEbbT6_jjT7_P12ihipStream_tbENKUlT_T0_SN_SS_E_clISG_SG_SI_SI_EEDaS16_S17_SN_SS_EUlS16_E_NS1_11comp_targetILNS1_3genE10ELNS1_11target_archE1201ELNS1_3gpuE5ELNS1_3repE0EEENS1_47radix_sort_onesweep_sort_config_static_selectorELNS0_4arch9wavefront6targetE0EEEvSN_ ; -- Begin function _ZN7rocprim17ROCPRIM_400000_NS6detail17trampoline_kernelINS0_14default_configENS1_35radix_sort_onesweep_config_selectorIjN6thrust23THRUST_200600_302600_NS5tupleIffNS6_9null_typeES8_S8_S8_S8_S8_S8_S8_EEEEZZNS1_29radix_sort_onesweep_iterationIS3_Lb0ENS6_6detail15normal_iteratorINS6_10device_ptrIjEEEESG_NSD_INSE_IS9_EEEESI_jNS0_19identity_decomposerENS1_16block_id_wrapperIjLb1EEEEE10hipError_tT1_PNSt15iterator_traitsISN_E10value_typeET2_T3_PNSO_IST_E10value_typeET4_T5_PSY_SZ_PNS1_23onesweep_lookback_stateEbbT6_jjT7_P12ihipStream_tbENKUlT_T0_SN_SS_E_clISG_SG_SI_SI_EEDaS16_S17_SN_SS_EUlS16_E_NS1_11comp_targetILNS1_3genE10ELNS1_11target_archE1201ELNS1_3gpuE5ELNS1_3repE0EEENS1_47radix_sort_onesweep_sort_config_static_selectorELNS0_4arch9wavefront6targetE0EEEvSN_
	.globl	_ZN7rocprim17ROCPRIM_400000_NS6detail17trampoline_kernelINS0_14default_configENS1_35radix_sort_onesweep_config_selectorIjN6thrust23THRUST_200600_302600_NS5tupleIffNS6_9null_typeES8_S8_S8_S8_S8_S8_S8_EEEEZZNS1_29radix_sort_onesweep_iterationIS3_Lb0ENS6_6detail15normal_iteratorINS6_10device_ptrIjEEEESG_NSD_INSE_IS9_EEEESI_jNS0_19identity_decomposerENS1_16block_id_wrapperIjLb1EEEEE10hipError_tT1_PNSt15iterator_traitsISN_E10value_typeET2_T3_PNSO_IST_E10value_typeET4_T5_PSY_SZ_PNS1_23onesweep_lookback_stateEbbT6_jjT7_P12ihipStream_tbENKUlT_T0_SN_SS_E_clISG_SG_SI_SI_EEDaS16_S17_SN_SS_EUlS16_E_NS1_11comp_targetILNS1_3genE10ELNS1_11target_archE1201ELNS1_3gpuE5ELNS1_3repE0EEENS1_47radix_sort_onesweep_sort_config_static_selectorELNS0_4arch9wavefront6targetE0EEEvSN_
	.p2align	8
	.type	_ZN7rocprim17ROCPRIM_400000_NS6detail17trampoline_kernelINS0_14default_configENS1_35radix_sort_onesweep_config_selectorIjN6thrust23THRUST_200600_302600_NS5tupleIffNS6_9null_typeES8_S8_S8_S8_S8_S8_S8_EEEEZZNS1_29radix_sort_onesweep_iterationIS3_Lb0ENS6_6detail15normal_iteratorINS6_10device_ptrIjEEEESG_NSD_INSE_IS9_EEEESI_jNS0_19identity_decomposerENS1_16block_id_wrapperIjLb1EEEEE10hipError_tT1_PNSt15iterator_traitsISN_E10value_typeET2_T3_PNSO_IST_E10value_typeET4_T5_PSY_SZ_PNS1_23onesweep_lookback_stateEbbT6_jjT7_P12ihipStream_tbENKUlT_T0_SN_SS_E_clISG_SG_SI_SI_EEDaS16_S17_SN_SS_EUlS16_E_NS1_11comp_targetILNS1_3genE10ELNS1_11target_archE1201ELNS1_3gpuE5ELNS1_3repE0EEENS1_47radix_sort_onesweep_sort_config_static_selectorELNS0_4arch9wavefront6targetE0EEEvSN_,@function
_ZN7rocprim17ROCPRIM_400000_NS6detail17trampoline_kernelINS0_14default_configENS1_35radix_sort_onesweep_config_selectorIjN6thrust23THRUST_200600_302600_NS5tupleIffNS6_9null_typeES8_S8_S8_S8_S8_S8_S8_EEEEZZNS1_29radix_sort_onesweep_iterationIS3_Lb0ENS6_6detail15normal_iteratorINS6_10device_ptrIjEEEESG_NSD_INSE_IS9_EEEESI_jNS0_19identity_decomposerENS1_16block_id_wrapperIjLb1EEEEE10hipError_tT1_PNSt15iterator_traitsISN_E10value_typeET2_T3_PNSO_IST_E10value_typeET4_T5_PSY_SZ_PNS1_23onesweep_lookback_stateEbbT6_jjT7_P12ihipStream_tbENKUlT_T0_SN_SS_E_clISG_SG_SI_SI_EEDaS16_S17_SN_SS_EUlS16_E_NS1_11comp_targetILNS1_3genE10ELNS1_11target_archE1201ELNS1_3gpuE5ELNS1_3repE0EEENS1_47radix_sort_onesweep_sort_config_static_selectorELNS0_4arch9wavefront6targetE0EEEvSN_: ; @_ZN7rocprim17ROCPRIM_400000_NS6detail17trampoline_kernelINS0_14default_configENS1_35radix_sort_onesweep_config_selectorIjN6thrust23THRUST_200600_302600_NS5tupleIffNS6_9null_typeES8_S8_S8_S8_S8_S8_S8_EEEEZZNS1_29radix_sort_onesweep_iterationIS3_Lb0ENS6_6detail15normal_iteratorINS6_10device_ptrIjEEEESG_NSD_INSE_IS9_EEEESI_jNS0_19identity_decomposerENS1_16block_id_wrapperIjLb1EEEEE10hipError_tT1_PNSt15iterator_traitsISN_E10value_typeET2_T3_PNSO_IST_E10value_typeET4_T5_PSY_SZ_PNS1_23onesweep_lookback_stateEbbT6_jjT7_P12ihipStream_tbENKUlT_T0_SN_SS_E_clISG_SG_SI_SI_EEDaS16_S17_SN_SS_EUlS16_E_NS1_11comp_targetILNS1_3genE10ELNS1_11target_archE1201ELNS1_3gpuE5ELNS1_3repE0EEENS1_47radix_sort_onesweep_sort_config_static_selectorELNS0_4arch9wavefront6targetE0EEEvSN_
; %bb.0:
	.section	.rodata,"a",@progbits
	.p2align	6, 0x0
	.amdhsa_kernel _ZN7rocprim17ROCPRIM_400000_NS6detail17trampoline_kernelINS0_14default_configENS1_35radix_sort_onesweep_config_selectorIjN6thrust23THRUST_200600_302600_NS5tupleIffNS6_9null_typeES8_S8_S8_S8_S8_S8_S8_EEEEZZNS1_29radix_sort_onesweep_iterationIS3_Lb0ENS6_6detail15normal_iteratorINS6_10device_ptrIjEEEESG_NSD_INSE_IS9_EEEESI_jNS0_19identity_decomposerENS1_16block_id_wrapperIjLb1EEEEE10hipError_tT1_PNSt15iterator_traitsISN_E10value_typeET2_T3_PNSO_IST_E10value_typeET4_T5_PSY_SZ_PNS1_23onesweep_lookback_stateEbbT6_jjT7_P12ihipStream_tbENKUlT_T0_SN_SS_E_clISG_SG_SI_SI_EEDaS16_S17_SN_SS_EUlS16_E_NS1_11comp_targetILNS1_3genE10ELNS1_11target_archE1201ELNS1_3gpuE5ELNS1_3repE0EEENS1_47radix_sort_onesweep_sort_config_static_selectorELNS0_4arch9wavefront6targetE0EEEvSN_
		.amdhsa_group_segment_fixed_size 0
		.amdhsa_private_segment_fixed_size 0
		.amdhsa_kernarg_size 88
		.amdhsa_user_sgpr_count 6
		.amdhsa_user_sgpr_private_segment_buffer 1
		.amdhsa_user_sgpr_dispatch_ptr 0
		.amdhsa_user_sgpr_queue_ptr 0
		.amdhsa_user_sgpr_kernarg_segment_ptr 1
		.amdhsa_user_sgpr_dispatch_id 0
		.amdhsa_user_sgpr_flat_scratch_init 0
		.amdhsa_user_sgpr_private_segment_size 0
		.amdhsa_wavefront_size32 1
		.amdhsa_uses_dynamic_stack 0
		.amdhsa_system_sgpr_private_segment_wavefront_offset 0
		.amdhsa_system_sgpr_workgroup_id_x 1
		.amdhsa_system_sgpr_workgroup_id_y 0
		.amdhsa_system_sgpr_workgroup_id_z 0
		.amdhsa_system_sgpr_workgroup_info 0
		.amdhsa_system_vgpr_workitem_id 0
		.amdhsa_next_free_vgpr 1
		.amdhsa_next_free_sgpr 1
		.amdhsa_reserve_vcc 0
		.amdhsa_reserve_flat_scratch 0
		.amdhsa_float_round_mode_32 0
		.amdhsa_float_round_mode_16_64 0
		.amdhsa_float_denorm_mode_32 3
		.amdhsa_float_denorm_mode_16_64 3
		.amdhsa_dx10_clamp 1
		.amdhsa_ieee_mode 1
		.amdhsa_fp16_overflow 0
		.amdhsa_workgroup_processor_mode 1
		.amdhsa_memory_ordered 1
		.amdhsa_forward_progress 1
		.amdhsa_shared_vgpr_count 0
		.amdhsa_exception_fp_ieee_invalid_op 0
		.amdhsa_exception_fp_denorm_src 0
		.amdhsa_exception_fp_ieee_div_zero 0
		.amdhsa_exception_fp_ieee_overflow 0
		.amdhsa_exception_fp_ieee_underflow 0
		.amdhsa_exception_fp_ieee_inexact 0
		.amdhsa_exception_int_div_zero 0
	.end_amdhsa_kernel
	.section	.text._ZN7rocprim17ROCPRIM_400000_NS6detail17trampoline_kernelINS0_14default_configENS1_35radix_sort_onesweep_config_selectorIjN6thrust23THRUST_200600_302600_NS5tupleIffNS6_9null_typeES8_S8_S8_S8_S8_S8_S8_EEEEZZNS1_29radix_sort_onesweep_iterationIS3_Lb0ENS6_6detail15normal_iteratorINS6_10device_ptrIjEEEESG_NSD_INSE_IS9_EEEESI_jNS0_19identity_decomposerENS1_16block_id_wrapperIjLb1EEEEE10hipError_tT1_PNSt15iterator_traitsISN_E10value_typeET2_T3_PNSO_IST_E10value_typeET4_T5_PSY_SZ_PNS1_23onesweep_lookback_stateEbbT6_jjT7_P12ihipStream_tbENKUlT_T0_SN_SS_E_clISG_SG_SI_SI_EEDaS16_S17_SN_SS_EUlS16_E_NS1_11comp_targetILNS1_3genE10ELNS1_11target_archE1201ELNS1_3gpuE5ELNS1_3repE0EEENS1_47radix_sort_onesweep_sort_config_static_selectorELNS0_4arch9wavefront6targetE0EEEvSN_,"axG",@progbits,_ZN7rocprim17ROCPRIM_400000_NS6detail17trampoline_kernelINS0_14default_configENS1_35radix_sort_onesweep_config_selectorIjN6thrust23THRUST_200600_302600_NS5tupleIffNS6_9null_typeES8_S8_S8_S8_S8_S8_S8_EEEEZZNS1_29radix_sort_onesweep_iterationIS3_Lb0ENS6_6detail15normal_iteratorINS6_10device_ptrIjEEEESG_NSD_INSE_IS9_EEEESI_jNS0_19identity_decomposerENS1_16block_id_wrapperIjLb1EEEEE10hipError_tT1_PNSt15iterator_traitsISN_E10value_typeET2_T3_PNSO_IST_E10value_typeET4_T5_PSY_SZ_PNS1_23onesweep_lookback_stateEbbT6_jjT7_P12ihipStream_tbENKUlT_T0_SN_SS_E_clISG_SG_SI_SI_EEDaS16_S17_SN_SS_EUlS16_E_NS1_11comp_targetILNS1_3genE10ELNS1_11target_archE1201ELNS1_3gpuE5ELNS1_3repE0EEENS1_47radix_sort_onesweep_sort_config_static_selectorELNS0_4arch9wavefront6targetE0EEEvSN_,comdat
.Lfunc_end181:
	.size	_ZN7rocprim17ROCPRIM_400000_NS6detail17trampoline_kernelINS0_14default_configENS1_35radix_sort_onesweep_config_selectorIjN6thrust23THRUST_200600_302600_NS5tupleIffNS6_9null_typeES8_S8_S8_S8_S8_S8_S8_EEEEZZNS1_29radix_sort_onesweep_iterationIS3_Lb0ENS6_6detail15normal_iteratorINS6_10device_ptrIjEEEESG_NSD_INSE_IS9_EEEESI_jNS0_19identity_decomposerENS1_16block_id_wrapperIjLb1EEEEE10hipError_tT1_PNSt15iterator_traitsISN_E10value_typeET2_T3_PNSO_IST_E10value_typeET4_T5_PSY_SZ_PNS1_23onesweep_lookback_stateEbbT6_jjT7_P12ihipStream_tbENKUlT_T0_SN_SS_E_clISG_SG_SI_SI_EEDaS16_S17_SN_SS_EUlS16_E_NS1_11comp_targetILNS1_3genE10ELNS1_11target_archE1201ELNS1_3gpuE5ELNS1_3repE0EEENS1_47radix_sort_onesweep_sort_config_static_selectorELNS0_4arch9wavefront6targetE0EEEvSN_, .Lfunc_end181-_ZN7rocprim17ROCPRIM_400000_NS6detail17trampoline_kernelINS0_14default_configENS1_35radix_sort_onesweep_config_selectorIjN6thrust23THRUST_200600_302600_NS5tupleIffNS6_9null_typeES8_S8_S8_S8_S8_S8_S8_EEEEZZNS1_29radix_sort_onesweep_iterationIS3_Lb0ENS6_6detail15normal_iteratorINS6_10device_ptrIjEEEESG_NSD_INSE_IS9_EEEESI_jNS0_19identity_decomposerENS1_16block_id_wrapperIjLb1EEEEE10hipError_tT1_PNSt15iterator_traitsISN_E10value_typeET2_T3_PNSO_IST_E10value_typeET4_T5_PSY_SZ_PNS1_23onesweep_lookback_stateEbbT6_jjT7_P12ihipStream_tbENKUlT_T0_SN_SS_E_clISG_SG_SI_SI_EEDaS16_S17_SN_SS_EUlS16_E_NS1_11comp_targetILNS1_3genE10ELNS1_11target_archE1201ELNS1_3gpuE5ELNS1_3repE0EEENS1_47radix_sort_onesweep_sort_config_static_selectorELNS0_4arch9wavefront6targetE0EEEvSN_
                                        ; -- End function
	.set _ZN7rocprim17ROCPRIM_400000_NS6detail17trampoline_kernelINS0_14default_configENS1_35radix_sort_onesweep_config_selectorIjN6thrust23THRUST_200600_302600_NS5tupleIffNS6_9null_typeES8_S8_S8_S8_S8_S8_S8_EEEEZZNS1_29radix_sort_onesweep_iterationIS3_Lb0ENS6_6detail15normal_iteratorINS6_10device_ptrIjEEEESG_NSD_INSE_IS9_EEEESI_jNS0_19identity_decomposerENS1_16block_id_wrapperIjLb1EEEEE10hipError_tT1_PNSt15iterator_traitsISN_E10value_typeET2_T3_PNSO_IST_E10value_typeET4_T5_PSY_SZ_PNS1_23onesweep_lookback_stateEbbT6_jjT7_P12ihipStream_tbENKUlT_T0_SN_SS_E_clISG_SG_SI_SI_EEDaS16_S17_SN_SS_EUlS16_E_NS1_11comp_targetILNS1_3genE10ELNS1_11target_archE1201ELNS1_3gpuE5ELNS1_3repE0EEENS1_47radix_sort_onesweep_sort_config_static_selectorELNS0_4arch9wavefront6targetE0EEEvSN_.num_vgpr, 0
	.set _ZN7rocprim17ROCPRIM_400000_NS6detail17trampoline_kernelINS0_14default_configENS1_35radix_sort_onesweep_config_selectorIjN6thrust23THRUST_200600_302600_NS5tupleIffNS6_9null_typeES8_S8_S8_S8_S8_S8_S8_EEEEZZNS1_29radix_sort_onesweep_iterationIS3_Lb0ENS6_6detail15normal_iteratorINS6_10device_ptrIjEEEESG_NSD_INSE_IS9_EEEESI_jNS0_19identity_decomposerENS1_16block_id_wrapperIjLb1EEEEE10hipError_tT1_PNSt15iterator_traitsISN_E10value_typeET2_T3_PNSO_IST_E10value_typeET4_T5_PSY_SZ_PNS1_23onesweep_lookback_stateEbbT6_jjT7_P12ihipStream_tbENKUlT_T0_SN_SS_E_clISG_SG_SI_SI_EEDaS16_S17_SN_SS_EUlS16_E_NS1_11comp_targetILNS1_3genE10ELNS1_11target_archE1201ELNS1_3gpuE5ELNS1_3repE0EEENS1_47radix_sort_onesweep_sort_config_static_selectorELNS0_4arch9wavefront6targetE0EEEvSN_.num_agpr, 0
	.set _ZN7rocprim17ROCPRIM_400000_NS6detail17trampoline_kernelINS0_14default_configENS1_35radix_sort_onesweep_config_selectorIjN6thrust23THRUST_200600_302600_NS5tupleIffNS6_9null_typeES8_S8_S8_S8_S8_S8_S8_EEEEZZNS1_29radix_sort_onesweep_iterationIS3_Lb0ENS6_6detail15normal_iteratorINS6_10device_ptrIjEEEESG_NSD_INSE_IS9_EEEESI_jNS0_19identity_decomposerENS1_16block_id_wrapperIjLb1EEEEE10hipError_tT1_PNSt15iterator_traitsISN_E10value_typeET2_T3_PNSO_IST_E10value_typeET4_T5_PSY_SZ_PNS1_23onesweep_lookback_stateEbbT6_jjT7_P12ihipStream_tbENKUlT_T0_SN_SS_E_clISG_SG_SI_SI_EEDaS16_S17_SN_SS_EUlS16_E_NS1_11comp_targetILNS1_3genE10ELNS1_11target_archE1201ELNS1_3gpuE5ELNS1_3repE0EEENS1_47radix_sort_onesweep_sort_config_static_selectorELNS0_4arch9wavefront6targetE0EEEvSN_.numbered_sgpr, 0
	.set _ZN7rocprim17ROCPRIM_400000_NS6detail17trampoline_kernelINS0_14default_configENS1_35radix_sort_onesweep_config_selectorIjN6thrust23THRUST_200600_302600_NS5tupleIffNS6_9null_typeES8_S8_S8_S8_S8_S8_S8_EEEEZZNS1_29radix_sort_onesweep_iterationIS3_Lb0ENS6_6detail15normal_iteratorINS6_10device_ptrIjEEEESG_NSD_INSE_IS9_EEEESI_jNS0_19identity_decomposerENS1_16block_id_wrapperIjLb1EEEEE10hipError_tT1_PNSt15iterator_traitsISN_E10value_typeET2_T3_PNSO_IST_E10value_typeET4_T5_PSY_SZ_PNS1_23onesweep_lookback_stateEbbT6_jjT7_P12ihipStream_tbENKUlT_T0_SN_SS_E_clISG_SG_SI_SI_EEDaS16_S17_SN_SS_EUlS16_E_NS1_11comp_targetILNS1_3genE10ELNS1_11target_archE1201ELNS1_3gpuE5ELNS1_3repE0EEENS1_47radix_sort_onesweep_sort_config_static_selectorELNS0_4arch9wavefront6targetE0EEEvSN_.num_named_barrier, 0
	.set _ZN7rocprim17ROCPRIM_400000_NS6detail17trampoline_kernelINS0_14default_configENS1_35radix_sort_onesweep_config_selectorIjN6thrust23THRUST_200600_302600_NS5tupleIffNS6_9null_typeES8_S8_S8_S8_S8_S8_S8_EEEEZZNS1_29radix_sort_onesweep_iterationIS3_Lb0ENS6_6detail15normal_iteratorINS6_10device_ptrIjEEEESG_NSD_INSE_IS9_EEEESI_jNS0_19identity_decomposerENS1_16block_id_wrapperIjLb1EEEEE10hipError_tT1_PNSt15iterator_traitsISN_E10value_typeET2_T3_PNSO_IST_E10value_typeET4_T5_PSY_SZ_PNS1_23onesweep_lookback_stateEbbT6_jjT7_P12ihipStream_tbENKUlT_T0_SN_SS_E_clISG_SG_SI_SI_EEDaS16_S17_SN_SS_EUlS16_E_NS1_11comp_targetILNS1_3genE10ELNS1_11target_archE1201ELNS1_3gpuE5ELNS1_3repE0EEENS1_47radix_sort_onesweep_sort_config_static_selectorELNS0_4arch9wavefront6targetE0EEEvSN_.private_seg_size, 0
	.set _ZN7rocprim17ROCPRIM_400000_NS6detail17trampoline_kernelINS0_14default_configENS1_35radix_sort_onesweep_config_selectorIjN6thrust23THRUST_200600_302600_NS5tupleIffNS6_9null_typeES8_S8_S8_S8_S8_S8_S8_EEEEZZNS1_29radix_sort_onesweep_iterationIS3_Lb0ENS6_6detail15normal_iteratorINS6_10device_ptrIjEEEESG_NSD_INSE_IS9_EEEESI_jNS0_19identity_decomposerENS1_16block_id_wrapperIjLb1EEEEE10hipError_tT1_PNSt15iterator_traitsISN_E10value_typeET2_T3_PNSO_IST_E10value_typeET4_T5_PSY_SZ_PNS1_23onesweep_lookback_stateEbbT6_jjT7_P12ihipStream_tbENKUlT_T0_SN_SS_E_clISG_SG_SI_SI_EEDaS16_S17_SN_SS_EUlS16_E_NS1_11comp_targetILNS1_3genE10ELNS1_11target_archE1201ELNS1_3gpuE5ELNS1_3repE0EEENS1_47radix_sort_onesweep_sort_config_static_selectorELNS0_4arch9wavefront6targetE0EEEvSN_.uses_vcc, 0
	.set _ZN7rocprim17ROCPRIM_400000_NS6detail17trampoline_kernelINS0_14default_configENS1_35radix_sort_onesweep_config_selectorIjN6thrust23THRUST_200600_302600_NS5tupleIffNS6_9null_typeES8_S8_S8_S8_S8_S8_S8_EEEEZZNS1_29radix_sort_onesweep_iterationIS3_Lb0ENS6_6detail15normal_iteratorINS6_10device_ptrIjEEEESG_NSD_INSE_IS9_EEEESI_jNS0_19identity_decomposerENS1_16block_id_wrapperIjLb1EEEEE10hipError_tT1_PNSt15iterator_traitsISN_E10value_typeET2_T3_PNSO_IST_E10value_typeET4_T5_PSY_SZ_PNS1_23onesweep_lookback_stateEbbT6_jjT7_P12ihipStream_tbENKUlT_T0_SN_SS_E_clISG_SG_SI_SI_EEDaS16_S17_SN_SS_EUlS16_E_NS1_11comp_targetILNS1_3genE10ELNS1_11target_archE1201ELNS1_3gpuE5ELNS1_3repE0EEENS1_47radix_sort_onesweep_sort_config_static_selectorELNS0_4arch9wavefront6targetE0EEEvSN_.uses_flat_scratch, 0
	.set _ZN7rocprim17ROCPRIM_400000_NS6detail17trampoline_kernelINS0_14default_configENS1_35radix_sort_onesweep_config_selectorIjN6thrust23THRUST_200600_302600_NS5tupleIffNS6_9null_typeES8_S8_S8_S8_S8_S8_S8_EEEEZZNS1_29radix_sort_onesweep_iterationIS3_Lb0ENS6_6detail15normal_iteratorINS6_10device_ptrIjEEEESG_NSD_INSE_IS9_EEEESI_jNS0_19identity_decomposerENS1_16block_id_wrapperIjLb1EEEEE10hipError_tT1_PNSt15iterator_traitsISN_E10value_typeET2_T3_PNSO_IST_E10value_typeET4_T5_PSY_SZ_PNS1_23onesweep_lookback_stateEbbT6_jjT7_P12ihipStream_tbENKUlT_T0_SN_SS_E_clISG_SG_SI_SI_EEDaS16_S17_SN_SS_EUlS16_E_NS1_11comp_targetILNS1_3genE10ELNS1_11target_archE1201ELNS1_3gpuE5ELNS1_3repE0EEENS1_47radix_sort_onesweep_sort_config_static_selectorELNS0_4arch9wavefront6targetE0EEEvSN_.has_dyn_sized_stack, 0
	.set _ZN7rocprim17ROCPRIM_400000_NS6detail17trampoline_kernelINS0_14default_configENS1_35radix_sort_onesweep_config_selectorIjN6thrust23THRUST_200600_302600_NS5tupleIffNS6_9null_typeES8_S8_S8_S8_S8_S8_S8_EEEEZZNS1_29radix_sort_onesweep_iterationIS3_Lb0ENS6_6detail15normal_iteratorINS6_10device_ptrIjEEEESG_NSD_INSE_IS9_EEEESI_jNS0_19identity_decomposerENS1_16block_id_wrapperIjLb1EEEEE10hipError_tT1_PNSt15iterator_traitsISN_E10value_typeET2_T3_PNSO_IST_E10value_typeET4_T5_PSY_SZ_PNS1_23onesweep_lookback_stateEbbT6_jjT7_P12ihipStream_tbENKUlT_T0_SN_SS_E_clISG_SG_SI_SI_EEDaS16_S17_SN_SS_EUlS16_E_NS1_11comp_targetILNS1_3genE10ELNS1_11target_archE1201ELNS1_3gpuE5ELNS1_3repE0EEENS1_47radix_sort_onesweep_sort_config_static_selectorELNS0_4arch9wavefront6targetE0EEEvSN_.has_recursion, 0
	.set _ZN7rocprim17ROCPRIM_400000_NS6detail17trampoline_kernelINS0_14default_configENS1_35radix_sort_onesweep_config_selectorIjN6thrust23THRUST_200600_302600_NS5tupleIffNS6_9null_typeES8_S8_S8_S8_S8_S8_S8_EEEEZZNS1_29radix_sort_onesweep_iterationIS3_Lb0ENS6_6detail15normal_iteratorINS6_10device_ptrIjEEEESG_NSD_INSE_IS9_EEEESI_jNS0_19identity_decomposerENS1_16block_id_wrapperIjLb1EEEEE10hipError_tT1_PNSt15iterator_traitsISN_E10value_typeET2_T3_PNSO_IST_E10value_typeET4_T5_PSY_SZ_PNS1_23onesweep_lookback_stateEbbT6_jjT7_P12ihipStream_tbENKUlT_T0_SN_SS_E_clISG_SG_SI_SI_EEDaS16_S17_SN_SS_EUlS16_E_NS1_11comp_targetILNS1_3genE10ELNS1_11target_archE1201ELNS1_3gpuE5ELNS1_3repE0EEENS1_47radix_sort_onesweep_sort_config_static_selectorELNS0_4arch9wavefront6targetE0EEEvSN_.has_indirect_call, 0
	.section	.AMDGPU.csdata,"",@progbits
; Kernel info:
; codeLenInByte = 0
; TotalNumSgprs: 0
; NumVgprs: 0
; ScratchSize: 0
; MemoryBound: 0
; FloatMode: 240
; IeeeMode: 1
; LDSByteSize: 0 bytes/workgroup (compile time only)
; SGPRBlocks: 0
; VGPRBlocks: 0
; NumSGPRsForWavesPerEU: 1
; NumVGPRsForWavesPerEU: 1
; Occupancy: 16
; WaveLimiterHint : 0
; COMPUTE_PGM_RSRC2:SCRATCH_EN: 0
; COMPUTE_PGM_RSRC2:USER_SGPR: 6
; COMPUTE_PGM_RSRC2:TRAP_HANDLER: 0
; COMPUTE_PGM_RSRC2:TGID_X_EN: 1
; COMPUTE_PGM_RSRC2:TGID_Y_EN: 0
; COMPUTE_PGM_RSRC2:TGID_Z_EN: 0
; COMPUTE_PGM_RSRC2:TIDIG_COMP_CNT: 0
	.section	.text._ZN7rocprim17ROCPRIM_400000_NS6detail17trampoline_kernelINS0_14default_configENS1_35radix_sort_onesweep_config_selectorIjN6thrust23THRUST_200600_302600_NS5tupleIffNS6_9null_typeES8_S8_S8_S8_S8_S8_S8_EEEEZZNS1_29radix_sort_onesweep_iterationIS3_Lb0ENS6_6detail15normal_iteratorINS6_10device_ptrIjEEEESG_NSD_INSE_IS9_EEEESI_jNS0_19identity_decomposerENS1_16block_id_wrapperIjLb1EEEEE10hipError_tT1_PNSt15iterator_traitsISN_E10value_typeET2_T3_PNSO_IST_E10value_typeET4_T5_PSY_SZ_PNS1_23onesweep_lookback_stateEbbT6_jjT7_P12ihipStream_tbENKUlT_T0_SN_SS_E_clISG_SG_SI_SI_EEDaS16_S17_SN_SS_EUlS16_E_NS1_11comp_targetILNS1_3genE9ELNS1_11target_archE1100ELNS1_3gpuE3ELNS1_3repE0EEENS1_47radix_sort_onesweep_sort_config_static_selectorELNS0_4arch9wavefront6targetE0EEEvSN_,"axG",@progbits,_ZN7rocprim17ROCPRIM_400000_NS6detail17trampoline_kernelINS0_14default_configENS1_35radix_sort_onesweep_config_selectorIjN6thrust23THRUST_200600_302600_NS5tupleIffNS6_9null_typeES8_S8_S8_S8_S8_S8_S8_EEEEZZNS1_29radix_sort_onesweep_iterationIS3_Lb0ENS6_6detail15normal_iteratorINS6_10device_ptrIjEEEESG_NSD_INSE_IS9_EEEESI_jNS0_19identity_decomposerENS1_16block_id_wrapperIjLb1EEEEE10hipError_tT1_PNSt15iterator_traitsISN_E10value_typeET2_T3_PNSO_IST_E10value_typeET4_T5_PSY_SZ_PNS1_23onesweep_lookback_stateEbbT6_jjT7_P12ihipStream_tbENKUlT_T0_SN_SS_E_clISG_SG_SI_SI_EEDaS16_S17_SN_SS_EUlS16_E_NS1_11comp_targetILNS1_3genE9ELNS1_11target_archE1100ELNS1_3gpuE3ELNS1_3repE0EEENS1_47radix_sort_onesweep_sort_config_static_selectorELNS0_4arch9wavefront6targetE0EEEvSN_,comdat
	.protected	_ZN7rocprim17ROCPRIM_400000_NS6detail17trampoline_kernelINS0_14default_configENS1_35radix_sort_onesweep_config_selectorIjN6thrust23THRUST_200600_302600_NS5tupleIffNS6_9null_typeES8_S8_S8_S8_S8_S8_S8_EEEEZZNS1_29radix_sort_onesweep_iterationIS3_Lb0ENS6_6detail15normal_iteratorINS6_10device_ptrIjEEEESG_NSD_INSE_IS9_EEEESI_jNS0_19identity_decomposerENS1_16block_id_wrapperIjLb1EEEEE10hipError_tT1_PNSt15iterator_traitsISN_E10value_typeET2_T3_PNSO_IST_E10value_typeET4_T5_PSY_SZ_PNS1_23onesweep_lookback_stateEbbT6_jjT7_P12ihipStream_tbENKUlT_T0_SN_SS_E_clISG_SG_SI_SI_EEDaS16_S17_SN_SS_EUlS16_E_NS1_11comp_targetILNS1_3genE9ELNS1_11target_archE1100ELNS1_3gpuE3ELNS1_3repE0EEENS1_47radix_sort_onesweep_sort_config_static_selectorELNS0_4arch9wavefront6targetE0EEEvSN_ ; -- Begin function _ZN7rocprim17ROCPRIM_400000_NS6detail17trampoline_kernelINS0_14default_configENS1_35radix_sort_onesweep_config_selectorIjN6thrust23THRUST_200600_302600_NS5tupleIffNS6_9null_typeES8_S8_S8_S8_S8_S8_S8_EEEEZZNS1_29radix_sort_onesweep_iterationIS3_Lb0ENS6_6detail15normal_iteratorINS6_10device_ptrIjEEEESG_NSD_INSE_IS9_EEEESI_jNS0_19identity_decomposerENS1_16block_id_wrapperIjLb1EEEEE10hipError_tT1_PNSt15iterator_traitsISN_E10value_typeET2_T3_PNSO_IST_E10value_typeET4_T5_PSY_SZ_PNS1_23onesweep_lookback_stateEbbT6_jjT7_P12ihipStream_tbENKUlT_T0_SN_SS_E_clISG_SG_SI_SI_EEDaS16_S17_SN_SS_EUlS16_E_NS1_11comp_targetILNS1_3genE9ELNS1_11target_archE1100ELNS1_3gpuE3ELNS1_3repE0EEENS1_47radix_sort_onesweep_sort_config_static_selectorELNS0_4arch9wavefront6targetE0EEEvSN_
	.globl	_ZN7rocprim17ROCPRIM_400000_NS6detail17trampoline_kernelINS0_14default_configENS1_35radix_sort_onesweep_config_selectorIjN6thrust23THRUST_200600_302600_NS5tupleIffNS6_9null_typeES8_S8_S8_S8_S8_S8_S8_EEEEZZNS1_29radix_sort_onesweep_iterationIS3_Lb0ENS6_6detail15normal_iteratorINS6_10device_ptrIjEEEESG_NSD_INSE_IS9_EEEESI_jNS0_19identity_decomposerENS1_16block_id_wrapperIjLb1EEEEE10hipError_tT1_PNSt15iterator_traitsISN_E10value_typeET2_T3_PNSO_IST_E10value_typeET4_T5_PSY_SZ_PNS1_23onesweep_lookback_stateEbbT6_jjT7_P12ihipStream_tbENKUlT_T0_SN_SS_E_clISG_SG_SI_SI_EEDaS16_S17_SN_SS_EUlS16_E_NS1_11comp_targetILNS1_3genE9ELNS1_11target_archE1100ELNS1_3gpuE3ELNS1_3repE0EEENS1_47radix_sort_onesweep_sort_config_static_selectorELNS0_4arch9wavefront6targetE0EEEvSN_
	.p2align	8
	.type	_ZN7rocprim17ROCPRIM_400000_NS6detail17trampoline_kernelINS0_14default_configENS1_35radix_sort_onesweep_config_selectorIjN6thrust23THRUST_200600_302600_NS5tupleIffNS6_9null_typeES8_S8_S8_S8_S8_S8_S8_EEEEZZNS1_29radix_sort_onesweep_iterationIS3_Lb0ENS6_6detail15normal_iteratorINS6_10device_ptrIjEEEESG_NSD_INSE_IS9_EEEESI_jNS0_19identity_decomposerENS1_16block_id_wrapperIjLb1EEEEE10hipError_tT1_PNSt15iterator_traitsISN_E10value_typeET2_T3_PNSO_IST_E10value_typeET4_T5_PSY_SZ_PNS1_23onesweep_lookback_stateEbbT6_jjT7_P12ihipStream_tbENKUlT_T0_SN_SS_E_clISG_SG_SI_SI_EEDaS16_S17_SN_SS_EUlS16_E_NS1_11comp_targetILNS1_3genE9ELNS1_11target_archE1100ELNS1_3gpuE3ELNS1_3repE0EEENS1_47radix_sort_onesweep_sort_config_static_selectorELNS0_4arch9wavefront6targetE0EEEvSN_,@function
_ZN7rocprim17ROCPRIM_400000_NS6detail17trampoline_kernelINS0_14default_configENS1_35radix_sort_onesweep_config_selectorIjN6thrust23THRUST_200600_302600_NS5tupleIffNS6_9null_typeES8_S8_S8_S8_S8_S8_S8_EEEEZZNS1_29radix_sort_onesweep_iterationIS3_Lb0ENS6_6detail15normal_iteratorINS6_10device_ptrIjEEEESG_NSD_INSE_IS9_EEEESI_jNS0_19identity_decomposerENS1_16block_id_wrapperIjLb1EEEEE10hipError_tT1_PNSt15iterator_traitsISN_E10value_typeET2_T3_PNSO_IST_E10value_typeET4_T5_PSY_SZ_PNS1_23onesweep_lookback_stateEbbT6_jjT7_P12ihipStream_tbENKUlT_T0_SN_SS_E_clISG_SG_SI_SI_EEDaS16_S17_SN_SS_EUlS16_E_NS1_11comp_targetILNS1_3genE9ELNS1_11target_archE1100ELNS1_3gpuE3ELNS1_3repE0EEENS1_47radix_sort_onesweep_sort_config_static_selectorELNS0_4arch9wavefront6targetE0EEEvSN_: ; @_ZN7rocprim17ROCPRIM_400000_NS6detail17trampoline_kernelINS0_14default_configENS1_35radix_sort_onesweep_config_selectorIjN6thrust23THRUST_200600_302600_NS5tupleIffNS6_9null_typeES8_S8_S8_S8_S8_S8_S8_EEEEZZNS1_29radix_sort_onesweep_iterationIS3_Lb0ENS6_6detail15normal_iteratorINS6_10device_ptrIjEEEESG_NSD_INSE_IS9_EEEESI_jNS0_19identity_decomposerENS1_16block_id_wrapperIjLb1EEEEE10hipError_tT1_PNSt15iterator_traitsISN_E10value_typeET2_T3_PNSO_IST_E10value_typeET4_T5_PSY_SZ_PNS1_23onesweep_lookback_stateEbbT6_jjT7_P12ihipStream_tbENKUlT_T0_SN_SS_E_clISG_SG_SI_SI_EEDaS16_S17_SN_SS_EUlS16_E_NS1_11comp_targetILNS1_3genE9ELNS1_11target_archE1100ELNS1_3gpuE3ELNS1_3repE0EEENS1_47radix_sort_onesweep_sort_config_static_selectorELNS0_4arch9wavefront6targetE0EEEvSN_
; %bb.0:
	.section	.rodata,"a",@progbits
	.p2align	6, 0x0
	.amdhsa_kernel _ZN7rocprim17ROCPRIM_400000_NS6detail17trampoline_kernelINS0_14default_configENS1_35radix_sort_onesweep_config_selectorIjN6thrust23THRUST_200600_302600_NS5tupleIffNS6_9null_typeES8_S8_S8_S8_S8_S8_S8_EEEEZZNS1_29radix_sort_onesweep_iterationIS3_Lb0ENS6_6detail15normal_iteratorINS6_10device_ptrIjEEEESG_NSD_INSE_IS9_EEEESI_jNS0_19identity_decomposerENS1_16block_id_wrapperIjLb1EEEEE10hipError_tT1_PNSt15iterator_traitsISN_E10value_typeET2_T3_PNSO_IST_E10value_typeET4_T5_PSY_SZ_PNS1_23onesweep_lookback_stateEbbT6_jjT7_P12ihipStream_tbENKUlT_T0_SN_SS_E_clISG_SG_SI_SI_EEDaS16_S17_SN_SS_EUlS16_E_NS1_11comp_targetILNS1_3genE9ELNS1_11target_archE1100ELNS1_3gpuE3ELNS1_3repE0EEENS1_47radix_sort_onesweep_sort_config_static_selectorELNS0_4arch9wavefront6targetE0EEEvSN_
		.amdhsa_group_segment_fixed_size 0
		.amdhsa_private_segment_fixed_size 0
		.amdhsa_kernarg_size 88
		.amdhsa_user_sgpr_count 6
		.amdhsa_user_sgpr_private_segment_buffer 1
		.amdhsa_user_sgpr_dispatch_ptr 0
		.amdhsa_user_sgpr_queue_ptr 0
		.amdhsa_user_sgpr_kernarg_segment_ptr 1
		.amdhsa_user_sgpr_dispatch_id 0
		.amdhsa_user_sgpr_flat_scratch_init 0
		.amdhsa_user_sgpr_private_segment_size 0
		.amdhsa_wavefront_size32 1
		.amdhsa_uses_dynamic_stack 0
		.amdhsa_system_sgpr_private_segment_wavefront_offset 0
		.amdhsa_system_sgpr_workgroup_id_x 1
		.amdhsa_system_sgpr_workgroup_id_y 0
		.amdhsa_system_sgpr_workgroup_id_z 0
		.amdhsa_system_sgpr_workgroup_info 0
		.amdhsa_system_vgpr_workitem_id 0
		.amdhsa_next_free_vgpr 1
		.amdhsa_next_free_sgpr 1
		.amdhsa_reserve_vcc 0
		.amdhsa_reserve_flat_scratch 0
		.amdhsa_float_round_mode_32 0
		.amdhsa_float_round_mode_16_64 0
		.amdhsa_float_denorm_mode_32 3
		.amdhsa_float_denorm_mode_16_64 3
		.amdhsa_dx10_clamp 1
		.amdhsa_ieee_mode 1
		.amdhsa_fp16_overflow 0
		.amdhsa_workgroup_processor_mode 1
		.amdhsa_memory_ordered 1
		.amdhsa_forward_progress 1
		.amdhsa_shared_vgpr_count 0
		.amdhsa_exception_fp_ieee_invalid_op 0
		.amdhsa_exception_fp_denorm_src 0
		.amdhsa_exception_fp_ieee_div_zero 0
		.amdhsa_exception_fp_ieee_overflow 0
		.amdhsa_exception_fp_ieee_underflow 0
		.amdhsa_exception_fp_ieee_inexact 0
		.amdhsa_exception_int_div_zero 0
	.end_amdhsa_kernel
	.section	.text._ZN7rocprim17ROCPRIM_400000_NS6detail17trampoline_kernelINS0_14default_configENS1_35radix_sort_onesweep_config_selectorIjN6thrust23THRUST_200600_302600_NS5tupleIffNS6_9null_typeES8_S8_S8_S8_S8_S8_S8_EEEEZZNS1_29radix_sort_onesweep_iterationIS3_Lb0ENS6_6detail15normal_iteratorINS6_10device_ptrIjEEEESG_NSD_INSE_IS9_EEEESI_jNS0_19identity_decomposerENS1_16block_id_wrapperIjLb1EEEEE10hipError_tT1_PNSt15iterator_traitsISN_E10value_typeET2_T3_PNSO_IST_E10value_typeET4_T5_PSY_SZ_PNS1_23onesweep_lookback_stateEbbT6_jjT7_P12ihipStream_tbENKUlT_T0_SN_SS_E_clISG_SG_SI_SI_EEDaS16_S17_SN_SS_EUlS16_E_NS1_11comp_targetILNS1_3genE9ELNS1_11target_archE1100ELNS1_3gpuE3ELNS1_3repE0EEENS1_47radix_sort_onesweep_sort_config_static_selectorELNS0_4arch9wavefront6targetE0EEEvSN_,"axG",@progbits,_ZN7rocprim17ROCPRIM_400000_NS6detail17trampoline_kernelINS0_14default_configENS1_35radix_sort_onesweep_config_selectorIjN6thrust23THRUST_200600_302600_NS5tupleIffNS6_9null_typeES8_S8_S8_S8_S8_S8_S8_EEEEZZNS1_29radix_sort_onesweep_iterationIS3_Lb0ENS6_6detail15normal_iteratorINS6_10device_ptrIjEEEESG_NSD_INSE_IS9_EEEESI_jNS0_19identity_decomposerENS1_16block_id_wrapperIjLb1EEEEE10hipError_tT1_PNSt15iterator_traitsISN_E10value_typeET2_T3_PNSO_IST_E10value_typeET4_T5_PSY_SZ_PNS1_23onesweep_lookback_stateEbbT6_jjT7_P12ihipStream_tbENKUlT_T0_SN_SS_E_clISG_SG_SI_SI_EEDaS16_S17_SN_SS_EUlS16_E_NS1_11comp_targetILNS1_3genE9ELNS1_11target_archE1100ELNS1_3gpuE3ELNS1_3repE0EEENS1_47radix_sort_onesweep_sort_config_static_selectorELNS0_4arch9wavefront6targetE0EEEvSN_,comdat
.Lfunc_end182:
	.size	_ZN7rocprim17ROCPRIM_400000_NS6detail17trampoline_kernelINS0_14default_configENS1_35radix_sort_onesweep_config_selectorIjN6thrust23THRUST_200600_302600_NS5tupleIffNS6_9null_typeES8_S8_S8_S8_S8_S8_S8_EEEEZZNS1_29radix_sort_onesweep_iterationIS3_Lb0ENS6_6detail15normal_iteratorINS6_10device_ptrIjEEEESG_NSD_INSE_IS9_EEEESI_jNS0_19identity_decomposerENS1_16block_id_wrapperIjLb1EEEEE10hipError_tT1_PNSt15iterator_traitsISN_E10value_typeET2_T3_PNSO_IST_E10value_typeET4_T5_PSY_SZ_PNS1_23onesweep_lookback_stateEbbT6_jjT7_P12ihipStream_tbENKUlT_T0_SN_SS_E_clISG_SG_SI_SI_EEDaS16_S17_SN_SS_EUlS16_E_NS1_11comp_targetILNS1_3genE9ELNS1_11target_archE1100ELNS1_3gpuE3ELNS1_3repE0EEENS1_47radix_sort_onesweep_sort_config_static_selectorELNS0_4arch9wavefront6targetE0EEEvSN_, .Lfunc_end182-_ZN7rocprim17ROCPRIM_400000_NS6detail17trampoline_kernelINS0_14default_configENS1_35radix_sort_onesweep_config_selectorIjN6thrust23THRUST_200600_302600_NS5tupleIffNS6_9null_typeES8_S8_S8_S8_S8_S8_S8_EEEEZZNS1_29radix_sort_onesweep_iterationIS3_Lb0ENS6_6detail15normal_iteratorINS6_10device_ptrIjEEEESG_NSD_INSE_IS9_EEEESI_jNS0_19identity_decomposerENS1_16block_id_wrapperIjLb1EEEEE10hipError_tT1_PNSt15iterator_traitsISN_E10value_typeET2_T3_PNSO_IST_E10value_typeET4_T5_PSY_SZ_PNS1_23onesweep_lookback_stateEbbT6_jjT7_P12ihipStream_tbENKUlT_T0_SN_SS_E_clISG_SG_SI_SI_EEDaS16_S17_SN_SS_EUlS16_E_NS1_11comp_targetILNS1_3genE9ELNS1_11target_archE1100ELNS1_3gpuE3ELNS1_3repE0EEENS1_47radix_sort_onesweep_sort_config_static_selectorELNS0_4arch9wavefront6targetE0EEEvSN_
                                        ; -- End function
	.set _ZN7rocprim17ROCPRIM_400000_NS6detail17trampoline_kernelINS0_14default_configENS1_35radix_sort_onesweep_config_selectorIjN6thrust23THRUST_200600_302600_NS5tupleIffNS6_9null_typeES8_S8_S8_S8_S8_S8_S8_EEEEZZNS1_29radix_sort_onesweep_iterationIS3_Lb0ENS6_6detail15normal_iteratorINS6_10device_ptrIjEEEESG_NSD_INSE_IS9_EEEESI_jNS0_19identity_decomposerENS1_16block_id_wrapperIjLb1EEEEE10hipError_tT1_PNSt15iterator_traitsISN_E10value_typeET2_T3_PNSO_IST_E10value_typeET4_T5_PSY_SZ_PNS1_23onesweep_lookback_stateEbbT6_jjT7_P12ihipStream_tbENKUlT_T0_SN_SS_E_clISG_SG_SI_SI_EEDaS16_S17_SN_SS_EUlS16_E_NS1_11comp_targetILNS1_3genE9ELNS1_11target_archE1100ELNS1_3gpuE3ELNS1_3repE0EEENS1_47radix_sort_onesweep_sort_config_static_selectorELNS0_4arch9wavefront6targetE0EEEvSN_.num_vgpr, 0
	.set _ZN7rocprim17ROCPRIM_400000_NS6detail17trampoline_kernelINS0_14default_configENS1_35radix_sort_onesweep_config_selectorIjN6thrust23THRUST_200600_302600_NS5tupleIffNS6_9null_typeES8_S8_S8_S8_S8_S8_S8_EEEEZZNS1_29radix_sort_onesweep_iterationIS3_Lb0ENS6_6detail15normal_iteratorINS6_10device_ptrIjEEEESG_NSD_INSE_IS9_EEEESI_jNS0_19identity_decomposerENS1_16block_id_wrapperIjLb1EEEEE10hipError_tT1_PNSt15iterator_traitsISN_E10value_typeET2_T3_PNSO_IST_E10value_typeET4_T5_PSY_SZ_PNS1_23onesweep_lookback_stateEbbT6_jjT7_P12ihipStream_tbENKUlT_T0_SN_SS_E_clISG_SG_SI_SI_EEDaS16_S17_SN_SS_EUlS16_E_NS1_11comp_targetILNS1_3genE9ELNS1_11target_archE1100ELNS1_3gpuE3ELNS1_3repE0EEENS1_47radix_sort_onesweep_sort_config_static_selectorELNS0_4arch9wavefront6targetE0EEEvSN_.num_agpr, 0
	.set _ZN7rocprim17ROCPRIM_400000_NS6detail17trampoline_kernelINS0_14default_configENS1_35radix_sort_onesweep_config_selectorIjN6thrust23THRUST_200600_302600_NS5tupleIffNS6_9null_typeES8_S8_S8_S8_S8_S8_S8_EEEEZZNS1_29radix_sort_onesweep_iterationIS3_Lb0ENS6_6detail15normal_iteratorINS6_10device_ptrIjEEEESG_NSD_INSE_IS9_EEEESI_jNS0_19identity_decomposerENS1_16block_id_wrapperIjLb1EEEEE10hipError_tT1_PNSt15iterator_traitsISN_E10value_typeET2_T3_PNSO_IST_E10value_typeET4_T5_PSY_SZ_PNS1_23onesweep_lookback_stateEbbT6_jjT7_P12ihipStream_tbENKUlT_T0_SN_SS_E_clISG_SG_SI_SI_EEDaS16_S17_SN_SS_EUlS16_E_NS1_11comp_targetILNS1_3genE9ELNS1_11target_archE1100ELNS1_3gpuE3ELNS1_3repE0EEENS1_47radix_sort_onesweep_sort_config_static_selectorELNS0_4arch9wavefront6targetE0EEEvSN_.numbered_sgpr, 0
	.set _ZN7rocprim17ROCPRIM_400000_NS6detail17trampoline_kernelINS0_14default_configENS1_35radix_sort_onesweep_config_selectorIjN6thrust23THRUST_200600_302600_NS5tupleIffNS6_9null_typeES8_S8_S8_S8_S8_S8_S8_EEEEZZNS1_29radix_sort_onesweep_iterationIS3_Lb0ENS6_6detail15normal_iteratorINS6_10device_ptrIjEEEESG_NSD_INSE_IS9_EEEESI_jNS0_19identity_decomposerENS1_16block_id_wrapperIjLb1EEEEE10hipError_tT1_PNSt15iterator_traitsISN_E10value_typeET2_T3_PNSO_IST_E10value_typeET4_T5_PSY_SZ_PNS1_23onesweep_lookback_stateEbbT6_jjT7_P12ihipStream_tbENKUlT_T0_SN_SS_E_clISG_SG_SI_SI_EEDaS16_S17_SN_SS_EUlS16_E_NS1_11comp_targetILNS1_3genE9ELNS1_11target_archE1100ELNS1_3gpuE3ELNS1_3repE0EEENS1_47radix_sort_onesweep_sort_config_static_selectorELNS0_4arch9wavefront6targetE0EEEvSN_.num_named_barrier, 0
	.set _ZN7rocprim17ROCPRIM_400000_NS6detail17trampoline_kernelINS0_14default_configENS1_35radix_sort_onesweep_config_selectorIjN6thrust23THRUST_200600_302600_NS5tupleIffNS6_9null_typeES8_S8_S8_S8_S8_S8_S8_EEEEZZNS1_29radix_sort_onesweep_iterationIS3_Lb0ENS6_6detail15normal_iteratorINS6_10device_ptrIjEEEESG_NSD_INSE_IS9_EEEESI_jNS0_19identity_decomposerENS1_16block_id_wrapperIjLb1EEEEE10hipError_tT1_PNSt15iterator_traitsISN_E10value_typeET2_T3_PNSO_IST_E10value_typeET4_T5_PSY_SZ_PNS1_23onesweep_lookback_stateEbbT6_jjT7_P12ihipStream_tbENKUlT_T0_SN_SS_E_clISG_SG_SI_SI_EEDaS16_S17_SN_SS_EUlS16_E_NS1_11comp_targetILNS1_3genE9ELNS1_11target_archE1100ELNS1_3gpuE3ELNS1_3repE0EEENS1_47radix_sort_onesweep_sort_config_static_selectorELNS0_4arch9wavefront6targetE0EEEvSN_.private_seg_size, 0
	.set _ZN7rocprim17ROCPRIM_400000_NS6detail17trampoline_kernelINS0_14default_configENS1_35radix_sort_onesweep_config_selectorIjN6thrust23THRUST_200600_302600_NS5tupleIffNS6_9null_typeES8_S8_S8_S8_S8_S8_S8_EEEEZZNS1_29radix_sort_onesweep_iterationIS3_Lb0ENS6_6detail15normal_iteratorINS6_10device_ptrIjEEEESG_NSD_INSE_IS9_EEEESI_jNS0_19identity_decomposerENS1_16block_id_wrapperIjLb1EEEEE10hipError_tT1_PNSt15iterator_traitsISN_E10value_typeET2_T3_PNSO_IST_E10value_typeET4_T5_PSY_SZ_PNS1_23onesweep_lookback_stateEbbT6_jjT7_P12ihipStream_tbENKUlT_T0_SN_SS_E_clISG_SG_SI_SI_EEDaS16_S17_SN_SS_EUlS16_E_NS1_11comp_targetILNS1_3genE9ELNS1_11target_archE1100ELNS1_3gpuE3ELNS1_3repE0EEENS1_47radix_sort_onesweep_sort_config_static_selectorELNS0_4arch9wavefront6targetE0EEEvSN_.uses_vcc, 0
	.set _ZN7rocprim17ROCPRIM_400000_NS6detail17trampoline_kernelINS0_14default_configENS1_35radix_sort_onesweep_config_selectorIjN6thrust23THRUST_200600_302600_NS5tupleIffNS6_9null_typeES8_S8_S8_S8_S8_S8_S8_EEEEZZNS1_29radix_sort_onesweep_iterationIS3_Lb0ENS6_6detail15normal_iteratorINS6_10device_ptrIjEEEESG_NSD_INSE_IS9_EEEESI_jNS0_19identity_decomposerENS1_16block_id_wrapperIjLb1EEEEE10hipError_tT1_PNSt15iterator_traitsISN_E10value_typeET2_T3_PNSO_IST_E10value_typeET4_T5_PSY_SZ_PNS1_23onesweep_lookback_stateEbbT6_jjT7_P12ihipStream_tbENKUlT_T0_SN_SS_E_clISG_SG_SI_SI_EEDaS16_S17_SN_SS_EUlS16_E_NS1_11comp_targetILNS1_3genE9ELNS1_11target_archE1100ELNS1_3gpuE3ELNS1_3repE0EEENS1_47radix_sort_onesweep_sort_config_static_selectorELNS0_4arch9wavefront6targetE0EEEvSN_.uses_flat_scratch, 0
	.set _ZN7rocprim17ROCPRIM_400000_NS6detail17trampoline_kernelINS0_14default_configENS1_35radix_sort_onesweep_config_selectorIjN6thrust23THRUST_200600_302600_NS5tupleIffNS6_9null_typeES8_S8_S8_S8_S8_S8_S8_EEEEZZNS1_29radix_sort_onesweep_iterationIS3_Lb0ENS6_6detail15normal_iteratorINS6_10device_ptrIjEEEESG_NSD_INSE_IS9_EEEESI_jNS0_19identity_decomposerENS1_16block_id_wrapperIjLb1EEEEE10hipError_tT1_PNSt15iterator_traitsISN_E10value_typeET2_T3_PNSO_IST_E10value_typeET4_T5_PSY_SZ_PNS1_23onesweep_lookback_stateEbbT6_jjT7_P12ihipStream_tbENKUlT_T0_SN_SS_E_clISG_SG_SI_SI_EEDaS16_S17_SN_SS_EUlS16_E_NS1_11comp_targetILNS1_3genE9ELNS1_11target_archE1100ELNS1_3gpuE3ELNS1_3repE0EEENS1_47radix_sort_onesweep_sort_config_static_selectorELNS0_4arch9wavefront6targetE0EEEvSN_.has_dyn_sized_stack, 0
	.set _ZN7rocprim17ROCPRIM_400000_NS6detail17trampoline_kernelINS0_14default_configENS1_35radix_sort_onesweep_config_selectorIjN6thrust23THRUST_200600_302600_NS5tupleIffNS6_9null_typeES8_S8_S8_S8_S8_S8_S8_EEEEZZNS1_29radix_sort_onesweep_iterationIS3_Lb0ENS6_6detail15normal_iteratorINS6_10device_ptrIjEEEESG_NSD_INSE_IS9_EEEESI_jNS0_19identity_decomposerENS1_16block_id_wrapperIjLb1EEEEE10hipError_tT1_PNSt15iterator_traitsISN_E10value_typeET2_T3_PNSO_IST_E10value_typeET4_T5_PSY_SZ_PNS1_23onesweep_lookback_stateEbbT6_jjT7_P12ihipStream_tbENKUlT_T0_SN_SS_E_clISG_SG_SI_SI_EEDaS16_S17_SN_SS_EUlS16_E_NS1_11comp_targetILNS1_3genE9ELNS1_11target_archE1100ELNS1_3gpuE3ELNS1_3repE0EEENS1_47radix_sort_onesweep_sort_config_static_selectorELNS0_4arch9wavefront6targetE0EEEvSN_.has_recursion, 0
	.set _ZN7rocprim17ROCPRIM_400000_NS6detail17trampoline_kernelINS0_14default_configENS1_35radix_sort_onesweep_config_selectorIjN6thrust23THRUST_200600_302600_NS5tupleIffNS6_9null_typeES8_S8_S8_S8_S8_S8_S8_EEEEZZNS1_29radix_sort_onesweep_iterationIS3_Lb0ENS6_6detail15normal_iteratorINS6_10device_ptrIjEEEESG_NSD_INSE_IS9_EEEESI_jNS0_19identity_decomposerENS1_16block_id_wrapperIjLb1EEEEE10hipError_tT1_PNSt15iterator_traitsISN_E10value_typeET2_T3_PNSO_IST_E10value_typeET4_T5_PSY_SZ_PNS1_23onesweep_lookback_stateEbbT6_jjT7_P12ihipStream_tbENKUlT_T0_SN_SS_E_clISG_SG_SI_SI_EEDaS16_S17_SN_SS_EUlS16_E_NS1_11comp_targetILNS1_3genE9ELNS1_11target_archE1100ELNS1_3gpuE3ELNS1_3repE0EEENS1_47radix_sort_onesweep_sort_config_static_selectorELNS0_4arch9wavefront6targetE0EEEvSN_.has_indirect_call, 0
	.section	.AMDGPU.csdata,"",@progbits
; Kernel info:
; codeLenInByte = 0
; TotalNumSgprs: 0
; NumVgprs: 0
; ScratchSize: 0
; MemoryBound: 0
; FloatMode: 240
; IeeeMode: 1
; LDSByteSize: 0 bytes/workgroup (compile time only)
; SGPRBlocks: 0
; VGPRBlocks: 0
; NumSGPRsForWavesPerEU: 1
; NumVGPRsForWavesPerEU: 1
; Occupancy: 16
; WaveLimiterHint : 0
; COMPUTE_PGM_RSRC2:SCRATCH_EN: 0
; COMPUTE_PGM_RSRC2:USER_SGPR: 6
; COMPUTE_PGM_RSRC2:TRAP_HANDLER: 0
; COMPUTE_PGM_RSRC2:TGID_X_EN: 1
; COMPUTE_PGM_RSRC2:TGID_Y_EN: 0
; COMPUTE_PGM_RSRC2:TGID_Z_EN: 0
; COMPUTE_PGM_RSRC2:TIDIG_COMP_CNT: 0
	.section	.text._ZN7rocprim17ROCPRIM_400000_NS6detail17trampoline_kernelINS0_14default_configENS1_35radix_sort_onesweep_config_selectorIjN6thrust23THRUST_200600_302600_NS5tupleIffNS6_9null_typeES8_S8_S8_S8_S8_S8_S8_EEEEZZNS1_29radix_sort_onesweep_iterationIS3_Lb0ENS6_6detail15normal_iteratorINS6_10device_ptrIjEEEESG_NSD_INSE_IS9_EEEESI_jNS0_19identity_decomposerENS1_16block_id_wrapperIjLb1EEEEE10hipError_tT1_PNSt15iterator_traitsISN_E10value_typeET2_T3_PNSO_IST_E10value_typeET4_T5_PSY_SZ_PNS1_23onesweep_lookback_stateEbbT6_jjT7_P12ihipStream_tbENKUlT_T0_SN_SS_E_clISG_SG_SI_SI_EEDaS16_S17_SN_SS_EUlS16_E_NS1_11comp_targetILNS1_3genE8ELNS1_11target_archE1030ELNS1_3gpuE2ELNS1_3repE0EEENS1_47radix_sort_onesweep_sort_config_static_selectorELNS0_4arch9wavefront6targetE0EEEvSN_,"axG",@progbits,_ZN7rocprim17ROCPRIM_400000_NS6detail17trampoline_kernelINS0_14default_configENS1_35radix_sort_onesweep_config_selectorIjN6thrust23THRUST_200600_302600_NS5tupleIffNS6_9null_typeES8_S8_S8_S8_S8_S8_S8_EEEEZZNS1_29radix_sort_onesweep_iterationIS3_Lb0ENS6_6detail15normal_iteratorINS6_10device_ptrIjEEEESG_NSD_INSE_IS9_EEEESI_jNS0_19identity_decomposerENS1_16block_id_wrapperIjLb1EEEEE10hipError_tT1_PNSt15iterator_traitsISN_E10value_typeET2_T3_PNSO_IST_E10value_typeET4_T5_PSY_SZ_PNS1_23onesweep_lookback_stateEbbT6_jjT7_P12ihipStream_tbENKUlT_T0_SN_SS_E_clISG_SG_SI_SI_EEDaS16_S17_SN_SS_EUlS16_E_NS1_11comp_targetILNS1_3genE8ELNS1_11target_archE1030ELNS1_3gpuE2ELNS1_3repE0EEENS1_47radix_sort_onesweep_sort_config_static_selectorELNS0_4arch9wavefront6targetE0EEEvSN_,comdat
	.protected	_ZN7rocprim17ROCPRIM_400000_NS6detail17trampoline_kernelINS0_14default_configENS1_35radix_sort_onesweep_config_selectorIjN6thrust23THRUST_200600_302600_NS5tupleIffNS6_9null_typeES8_S8_S8_S8_S8_S8_S8_EEEEZZNS1_29radix_sort_onesweep_iterationIS3_Lb0ENS6_6detail15normal_iteratorINS6_10device_ptrIjEEEESG_NSD_INSE_IS9_EEEESI_jNS0_19identity_decomposerENS1_16block_id_wrapperIjLb1EEEEE10hipError_tT1_PNSt15iterator_traitsISN_E10value_typeET2_T3_PNSO_IST_E10value_typeET4_T5_PSY_SZ_PNS1_23onesweep_lookback_stateEbbT6_jjT7_P12ihipStream_tbENKUlT_T0_SN_SS_E_clISG_SG_SI_SI_EEDaS16_S17_SN_SS_EUlS16_E_NS1_11comp_targetILNS1_3genE8ELNS1_11target_archE1030ELNS1_3gpuE2ELNS1_3repE0EEENS1_47radix_sort_onesweep_sort_config_static_selectorELNS0_4arch9wavefront6targetE0EEEvSN_ ; -- Begin function _ZN7rocprim17ROCPRIM_400000_NS6detail17trampoline_kernelINS0_14default_configENS1_35radix_sort_onesweep_config_selectorIjN6thrust23THRUST_200600_302600_NS5tupleIffNS6_9null_typeES8_S8_S8_S8_S8_S8_S8_EEEEZZNS1_29radix_sort_onesweep_iterationIS3_Lb0ENS6_6detail15normal_iteratorINS6_10device_ptrIjEEEESG_NSD_INSE_IS9_EEEESI_jNS0_19identity_decomposerENS1_16block_id_wrapperIjLb1EEEEE10hipError_tT1_PNSt15iterator_traitsISN_E10value_typeET2_T3_PNSO_IST_E10value_typeET4_T5_PSY_SZ_PNS1_23onesweep_lookback_stateEbbT6_jjT7_P12ihipStream_tbENKUlT_T0_SN_SS_E_clISG_SG_SI_SI_EEDaS16_S17_SN_SS_EUlS16_E_NS1_11comp_targetILNS1_3genE8ELNS1_11target_archE1030ELNS1_3gpuE2ELNS1_3repE0EEENS1_47radix_sort_onesweep_sort_config_static_selectorELNS0_4arch9wavefront6targetE0EEEvSN_
	.globl	_ZN7rocprim17ROCPRIM_400000_NS6detail17trampoline_kernelINS0_14default_configENS1_35radix_sort_onesweep_config_selectorIjN6thrust23THRUST_200600_302600_NS5tupleIffNS6_9null_typeES8_S8_S8_S8_S8_S8_S8_EEEEZZNS1_29radix_sort_onesweep_iterationIS3_Lb0ENS6_6detail15normal_iteratorINS6_10device_ptrIjEEEESG_NSD_INSE_IS9_EEEESI_jNS0_19identity_decomposerENS1_16block_id_wrapperIjLb1EEEEE10hipError_tT1_PNSt15iterator_traitsISN_E10value_typeET2_T3_PNSO_IST_E10value_typeET4_T5_PSY_SZ_PNS1_23onesweep_lookback_stateEbbT6_jjT7_P12ihipStream_tbENKUlT_T0_SN_SS_E_clISG_SG_SI_SI_EEDaS16_S17_SN_SS_EUlS16_E_NS1_11comp_targetILNS1_3genE8ELNS1_11target_archE1030ELNS1_3gpuE2ELNS1_3repE0EEENS1_47radix_sort_onesweep_sort_config_static_selectorELNS0_4arch9wavefront6targetE0EEEvSN_
	.p2align	8
	.type	_ZN7rocprim17ROCPRIM_400000_NS6detail17trampoline_kernelINS0_14default_configENS1_35radix_sort_onesweep_config_selectorIjN6thrust23THRUST_200600_302600_NS5tupleIffNS6_9null_typeES8_S8_S8_S8_S8_S8_S8_EEEEZZNS1_29radix_sort_onesweep_iterationIS3_Lb0ENS6_6detail15normal_iteratorINS6_10device_ptrIjEEEESG_NSD_INSE_IS9_EEEESI_jNS0_19identity_decomposerENS1_16block_id_wrapperIjLb1EEEEE10hipError_tT1_PNSt15iterator_traitsISN_E10value_typeET2_T3_PNSO_IST_E10value_typeET4_T5_PSY_SZ_PNS1_23onesweep_lookback_stateEbbT6_jjT7_P12ihipStream_tbENKUlT_T0_SN_SS_E_clISG_SG_SI_SI_EEDaS16_S17_SN_SS_EUlS16_E_NS1_11comp_targetILNS1_3genE8ELNS1_11target_archE1030ELNS1_3gpuE2ELNS1_3repE0EEENS1_47radix_sort_onesweep_sort_config_static_selectorELNS0_4arch9wavefront6targetE0EEEvSN_,@function
_ZN7rocprim17ROCPRIM_400000_NS6detail17trampoline_kernelINS0_14default_configENS1_35radix_sort_onesweep_config_selectorIjN6thrust23THRUST_200600_302600_NS5tupleIffNS6_9null_typeES8_S8_S8_S8_S8_S8_S8_EEEEZZNS1_29radix_sort_onesweep_iterationIS3_Lb0ENS6_6detail15normal_iteratorINS6_10device_ptrIjEEEESG_NSD_INSE_IS9_EEEESI_jNS0_19identity_decomposerENS1_16block_id_wrapperIjLb1EEEEE10hipError_tT1_PNSt15iterator_traitsISN_E10value_typeET2_T3_PNSO_IST_E10value_typeET4_T5_PSY_SZ_PNS1_23onesweep_lookback_stateEbbT6_jjT7_P12ihipStream_tbENKUlT_T0_SN_SS_E_clISG_SG_SI_SI_EEDaS16_S17_SN_SS_EUlS16_E_NS1_11comp_targetILNS1_3genE8ELNS1_11target_archE1030ELNS1_3gpuE2ELNS1_3repE0EEENS1_47radix_sort_onesweep_sort_config_static_selectorELNS0_4arch9wavefront6targetE0EEEvSN_: ; @_ZN7rocprim17ROCPRIM_400000_NS6detail17trampoline_kernelINS0_14default_configENS1_35radix_sort_onesweep_config_selectorIjN6thrust23THRUST_200600_302600_NS5tupleIffNS6_9null_typeES8_S8_S8_S8_S8_S8_S8_EEEEZZNS1_29radix_sort_onesweep_iterationIS3_Lb0ENS6_6detail15normal_iteratorINS6_10device_ptrIjEEEESG_NSD_INSE_IS9_EEEESI_jNS0_19identity_decomposerENS1_16block_id_wrapperIjLb1EEEEE10hipError_tT1_PNSt15iterator_traitsISN_E10value_typeET2_T3_PNSO_IST_E10value_typeET4_T5_PSY_SZ_PNS1_23onesweep_lookback_stateEbbT6_jjT7_P12ihipStream_tbENKUlT_T0_SN_SS_E_clISG_SG_SI_SI_EEDaS16_S17_SN_SS_EUlS16_E_NS1_11comp_targetILNS1_3genE8ELNS1_11target_archE1030ELNS1_3gpuE2ELNS1_3repE0EEENS1_47radix_sort_onesweep_sort_config_static_selectorELNS0_4arch9wavefront6targetE0EEEvSN_
; %bb.0:
	s_clause 0x2
	s_load_dwordx4 s[24:27], s[4:5], 0x28
	s_load_dwordx2 s[14:15], s[4:5], 0x38
	s_load_dwordx4 s[28:31], s[4:5], 0x44
	v_cmp_eq_u32_e64 s0, 0, v0
	s_and_saveexec_b32 s1, s0
	s_cbranch_execz .LBB183_4
; %bb.1:
	s_mov_b32 s3, exec_lo
	s_mov_b32 s2, exec_lo
	v_mbcnt_lo_u32_b32 v3, s3, 0
                                        ; implicit-def: $vgpr4
	v_cmpx_eq_u32_e32 0, v3
	s_cbranch_execz .LBB183_3
; %bb.2:
	s_load_dwordx2 s[8:9], s[4:5], 0x50
	s_bcnt1_i32_b32 s3, s3
	v_mov_b32_e32 v4, 0
	v_mov_b32_e32 v5, s3
	s_waitcnt lgkmcnt(0)
	global_atomic_add v4, v4, v5, s[8:9] glc
.LBB183_3:
	s_or_b32 exec_lo, exec_lo, s2
	s_waitcnt vmcnt(0)
	v_readfirstlane_b32 s2, v4
	v_mov_b32_e32 v4, 0
	v_add_nc_u32_e32 v3, s2, v3
	ds_write_b32 v4, v3 offset:36992
.LBB183_4:
	s_or_b32 exec_lo, exec_lo, s1
	v_mov_b32_e32 v3, 0
	s_clause 0x1
	s_load_dwordx8 s[16:23], s[4:5], 0x0
	s_load_dword s1, s[4:5], 0x20
	s_waitcnt lgkmcnt(0)
	s_barrier
	buffer_gl0_inv
	ds_read_b32 v3, v3 offset:36992
	v_mbcnt_lo_u32_b32 v18, -1, 0
	v_lshlrev_b32_e32 v17, 2, v0
	s_mov_b32 s2, -1
	s_waitcnt lgkmcnt(0)
	s_barrier
	buffer_gl0_inv
	v_cmp_le_u32_e32 vcc_lo, s30, v3
	v_readfirstlane_b32 s33, v3
	s_cbranch_vccz .LBB183_68
; %bb.5:
	s_lshl_b32 s2, s30, 12
	s_lshl_b32 s30, s33, 12
	s_mov_b32 s31, 0
	v_and_b32_e32 v11, 0xf80, v17
	v_lshlrev_b32_e32 v3, 2, v18
	s_sub_i32 s35, s1, s2
	s_lshl_b64 s[2:3], s[30:31], 2
	v_mov_b32_e32 v12, -1
	s_add_u32 s1, s16, s2
	s_addc_u32 s2, s17, s3
	v_lshlrev_b32_e32 v4, 2, v11
	v_add_co_u32 v3, s1, s1, v3
	v_add_co_ci_u32_e64 v6, null, s2, 0, s1
	v_or_b32_e32 v5, v18, v11
	v_add_co_u32 v3, vcc_lo, v3, v4
	v_add_co_ci_u32_e64 v4, null, 0, v6, vcc_lo
	v_cmp_gt_u32_e64 s3, s35, v5
	v_mov_b32_e32 v13, -1
	s_and_saveexec_b32 s1, s3
	s_cbranch_execz .LBB183_7
; %bb.6:
	global_load_dword v13, v[3:4], off
.LBB183_7:
	s_or_b32 exec_lo, exec_lo, s1
	v_or_b32_e32 v6, 32, v5
	v_cmp_gt_u32_e64 s2, s35, v6
	s_and_saveexec_b32 s1, s2
	s_cbranch_execz .LBB183_9
; %bb.8:
	global_load_dword v12, v[3:4], off offset:128
.LBB183_9:
	s_or_b32 exec_lo, exec_lo, s1
	v_or_b32_e32 v6, 64, v5
	v_mov_b32_e32 v14, -1
	v_mov_b32_e32 v15, -1
	v_cmp_gt_u32_e64 s1, s35, v6
	s_and_saveexec_b32 s7, s1
	s_cbranch_execz .LBB183_11
; %bb.10:
	global_load_dword v15, v[3:4], off offset:256
.LBB183_11:
	s_or_b32 exec_lo, exec_lo, s7
	v_or_b32_e32 v5, 0x60, v5
	v_cmp_gt_u32_e32 vcc_lo, s35, v5
	s_and_saveexec_b32 s7, vcc_lo
	s_cbranch_execz .LBB183_13
; %bb.12:
	global_load_dword v14, v[3:4], off offset:384
.LBB183_13:
	s_or_b32 exec_lo, exec_lo, s7
	s_clause 0x1
	s_load_dword s7, s[4:5], 0x64
	s_load_dword s34, s[4:5], 0x58
	s_add_u32 s8, s4, 0x58
	s_addc_u32 s9, s5, 0
	v_mov_b32_e32 v5, 0
	s_waitcnt vmcnt(0)
	v_lshrrev_b32_e32 v4, s28, v13
	s_waitcnt lgkmcnt(0)
	s_lshr_b32 s10, s7, 16
	s_cmp_lt_u32 s6, s34
	s_cselect_b32 s7, 12, 18
	s_add_u32 s8, s8, s7
	s_addc_u32 s9, s9, 0
	s_lshl_b32 s7, -1, s29
	global_load_ushort v3, v5, s[8:9]
	s_not_b32 s36, s7
	v_and_b32_e32 v6, s36, v4
	v_and_b32_e32 v4, 1, v6
	v_lshlrev_b32_e32 v7, 30, v6
	v_lshlrev_b32_e32 v8, 29, v6
	;; [unrolled: 1-line block ×4, first 2 shown]
	v_add_co_u32 v4, s7, v4, -1
	v_cndmask_b32_e64 v9, 0, 1, s7
	v_not_b32_e32 v20, v7
	v_cmp_gt_i32_e64 s8, 0, v7
	v_not_b32_e32 v7, v8
	v_lshlrev_b32_e32 v19, 26, v6
	v_cmp_ne_u32_e64 s7, 0, v9
	v_ashrrev_i32_e32 v20, 31, v20
	v_lshlrev_b32_e32 v9, 25, v6
	v_ashrrev_i32_e32 v7, 31, v7
	v_xor_b32_e32 v4, s7, v4
	v_cmp_gt_i32_e64 s7, 0, v8
	v_not_b32_e32 v8, v10
	v_xor_b32_e32 v20, s8, v20
	v_cmp_gt_i32_e64 s8, 0, v10
	v_and_b32_e32 v4, exec_lo, v4
	v_not_b32_e32 v10, v16
	v_ashrrev_i32_e32 v8, 31, v8
	v_xor_b32_e32 v7, s7, v7
	v_cmp_gt_i32_e64 s7, 0, v16
	v_and_b32_e32 v4, v4, v20
	v_not_b32_e32 v16, v19
	v_ashrrev_i32_e32 v10, 31, v10
	v_xor_b32_e32 v8, s8, v8
	v_cmp_gt_i32_e64 s8, 0, v19
	v_and_b32_e32 v4, v4, v7
	;; [unrolled: 5-line block ×3, first 2 shown]
	v_lshlrev_b32_e32 v8, 24, v6
	v_ashrrev_i32_e32 v7, 31, v7
	v_xor_b32_e32 v9, s8, v16
	v_mul_lo_u32 v6, 0x84, v6
	v_and_b32_e32 v4, v4, v10
	v_not_b32_e32 v10, v8
	v_xor_b32_e32 v7, s7, v7
	v_cmp_gt_i32_e64 s7, 0, v8
	v_mul_u32_u24_e32 v19, 36, v0
	v_and_b32_e32 v4, v4, v9
	v_mad_u32_u24 v9, v2, s10, v1
	v_ashrrev_i32_e32 v8, 31, v10
	ds_write2_b32 v19, v5, v5 offset0:32 offset1:33
	v_and_b32_e32 v7, v4, v7
	ds_write2_b32 v19, v5, v5 offset0:34 offset1:35
	ds_write2_b32 v19, v5, v5 offset0:36 offset1:37
	;; [unrolled: 1-line block ×3, first 2 shown]
	ds_write_b32 v19, v5 offset:160
	s_waitcnt vmcnt(0) lgkmcnt(0)
	s_barrier
	buffer_gl0_inv
	; wave barrier
	v_mad_u64_u32 v[3:4], null, v9, v3, v[0:1]
	v_xor_b32_e32 v4, s7, v8
	v_and_b32_e32 v4, v7, v4
	v_lshrrev_b32_e32 v3, 3, v3
	v_mbcnt_lo_u32_b32 v16, v4, 0
	v_and_b32_e32 v3, 0x1ffffffc, v3
	v_cmp_ne_u32_e64 s8, 0, v4
	v_cmp_eq_u32_e64 s7, 0, v16
	v_add_nc_u32_e32 v20, v3, v6
	s_and_b32 s8, s8, s7
	s_and_saveexec_b32 s7, s8
; %bb.14:
	v_bcnt_u32_b32 v4, v4, 0
	ds_write_b32 v20, v4 offset:128
; %bb.15:
	s_or_b32 exec_lo, exec_lo, s7
	v_lshrrev_b32_e32 v4, s28, v12
	; wave barrier
	v_and_b32_e32 v4, s36, v4
	v_and_b32_e32 v6, 1, v4
	v_lshlrev_b32_e32 v7, 30, v4
	v_lshlrev_b32_e32 v8, 29, v4
	;; [unrolled: 1-line block ×4, first 2 shown]
	v_add_co_u32 v6, s7, v6, -1
	v_cndmask_b32_e64 v10, 0, 1, s7
	v_not_b32_e32 v24, v7
	v_cmp_gt_i32_e64 s8, 0, v7
	v_not_b32_e32 v7, v8
	v_lshlrev_b32_e32 v22, 26, v4
	v_cmp_ne_u32_e64 s7, 0, v10
	v_ashrrev_i32_e32 v10, 31, v24
	v_lshlrev_b32_e32 v23, 25, v4
	v_ashrrev_i32_e32 v7, 31, v7
	v_mul_lo_u32 v5, 0x84, v4
	v_xor_b32_e32 v6, s7, v6
	v_cmp_gt_i32_e64 s7, 0, v8
	v_not_b32_e32 v8, v9
	v_xor_b32_e32 v10, s8, v10
	v_cmp_gt_i32_e64 s8, 0, v9
	v_and_b32_e32 v6, exec_lo, v6
	v_not_b32_e32 v9, v21
	v_ashrrev_i32_e32 v8, 31, v8
	v_xor_b32_e32 v7, s7, v7
	v_cmp_gt_i32_e64 s7, 0, v21
	v_and_b32_e32 v6, v6, v10
	v_not_b32_e32 v10, v22
	v_ashrrev_i32_e32 v9, 31, v9
	v_xor_b32_e32 v8, s8, v8
	v_lshlrev_b32_e32 v4, 24, v4
	v_and_b32_e32 v6, v6, v7
	v_cmp_gt_i32_e64 s8, 0, v22
	v_not_b32_e32 v7, v23
	v_ashrrev_i32_e32 v10, 31, v10
	v_xor_b32_e32 v9, s7, v9
	v_and_b32_e32 v6, v6, v8
	v_cmp_gt_i32_e64 s7, 0, v23
	v_not_b32_e32 v8, v4
	v_ashrrev_i32_e32 v7, 31, v7
	v_xor_b32_e32 v10, s8, v10
	v_and_b32_e32 v6, v6, v9
	v_cmp_gt_i32_e64 s8, 0, v4
	v_ashrrev_i32_e32 v4, 31, v8
	v_xor_b32_e32 v7, s7, v7
	v_add_nc_u32_e32 v23, v3, v5
	v_and_b32_e32 v6, v6, v10
	v_xor_b32_e32 v4, s8, v4
	ds_read_b32 v21, v23 offset:128
	v_and_b32_e32 v5, v6, v7
	; wave barrier
	v_and_b32_e32 v4, v5, v4
	v_mbcnt_lo_u32_b32 v22, v4, 0
	v_cmp_ne_u32_e64 s8, 0, v4
	v_cmp_eq_u32_e64 s7, 0, v22
	s_and_b32 s8, s8, s7
	s_and_saveexec_b32 s7, s8
	s_cbranch_execz .LBB183_17
; %bb.16:
	s_waitcnt lgkmcnt(0)
	v_bcnt_u32_b32 v4, v4, v21
	ds_write_b32 v23, v4 offset:128
.LBB183_17:
	s_or_b32 exec_lo, exec_lo, s7
	v_lshrrev_b32_e32 v4, s28, v15
	; wave barrier
	v_and_b32_e32 v4, s36, v4
	v_and_b32_e32 v6, 1, v4
	v_lshlrev_b32_e32 v7, 30, v4
	v_lshlrev_b32_e32 v8, 29, v4
	;; [unrolled: 1-line block ×4, first 2 shown]
	v_add_co_u32 v6, s7, v6, -1
	v_cndmask_b32_e64 v10, 0, 1, s7
	v_not_b32_e32 v27, v7
	v_cmp_gt_i32_e64 s8, 0, v7
	v_not_b32_e32 v7, v8
	v_lshlrev_b32_e32 v25, 26, v4
	v_cmp_ne_u32_e64 s7, 0, v10
	v_ashrrev_i32_e32 v10, 31, v27
	v_lshlrev_b32_e32 v26, 25, v4
	v_ashrrev_i32_e32 v7, 31, v7
	v_mul_lo_u32 v5, 0x84, v4
	v_xor_b32_e32 v6, s7, v6
	v_cmp_gt_i32_e64 s7, 0, v8
	v_not_b32_e32 v8, v9
	v_xor_b32_e32 v10, s8, v10
	v_cmp_gt_i32_e64 s8, 0, v9
	v_and_b32_e32 v6, exec_lo, v6
	v_not_b32_e32 v9, v24
	v_ashrrev_i32_e32 v8, 31, v8
	v_xor_b32_e32 v7, s7, v7
	v_cmp_gt_i32_e64 s7, 0, v24
	v_and_b32_e32 v6, v6, v10
	v_not_b32_e32 v10, v25
	v_ashrrev_i32_e32 v9, 31, v9
	v_xor_b32_e32 v8, s8, v8
	v_lshlrev_b32_e32 v4, 24, v4
	v_and_b32_e32 v6, v6, v7
	v_cmp_gt_i32_e64 s8, 0, v25
	v_not_b32_e32 v7, v26
	v_ashrrev_i32_e32 v10, 31, v10
	v_xor_b32_e32 v9, s7, v9
	v_and_b32_e32 v6, v6, v8
	v_cmp_gt_i32_e64 s7, 0, v26
	v_not_b32_e32 v8, v4
	v_ashrrev_i32_e32 v7, 31, v7
	v_xor_b32_e32 v10, s8, v10
	v_and_b32_e32 v6, v6, v9
	v_cmp_gt_i32_e64 s8, 0, v4
	v_ashrrev_i32_e32 v4, 31, v8
	v_xor_b32_e32 v7, s7, v7
	v_add_nc_u32_e32 v24, v3, v5
	v_and_b32_e32 v6, v6, v10
	v_xor_b32_e32 v4, s8, v4
	ds_read_b32 v25, v24 offset:128
	v_and_b32_e32 v5, v6, v7
	; wave barrier
	v_and_b32_e32 v4, v5, v4
	v_mbcnt_lo_u32_b32 v26, v4, 0
	v_cmp_ne_u32_e64 s8, 0, v4
	v_cmp_eq_u32_e64 s7, 0, v26
	s_and_b32 s8, s8, s7
	s_and_saveexec_b32 s7, s8
	s_cbranch_execz .LBB183_19
; %bb.18:
	s_waitcnt lgkmcnt(0)
	v_bcnt_u32_b32 v4, v4, v25
	ds_write_b32 v24, v4 offset:128
.LBB183_19:
	s_or_b32 exec_lo, exec_lo, s7
	v_lshrrev_b32_e32 v4, s28, v14
	; wave barrier
	v_and_b32_e32 v4, s36, v4
	v_and_b32_e32 v6, 1, v4
	v_lshlrev_b32_e32 v7, 30, v4
	v_lshlrev_b32_e32 v8, 29, v4
	;; [unrolled: 1-line block ×4, first 2 shown]
	v_add_co_u32 v6, s7, v6, -1
	v_cndmask_b32_e64 v10, 0, 1, s7
	v_not_b32_e32 v30, v7
	v_cmp_gt_i32_e64 s8, 0, v7
	v_not_b32_e32 v7, v8
	v_lshlrev_b32_e32 v28, 26, v4
	v_cmp_ne_u32_e64 s7, 0, v10
	v_ashrrev_i32_e32 v10, 31, v30
	v_lshlrev_b32_e32 v29, 25, v4
	v_ashrrev_i32_e32 v7, 31, v7
	v_mul_lo_u32 v5, 0x84, v4
	v_xor_b32_e32 v6, s7, v6
	v_cmp_gt_i32_e64 s7, 0, v8
	v_not_b32_e32 v8, v9
	v_xor_b32_e32 v10, s8, v10
	v_cmp_gt_i32_e64 s8, 0, v9
	v_and_b32_e32 v6, exec_lo, v6
	v_not_b32_e32 v9, v27
	v_ashrrev_i32_e32 v8, 31, v8
	v_xor_b32_e32 v7, s7, v7
	v_cmp_gt_i32_e64 s7, 0, v27
	v_and_b32_e32 v6, v6, v10
	v_not_b32_e32 v10, v28
	v_ashrrev_i32_e32 v9, 31, v9
	v_xor_b32_e32 v8, s8, v8
	v_lshlrev_b32_e32 v4, 24, v4
	v_and_b32_e32 v6, v6, v7
	v_cmp_gt_i32_e64 s8, 0, v28
	v_not_b32_e32 v7, v29
	v_ashrrev_i32_e32 v10, 31, v10
	v_xor_b32_e32 v9, s7, v9
	v_and_b32_e32 v6, v6, v8
	v_cmp_gt_i32_e64 s7, 0, v29
	v_not_b32_e32 v8, v4
	v_ashrrev_i32_e32 v7, 31, v7
	v_xor_b32_e32 v10, s8, v10
	v_and_b32_e32 v6, v6, v9
	v_cmp_gt_i32_e64 s8, 0, v4
	v_ashrrev_i32_e32 v4, 31, v8
	v_xor_b32_e32 v7, s7, v7
	v_add_nc_u32_e32 v29, v3, v5
	v_and_b32_e32 v6, v6, v10
	v_xor_b32_e32 v3, s8, v4
	ds_read_b32 v27, v29 offset:128
	v_and_b32_e32 v4, v6, v7
	; wave barrier
	v_and_b32_e32 v3, v4, v3
	v_mbcnt_lo_u32_b32 v28, v3, 0
	v_cmp_ne_u32_e64 s8, 0, v3
	v_cmp_eq_u32_e64 s7, 0, v28
	s_and_b32 s8, s8, s7
	s_and_saveexec_b32 s7, s8
	s_cbranch_execz .LBB183_21
; %bb.20:
	s_waitcnt lgkmcnt(0)
	v_bcnt_u32_b32 v3, v3, v27
	ds_write_b32 v29, v3 offset:128
.LBB183_21:
	s_or_b32 exec_lo, exec_lo, s7
	; wave barrier
	s_waitcnt lgkmcnt(0)
	s_barrier
	buffer_gl0_inv
	ds_read2_b32 v[9:10], v19 offset0:32 offset1:33
	ds_read2_b32 v[7:8], v19 offset0:34 offset1:35
	;; [unrolled: 1-line block ×4, first 2 shown]
	ds_read_b32 v30, v19 offset:160
	v_and_b32_e32 v33, 16, v18
	v_and_b32_e32 v34, 31, v0
	s_mov_b32 s13, exec_lo
	v_cmp_eq_u32_e64 s11, 0, v33
	s_waitcnt lgkmcnt(3)
	v_add3_u32 v31, v10, v9, v7
	s_waitcnt lgkmcnt(2)
	v_add3_u32 v31, v31, v8, v5
	;; [unrolled: 2-line block ×4, first 2 shown]
	v_and_b32_e32 v31, 15, v18
	v_mov_b32_dpp v32, v30 row_shr:1 row_mask:0xf bank_mask:0xf
	v_cmp_eq_u32_e64 s7, 0, v31
	v_cmp_lt_u32_e64 s8, 1, v31
	v_cmp_lt_u32_e64 s9, 3, v31
	;; [unrolled: 1-line block ×3, first 2 shown]
	v_cndmask_b32_e64 v32, v32, 0, s7
	v_add_nc_u32_e32 v30, v32, v30
	v_mov_b32_dpp v32, v30 row_shr:2 row_mask:0xf bank_mask:0xf
	v_cndmask_b32_e64 v32, 0, v32, s8
	v_add_nc_u32_e32 v30, v30, v32
	v_mov_b32_dpp v32, v30 row_shr:4 row_mask:0xf bank_mask:0xf
	;; [unrolled: 3-line block ×3, first 2 shown]
	v_cndmask_b32_e64 v31, 0, v32, s10
	v_bfe_i32 v32, v18, 4, 1
	v_add_nc_u32_e32 v30, v30, v31
	ds_swizzle_b32 v31, v30 offset:swizzle(BROADCAST,32,15)
	s_waitcnt lgkmcnt(0)
	v_and_b32_e32 v32, v32, v31
	v_lshrrev_b32_e32 v31, 5, v0
	v_add_nc_u32_e32 v30, v30, v32
	v_cmpx_eq_u32_e32 31, v34
; %bb.22:
	v_lshlrev_b32_e32 v32, 2, v31
	ds_write_b32 v32, v30
; %bb.23:
	s_or_b32 exec_lo, exec_lo, s13
	v_cmp_lt_u32_e64 s12, 31, v0
	s_mov_b32 s37, exec_lo
	s_waitcnt lgkmcnt(0)
	s_barrier
	buffer_gl0_inv
	v_cmpx_gt_u32_e32 32, v0
	s_cbranch_execz .LBB183_25
; %bb.24:
	ds_read_b32 v32, v17
	s_waitcnt lgkmcnt(0)
	v_mov_b32_dpp v33, v32 row_shr:1 row_mask:0xf bank_mask:0xf
	v_cndmask_b32_e64 v33, v33, 0, s7
	v_add_nc_u32_e32 v32, v33, v32
	v_mov_b32_dpp v33, v32 row_shr:2 row_mask:0xf bank_mask:0xf
	v_cndmask_b32_e64 v33, 0, v33, s8
	v_add_nc_u32_e32 v32, v32, v33
	;; [unrolled: 3-line block ×4, first 2 shown]
	ds_swizzle_b32 v33, v32 offset:swizzle(BROADCAST,32,15)
	s_waitcnt lgkmcnt(0)
	v_cndmask_b32_e64 v33, v33, 0, s11
	v_add_nc_u32_e32 v32, v32, v33
	ds_write_b32 v17, v32
.LBB183_25:
	s_or_b32 exec_lo, exec_lo, s37
	v_mov_b32_e32 v32, 0
	s_waitcnt lgkmcnt(0)
	s_barrier
	buffer_gl0_inv
	s_and_saveexec_b32 s7, s12
; %bb.26:
	v_lshl_add_u32 v31, v31, 2, -4
	ds_read_b32 v32, v31
; %bb.27:
	s_or_b32 exec_lo, exec_lo, s7
	v_sub_co_u32 v31, s7, v18, 1
	s_waitcnt lgkmcnt(0)
	v_add_nc_u32_e32 v30, v32, v30
	v_cmp_gt_i32_e64 s8, 0, v31
	v_cndmask_b32_e64 v31, v31, v18, s8
	v_cmp_gt_u32_e64 s8, 0x100, v0
	v_lshlrev_b32_e32 v31, 2, v31
	ds_bpermute_b32 v30, v31, v30
	s_waitcnt lgkmcnt(0)
	v_cndmask_b32_e64 v30, v30, v32, s7
	v_cmp_lt_u32_e64 s7, 0xff, v0
	v_cndmask_b32_e64 v30, v30, 0, s0
	v_add_nc_u32_e32 v9, v30, v9
	v_add_nc_u32_e32 v10, v9, v10
	;; [unrolled: 1-line block ×8, first 2 shown]
	ds_write2_b32 v19, v30, v9 offset0:32 offset1:33
	ds_write2_b32 v19, v10, v7 offset0:34 offset1:35
	;; [unrolled: 1-line block ×4, first 2 shown]
	ds_write_b32 v19, v4 offset:160
	s_waitcnt lgkmcnt(0)
	s_barrier
	buffer_gl0_inv
	ds_read_b32 v3, v20 offset:128
	ds_read_b32 v4, v23 offset:128
	;; [unrolled: 1-line block ×4, first 2 shown]
                                        ; implicit-def: $vgpr19
                                        ; implicit-def: $vgpr20
	s_and_saveexec_b32 s10, s8
	s_cbranch_execz .LBB183_31
; %bb.28:
	v_mul_u32_u24_e32 v7, 0x84, v0
	v_add_nc_u32_e32 v8, 1, v0
	s_mov_b32 s11, exec_lo
	ds_read_b32 v19, v7 offset:128
	v_mov_b32_e32 v7, 0x1000
	v_cmpx_ne_u32_e32 0x100, v8
; %bb.29:
	v_mul_u32_u24_e32 v7, 0x84, v8
	ds_read_b32 v7, v7 offset:128
; %bb.30:
	s_or_b32 exec_lo, exec_lo, s11
	s_waitcnt lgkmcnt(0)
	v_sub_nc_u32_e32 v20, v7, v19
.LBB183_31:
	s_or_b32 exec_lo, exec_lo, s10
	s_waitcnt lgkmcnt(3)
	v_add_nc_u32_e32 v24, v3, v16
	s_waitcnt lgkmcnt(2)
	v_add3_u32 v23, v22, v21, v4
	s_waitcnt lgkmcnt(1)
	v_add3_u32 v22, v26, v25, v5
	;; [unrolled: 2-line block ×3, first 2 shown]
	v_mov_b32_e32 v4, 0
	v_lshlrev_b32_e32 v3, 2, v24
	v_lshlrev_b32_e32 v5, 2, v23
	v_lshlrev_b32_e32 v6, 2, v22
	v_lshlrev_b32_e32 v7, 2, v21
	s_barrier
	buffer_gl0_inv
	ds_write_b32 v3, v13 offset:1024
	ds_write_b32 v5, v12 offset:1024
	;; [unrolled: 1-line block ×4, first 2 shown]
	s_and_saveexec_b32 s9, s8
	s_cbranch_execz .LBB183_41
; %bb.32:
	v_lshl_add_u32 v3, s33, 8, v0
	v_mov_b32_e32 v9, 0
	s_mov_b32 s10, 0
	s_mov_b32 s11, s33
	v_lshlrev_b64 v[5:6], 2, v[3:4]
	v_or_b32_e32 v3, 2.0, v20
	v_add_co_u32 v5, s8, s14, v5
	v_add_co_ci_u32_e64 v6, null, s15, v6, s8
                                        ; implicit-def: $sgpr8
	global_store_dword v[5:6], v3, off
	s_branch .LBB183_35
	.p2align	6
.LBB183_33:                             ;   in Loop: Header=BB183_35 Depth=1
	s_or_b32 exec_lo, exec_lo, s13
.LBB183_34:                             ;   in Loop: Header=BB183_35 Depth=1
	s_or_b32 exec_lo, exec_lo, s12
	v_and_b32_e32 v7, 0x3fffffff, v3
	v_cmp_gt_i32_e64 s8, -2.0, v3
	v_add_nc_u32_e32 v9, v7, v9
	s_and_b32 s12, exec_lo, s8
	s_or_b32 s10, s12, s10
	s_andn2_b32 exec_lo, exec_lo, s10
	s_cbranch_execz .LBB183_40
.LBB183_35:                             ; =>This Loop Header: Depth=1
                                        ;     Child Loop BB183_38 Depth 2
	s_or_b32 s8, s8, exec_lo
	s_cmp_eq_u32 s11, 0
	s_cbranch_scc1 .LBB183_39
; %bb.36:                               ;   in Loop: Header=BB183_35 Depth=1
	s_add_i32 s11, s11, -1
	s_mov_b32 s12, exec_lo
	v_lshl_or_b32 v3, s11, 8, v0
	v_lshlrev_b64 v[7:8], 2, v[3:4]
	v_add_co_u32 v7, s8, s14, v7
	v_add_co_ci_u32_e64 v8, null, s15, v8, s8
	global_load_dword v3, v[7:8], off glc dlc
	s_waitcnt vmcnt(0)
	v_cmpx_gt_u32_e32 2.0, v3
	s_cbranch_execz .LBB183_34
; %bb.37:                               ;   in Loop: Header=BB183_35 Depth=1
	s_mov_b32 s13, 0
.LBB183_38:                             ;   Parent Loop BB183_35 Depth=1
                                        ; =>  This Inner Loop Header: Depth=2
	global_load_dword v3, v[7:8], off glc dlc
	s_waitcnt vmcnt(0)
	v_cmp_lt_u32_e64 s8, 0x3fffffff, v3
	s_or_b32 s13, s8, s13
	s_andn2_b32 exec_lo, exec_lo, s13
	s_cbranch_execnz .LBB183_38
	s_branch .LBB183_33
.LBB183_39:                             ;   in Loop: Header=BB183_35 Depth=1
                                        ; implicit-def: $sgpr11
	s_and_b32 s12, exec_lo, s8
	s_or_b32 s10, s12, s10
	s_andn2_b32 exec_lo, exec_lo, s10
	s_cbranch_execnz .LBB183_35
.LBB183_40:
	s_or_b32 exec_lo, exec_lo, s10
	v_add_nc_u32_e32 v3, v9, v20
	v_sub_nc_u32_e32 v4, v9, v19
	v_or_b32_e32 v3, 0x80000000, v3
	global_store_dword v[5:6], v3, off
	global_load_dword v3, v17, s[24:25]
	s_waitcnt vmcnt(0)
	v_add_nc_u32_e32 v3, v4, v3
	ds_write_b32 v17, v3
.LBB183_41:
	s_or_b32 exec_lo, exec_lo, s9
	v_mov_b32_e32 v3, 0
	v_cmp_gt_u32_e64 s8, s35, v0
	s_waitcnt lgkmcnt(0)
	s_waitcnt_vscnt null, 0x0
	s_barrier
	buffer_gl0_inv
	v_mov_b32_e32 v4, v3
	v_mov_b32_e32 v5, v3
	v_mov_b32_e32 v6, v3
	s_and_saveexec_b32 s10, s8
	s_cbranch_execz .LBB183_43
; %bb.42:
	ds_read_b32 v10, v17 offset:1024
	v_mov_b32_e32 v6, v3
	v_mov_b32_e32 v7, v3
	s_waitcnt lgkmcnt(0)
	v_lshrrev_b32_e32 v4, s28, v10
	v_and_b32_e32 v4, s36, v4
	v_lshlrev_b32_e32 v5, 2, v4
	ds_read_b32 v5, v5
	s_waitcnt lgkmcnt(0)
	v_add_nc_u32_e32 v5, v5, v0
	v_lshlrev_b64 v[8:9], 2, v[5:6]
	v_mov_b32_e32 v5, v3
	v_mov_b32_e32 v3, v4
	v_mov_b32_e32 v4, v5
	v_mov_b32_e32 v5, v6
	v_mov_b32_e32 v6, v7
	v_add_co_u32 v8, s9, s18, v8
	v_add_co_ci_u32_e64 v9, null, s19, v9, s9
	global_store_dword v[8:9], v10, off
.LBB183_43:
	s_or_b32 exec_lo, exec_lo, s10
	v_or_b32_e32 v25, 0x400, v0
	v_cmp_gt_u32_e64 s9, s35, v25
	s_and_saveexec_b32 s11, s9
	s_cbranch_execz .LBB183_45
; %bb.44:
	ds_read_b32 v9, v17 offset:5120
	v_mov_b32_e32 v8, 0
	s_waitcnt lgkmcnt(0)
	v_lshrrev_b32_e32 v4, s28, v9
	v_and_b32_e32 v4, s36, v4
	v_lshlrev_b32_e32 v7, 2, v4
	ds_read_b32 v7, v7
	s_waitcnt lgkmcnt(0)
	v_add_nc_u32_e32 v7, v7, v25
	v_lshlrev_b64 v[7:8], 2, v[7:8]
	v_add_co_u32 v7, s10, s18, v7
	v_add_co_ci_u32_e64 v8, null, s19, v8, s10
	global_store_dword v[7:8], v9, off
.LBB183_45:
	s_or_b32 exec_lo, exec_lo, s11
	v_or_b32_e32 v26, 0x800, v0
	v_cmp_gt_u32_e64 s10, s35, v26
	s_and_saveexec_b32 s12, s10
	s_cbranch_execz .LBB183_47
; %bb.46:
	ds_read_b32 v9, v17 offset:9216
	v_mov_b32_e32 v8, 0
	s_waitcnt lgkmcnt(0)
	v_lshrrev_b32_e32 v5, s28, v9
	v_and_b32_e32 v5, s36, v5
	v_lshlrev_b32_e32 v7, 2, v5
	ds_read_b32 v7, v7
	s_waitcnt lgkmcnt(0)
	v_add_nc_u32_e32 v7, v7, v26
	v_lshlrev_b64 v[7:8], 2, v[7:8]
	v_add_co_u32 v7, s11, s18, v7
	v_add_co_ci_u32_e64 v8, null, s19, v8, s11
	global_store_dword v[7:8], v9, off
.LBB183_47:
	;; [unrolled: 20-line block ×3, first 2 shown]
	s_or_b32 exec_lo, exec_lo, s13
	v_lshlrev_b32_e32 v7, 3, v18
	s_lshl_b64 s[12:13], s[30:31], 3
	v_lshlrev_b32_e32 v9, 3, v11
	s_add_u32 s12, s20, s12
	s_addc_u32 s13, s21, s13
	v_add_co_u32 v7, s12, s12, v7
	v_add_co_ci_u32_e64 v10, null, s13, 0, s12
	v_mov_b32_e32 v8, 0
	v_add_co_u32 v13, s12, v7, v9
	v_add_co_ci_u32_e64 v14, null, 0, v10, s12
	v_mov_b32_e32 v10, 0
	v_mov_b32_e32 v9, 0
	s_and_saveexec_b32 s12, s3
	s_cbranch_execz .LBB183_51
; %bb.50:
	global_load_dwordx2 v[9:10], v[13:14], off
.LBB183_51:
	s_or_b32 exec_lo, exec_lo, s12
	v_mov_b32_e32 v7, 0
	s_and_saveexec_b32 s3, s2
	s_cbranch_execz .LBB183_53
; %bb.52:
	global_load_dwordx2 v[7:8], v[13:14], off offset:256
.LBB183_53:
	s_or_b32 exec_lo, exec_lo, s3
	v_mov_b32_e32 v12, 0
	v_mov_b32_e32 v16, 0
	;; [unrolled: 1-line block ×3, first 2 shown]
	s_and_saveexec_b32 s2, s1
	s_cbranch_execz .LBB183_55
; %bb.54:
	global_load_dwordx2 v[15:16], v[13:14], off offset:512
.LBB183_55:
	s_or_b32 exec_lo, exec_lo, s2
	v_mov_b32_e32 v11, 0
	s_and_saveexec_b32 s1, vcc_lo
	s_cbranch_execz .LBB183_57
; %bb.56:
	global_load_dwordx2 v[11:12], v[13:14], off offset:768
.LBB183_57:
	s_or_b32 exec_lo, exec_lo, s1
	v_min_u32_e32 v13, 0x1000, v24
	v_min_u32_e32 v14, 0x1000, v23
	;; [unrolled: 1-line block ×4, first 2 shown]
	s_waitcnt vmcnt(0)
	s_waitcnt_vscnt null, 0x0
	v_lshlrev_b32_e32 v13, 3, v13
	v_lshlrev_b32_e32 v14, 3, v14
	v_lshlrev_b32_e32 v22, 3, v22
	s_barrier
	buffer_gl0_inv
	v_lshlrev_b32_e32 v21, 3, v21
	ds_write_b64 v13, v[9:10] offset:1024
	ds_write_b64 v14, v[7:8] offset:1024
	;; [unrolled: 1-line block ×3, first 2 shown]
	v_lshlrev_b32_e32 v7, 3, v0
	ds_write_b64 v21, v[11:12] offset:1024
	s_waitcnt lgkmcnt(0)
	s_barrier
	buffer_gl0_inv
	s_and_saveexec_b32 s1, s8
	s_cbranch_execz .LBB183_61
; %bb.58:
	v_lshlrev_b32_e32 v3, 2, v3
	v_mov_b32_e32 v11, 0
	ds_read_b32 v3, v3
	ds_read_b64 v[8:9], v7 offset:1024
	s_waitcnt lgkmcnt(1)
	v_add_nc_u32_e32 v10, v3, v0
	v_lshlrev_b64 v[10:11], 3, v[10:11]
	v_add_co_u32 v10, vcc_lo, s22, v10
	v_add_co_ci_u32_e64 v11, null, s23, v11, vcc_lo
	s_waitcnt lgkmcnt(0)
	global_store_dwordx2 v[10:11], v[8:9], off
	s_or_b32 exec_lo, exec_lo, s1
	s_and_saveexec_b32 s1, s9
	s_cbranch_execnz .LBB183_62
.LBB183_59:
	s_or_b32 exec_lo, exec_lo, s1
	s_and_saveexec_b32 s1, s10
	s_cbranch_execz .LBB183_63
.LBB183_60:
	v_lshlrev_b32_e32 v3, 2, v5
	v_mov_b32_e32 v9, 0
	ds_read_b32 v5, v3
	ds_read_b64 v[3:4], v7 offset:17408
	s_waitcnt lgkmcnt(1)
	v_add_nc_u32_e32 v8, v5, v26
	v_lshlrev_b64 v[8:9], 3, v[8:9]
	v_add_co_u32 v8, vcc_lo, s22, v8
	v_add_co_ci_u32_e64 v9, null, s23, v9, vcc_lo
	s_waitcnt lgkmcnt(0)
	global_store_dwordx2 v[8:9], v[3:4], off
	s_or_b32 exec_lo, exec_lo, s1
	s_and_saveexec_b32 s1, s11
	s_cbranch_execnz .LBB183_64
	s_branch .LBB183_65
.LBB183_61:
	s_or_b32 exec_lo, exec_lo, s1
	s_and_saveexec_b32 s1, s9
	s_cbranch_execz .LBB183_59
.LBB183_62:
	v_lshlrev_b32_e32 v3, 2, v4
	v_mov_b32_e32 v9, 0
	ds_read_b32 v8, v3
	ds_read_b64 v[3:4], v7 offset:9216
	s_waitcnt lgkmcnt(1)
	v_add_nc_u32_e32 v8, v8, v25
	v_lshlrev_b64 v[8:9], 3, v[8:9]
	v_add_co_u32 v8, vcc_lo, s22, v8
	v_add_co_ci_u32_e64 v9, null, s23, v9, vcc_lo
	s_waitcnt lgkmcnt(0)
	global_store_dwordx2 v[8:9], v[3:4], off
	s_or_b32 exec_lo, exec_lo, s1
	s_and_saveexec_b32 s1, s10
	s_cbranch_execnz .LBB183_60
.LBB183_63:
	s_or_b32 exec_lo, exec_lo, s1
	s_and_saveexec_b32 s1, s11
	s_cbranch_execz .LBB183_65
.LBB183_64:
	v_lshlrev_b32_e32 v3, 2, v6
	v_mov_b32_e32 v6, 0
	ds_read_b32 v5, v3
	ds_read_b64 v[3:4], v7 offset:25600
	s_waitcnt lgkmcnt(1)
	v_add_nc_u32_e32 v5, v5, v27
	v_lshlrev_b64 v[5:6], 3, v[5:6]
	v_add_co_u32 v5, vcc_lo, s22, v5
	v_add_co_ci_u32_e64 v6, null, s23, v6, vcc_lo
	s_waitcnt lgkmcnt(0)
	global_store_dwordx2 v[5:6], v[3:4], off
.LBB183_65:
	s_or_b32 exec_lo, exec_lo, s1
	s_add_i32 s34, s34, -1
	s_cmp_eq_u32 s33, s34
	s_cselect_b32 s1, -1, 0
	s_xor_b32 s2, s7, -1
	s_and_b32 s2, s2, s1
	s_and_saveexec_b32 s1, s2
	s_cbranch_execz .LBB183_67
; %bb.66:
	ds_read_b32 v3, v17
	s_waitcnt lgkmcnt(0)
	v_add3_u32 v3, v19, v20, v3
	global_store_dword v17, v3, s[26:27]
.LBB183_67:
	s_or_b32 exec_lo, exec_lo, s1
	s_mov_b32 s2, 0
.LBB183_68:
	s_and_b32 vcc_lo, exec_lo, s2
	s_cbranch_vccz .LBB183_99
; %bb.69:
	s_lshl_b32 s8, s33, 12
	s_mov_b32 s9, 0
	v_and_b32_e32 v9, 0xf80, v17
	v_lshlrev_b32_e32 v3, 2, v18
	s_lshl_b64 s[2:3], s[8:9], 2
	s_add_u32 s1, s16, s2
	s_addc_u32 s2, s17, s3
	v_lshlrev_b32_e32 v4, 2, v9
	v_add_co_u32 v3, s1, s1, v3
	v_add_co_ci_u32_e64 v5, null, s2, 0, s1
	s_add_u32 s2, s4, 0x58
	v_add_co_u32 v3, vcc_lo, v3, v4
	v_add_co_ci_u32_e64 v4, null, 0, v5, vcc_lo
	s_addc_u32 s3, s5, 0
	v_mov_b32_e32 v5, 0
	global_load_dword v10, v[3:4], off
	s_clause 0x1
	s_load_dword s1, s[4:5], 0x64
	s_load_dword s7, s[4:5], 0x58
	s_waitcnt lgkmcnt(0)
	s_lshr_b32 s4, s1, 16
	s_cmp_lt_u32 s6, s7
	v_mad_u32_u24 v1, v2, s4, v1
	s_cselect_b32 s1, 12, 18
	s_add_u32 s2, s2, s1
	s_addc_u32 s3, s3, 0
	global_load_ushort v6, v5, s[2:3]
	s_clause 0x2
	global_load_dword v11, v[3:4], off offset:128
	global_load_dword v12, v[3:4], off offset:256
	;; [unrolled: 1-line block ×3, first 2 shown]
	s_lshl_b32 s1, -1, s29
	s_not_b32 s10, s1
	s_waitcnt vmcnt(4)
	v_lshrrev_b32_e32 v3, s28, v10
	v_and_b32_e32 v3, s10, v3
	v_and_b32_e32 v4, 1, v3
	v_lshlrev_b32_e32 v7, 30, v3
	v_lshlrev_b32_e32 v8, 29, v3
	;; [unrolled: 1-line block ×4, first 2 shown]
	v_add_co_u32 v4, s1, v4, -1
	v_cndmask_b32_e64 v15, 0, 1, s1
	v_not_b32_e32 v21, v7
	v_cmp_gt_i32_e64 s1, 0, v7
	v_not_b32_e32 v7, v8
	v_lshlrev_b32_e32 v19, 26, v3
	v_cmp_ne_u32_e32 vcc_lo, 0, v15
	v_ashrrev_i32_e32 v21, 31, v21
	v_lshlrev_b32_e32 v20, 25, v3
	v_ashrrev_i32_e32 v7, 31, v7
	v_lshlrev_b32_e32 v15, 24, v3
	v_xor_b32_e32 v4, vcc_lo, v4
	v_cmp_gt_i32_e32 vcc_lo, 0, v8
	v_not_b32_e32 v8, v14
	v_xor_b32_e32 v21, s1, v21
	v_cmp_gt_i32_e64 s1, 0, v14
	v_and_b32_e32 v4, exec_lo, v4
	v_not_b32_e32 v14, v16
	v_ashrrev_i32_e32 v8, 31, v8
	v_xor_b32_e32 v7, vcc_lo, v7
	v_cmp_gt_i32_e32 vcc_lo, 0, v16
	v_and_b32_e32 v4, v4, v21
	v_not_b32_e32 v16, v19
	v_ashrrev_i32_e32 v14, 31, v14
	v_xor_b32_e32 v8, s1, v8
	v_cmp_gt_i32_e64 s1, 0, v19
	v_and_b32_e32 v4, v4, v7
	v_not_b32_e32 v7, v20
	v_ashrrev_i32_e32 v16, 31, v16
	v_xor_b32_e32 v14, vcc_lo, v14
	v_cmp_gt_i32_e32 vcc_lo, 0, v20
	v_and_b32_e32 v4, v4, v8
	v_not_b32_e32 v8, v15
	v_ashrrev_i32_e32 v7, 31, v7
	v_xor_b32_e32 v16, s1, v16
	v_cmp_gt_i32_e64 s1, 0, v15
	v_and_b32_e32 v4, v4, v14
	v_ashrrev_i32_e32 v8, 31, v8
	v_xor_b32_e32 v7, vcc_lo, v7
	s_waitcnt vmcnt(3)
	v_mad_u64_u32 v[1:2], null, v1, v6, v[0:1]
	v_and_b32_e32 v4, v4, v16
	v_xor_b32_e32 v2, s1, v8
	v_mul_lo_u32 v3, 0x84, v3
	v_mul_u32_u24_e32 v15, 36, v0
	v_and_b32_e32 v4, v4, v7
	v_lshrrev_b32_e32 v1, 3, v1
	ds_write2_b32 v15, v5, v5 offset0:32 offset1:33
	ds_write2_b32 v15, v5, v5 offset0:34 offset1:35
	;; [unrolled: 1-line block ×3, first 2 shown]
	v_and_b32_e32 v2, v4, v2
	v_and_b32_e32 v1, 0x1ffffffc, v1
	ds_write2_b32 v15, v5, v5 offset0:38 offset1:39
	ds_write_b32 v15, v5 offset:160
	s_waitcnt vmcnt(0) lgkmcnt(0)
	s_waitcnt_vscnt null, 0x0
	s_barrier
	v_mbcnt_lo_u32_b32 v14, v2, 0
	v_cmp_ne_u32_e64 s1, 0, v2
	v_add_nc_u32_e32 v16, v1, v3
	buffer_gl0_inv
	v_cmp_eq_u32_e32 vcc_lo, 0, v14
	; wave barrier
	s_and_b32 s2, s1, vcc_lo
	s_and_saveexec_b32 s1, s2
; %bb.70:
	v_bcnt_u32_b32 v2, v2, 0
	ds_write_b32 v16, v2 offset:128
; %bb.71:
	s_or_b32 exec_lo, exec_lo, s1
	v_lshrrev_b32_e32 v2, s28, v11
	; wave barrier
	v_and_b32_e32 v2, s10, v2
	v_and_b32_e32 v4, 1, v2
	v_lshlrev_b32_e32 v5, 30, v2
	v_lshlrev_b32_e32 v6, 29, v2
	;; [unrolled: 1-line block ×4, first 2 shown]
	v_add_co_u32 v4, s1, v4, -1
	v_cndmask_b32_e64 v8, 0, 1, s1
	v_not_b32_e32 v22, v5
	v_cmp_gt_i32_e64 s1, 0, v5
	v_not_b32_e32 v5, v6
	v_lshlrev_b32_e32 v20, 26, v2
	v_cmp_ne_u32_e32 vcc_lo, 0, v8
	v_ashrrev_i32_e32 v8, 31, v22
	v_lshlrev_b32_e32 v21, 25, v2
	v_ashrrev_i32_e32 v5, 31, v5
	v_mul_lo_u32 v3, 0x84, v2
	v_xor_b32_e32 v4, vcc_lo, v4
	v_cmp_gt_i32_e32 vcc_lo, 0, v6
	v_not_b32_e32 v6, v7
	v_xor_b32_e32 v8, s1, v8
	v_cmp_gt_i32_e64 s1, 0, v7
	v_and_b32_e32 v4, exec_lo, v4
	v_not_b32_e32 v7, v19
	v_ashrrev_i32_e32 v6, 31, v6
	v_xor_b32_e32 v5, vcc_lo, v5
	v_cmp_gt_i32_e32 vcc_lo, 0, v19
	v_and_b32_e32 v4, v4, v8
	v_not_b32_e32 v8, v20
	v_ashrrev_i32_e32 v7, 31, v7
	v_xor_b32_e32 v6, s1, v6
	v_lshlrev_b32_e32 v2, 24, v2
	v_and_b32_e32 v4, v4, v5
	v_cmp_gt_i32_e64 s1, 0, v20
	v_not_b32_e32 v5, v21
	v_ashrrev_i32_e32 v8, 31, v8
	v_xor_b32_e32 v7, vcc_lo, v7
	v_and_b32_e32 v4, v4, v6
	v_cmp_gt_i32_e32 vcc_lo, 0, v21
	v_not_b32_e32 v6, v2
	v_ashrrev_i32_e32 v5, 31, v5
	v_xor_b32_e32 v8, s1, v8
	v_and_b32_e32 v4, v4, v7
	v_cmp_gt_i32_e64 s1, 0, v2
	v_ashrrev_i32_e32 v2, 31, v6
	v_xor_b32_e32 v5, vcc_lo, v5
	v_add_nc_u32_e32 v21, v1, v3
	v_and_b32_e32 v4, v4, v8
	v_xor_b32_e32 v2, s1, v2
	ds_read_b32 v19, v21 offset:128
	v_and_b32_e32 v3, v4, v5
	; wave barrier
	v_and_b32_e32 v2, v3, v2
	v_mbcnt_lo_u32_b32 v20, v2, 0
	v_cmp_ne_u32_e64 s1, 0, v2
	v_cmp_eq_u32_e32 vcc_lo, 0, v20
	s_and_b32 s2, s1, vcc_lo
	s_and_saveexec_b32 s1, s2
	s_cbranch_execz .LBB183_73
; %bb.72:
	s_waitcnt lgkmcnt(0)
	v_bcnt_u32_b32 v2, v2, v19
	ds_write_b32 v21, v2 offset:128
.LBB183_73:
	s_or_b32 exec_lo, exec_lo, s1
	v_lshrrev_b32_e32 v2, s28, v12
	; wave barrier
	v_and_b32_e32 v2, s10, v2
	v_and_b32_e32 v4, 1, v2
	v_lshlrev_b32_e32 v5, 30, v2
	v_lshlrev_b32_e32 v6, 29, v2
	;; [unrolled: 1-line block ×4, first 2 shown]
	v_add_co_u32 v4, s1, v4, -1
	v_cndmask_b32_e64 v8, 0, 1, s1
	v_not_b32_e32 v25, v5
	v_cmp_gt_i32_e64 s1, 0, v5
	v_not_b32_e32 v5, v6
	v_lshlrev_b32_e32 v23, 26, v2
	v_cmp_ne_u32_e32 vcc_lo, 0, v8
	v_ashrrev_i32_e32 v8, 31, v25
	v_lshlrev_b32_e32 v24, 25, v2
	v_ashrrev_i32_e32 v5, 31, v5
	v_mul_lo_u32 v3, 0x84, v2
	v_xor_b32_e32 v4, vcc_lo, v4
	v_cmp_gt_i32_e32 vcc_lo, 0, v6
	v_not_b32_e32 v6, v7
	v_xor_b32_e32 v8, s1, v8
	v_cmp_gt_i32_e64 s1, 0, v7
	v_and_b32_e32 v4, exec_lo, v4
	v_not_b32_e32 v7, v22
	v_ashrrev_i32_e32 v6, 31, v6
	v_xor_b32_e32 v5, vcc_lo, v5
	v_cmp_gt_i32_e32 vcc_lo, 0, v22
	v_and_b32_e32 v4, v4, v8
	v_not_b32_e32 v8, v23
	v_ashrrev_i32_e32 v7, 31, v7
	v_xor_b32_e32 v6, s1, v6
	v_lshlrev_b32_e32 v2, 24, v2
	v_and_b32_e32 v4, v4, v5
	v_cmp_gt_i32_e64 s1, 0, v23
	v_not_b32_e32 v5, v24
	v_ashrrev_i32_e32 v8, 31, v8
	v_xor_b32_e32 v7, vcc_lo, v7
	v_and_b32_e32 v4, v4, v6
	v_cmp_gt_i32_e32 vcc_lo, 0, v24
	v_not_b32_e32 v6, v2
	v_ashrrev_i32_e32 v5, 31, v5
	v_xor_b32_e32 v8, s1, v8
	v_and_b32_e32 v4, v4, v7
	v_cmp_gt_i32_e64 s1, 0, v2
	v_ashrrev_i32_e32 v2, 31, v6
	v_xor_b32_e32 v5, vcc_lo, v5
	v_add_nc_u32_e32 v24, v1, v3
	v_and_b32_e32 v4, v4, v8
	v_xor_b32_e32 v2, s1, v2
	ds_read_b32 v22, v24 offset:128
	v_and_b32_e32 v3, v4, v5
	; wave barrier
	v_and_b32_e32 v2, v3, v2
	v_mbcnt_lo_u32_b32 v23, v2, 0
	v_cmp_ne_u32_e64 s1, 0, v2
	v_cmp_eq_u32_e32 vcc_lo, 0, v23
	s_and_b32 s2, s1, vcc_lo
	s_and_saveexec_b32 s1, s2
	s_cbranch_execz .LBB183_75
; %bb.74:
	s_waitcnt lgkmcnt(0)
	v_bcnt_u32_b32 v2, v2, v22
	ds_write_b32 v24, v2 offset:128
.LBB183_75:
	s_or_b32 exec_lo, exec_lo, s1
	v_lshrrev_b32_e32 v2, s28, v13
	; wave barrier
	v_and_b32_e32 v2, s10, v2
	v_and_b32_e32 v4, 1, v2
	v_lshlrev_b32_e32 v5, 30, v2
	v_lshlrev_b32_e32 v6, 29, v2
	;; [unrolled: 1-line block ×4, first 2 shown]
	v_add_co_u32 v4, s1, v4, -1
	v_cndmask_b32_e64 v8, 0, 1, s1
	v_not_b32_e32 v28, v5
	v_cmp_gt_i32_e64 s1, 0, v5
	v_not_b32_e32 v5, v6
	v_lshlrev_b32_e32 v26, 26, v2
	v_cmp_ne_u32_e32 vcc_lo, 0, v8
	v_ashrrev_i32_e32 v8, 31, v28
	v_lshlrev_b32_e32 v27, 25, v2
	v_ashrrev_i32_e32 v5, 31, v5
	v_mul_lo_u32 v3, 0x84, v2
	v_xor_b32_e32 v4, vcc_lo, v4
	v_cmp_gt_i32_e32 vcc_lo, 0, v6
	v_not_b32_e32 v6, v7
	v_xor_b32_e32 v8, s1, v8
	v_cmp_gt_i32_e64 s1, 0, v7
	v_and_b32_e32 v4, exec_lo, v4
	v_not_b32_e32 v7, v25
	v_ashrrev_i32_e32 v6, 31, v6
	v_xor_b32_e32 v5, vcc_lo, v5
	v_cmp_gt_i32_e32 vcc_lo, 0, v25
	v_and_b32_e32 v4, v4, v8
	v_not_b32_e32 v8, v26
	v_ashrrev_i32_e32 v7, 31, v7
	v_xor_b32_e32 v6, s1, v6
	v_lshlrev_b32_e32 v2, 24, v2
	v_and_b32_e32 v4, v4, v5
	v_cmp_gt_i32_e64 s1, 0, v26
	v_not_b32_e32 v5, v27
	v_ashrrev_i32_e32 v8, 31, v8
	v_xor_b32_e32 v7, vcc_lo, v7
	v_and_b32_e32 v4, v4, v6
	v_cmp_gt_i32_e32 vcc_lo, 0, v27
	v_not_b32_e32 v6, v2
	v_ashrrev_i32_e32 v5, 31, v5
	v_xor_b32_e32 v8, s1, v8
	v_and_b32_e32 v4, v4, v7
	v_cmp_gt_i32_e64 s1, 0, v2
	v_ashrrev_i32_e32 v2, 31, v6
	v_xor_b32_e32 v5, vcc_lo, v5
	v_add_nc_u32_e32 v27, v1, v3
	v_and_b32_e32 v4, v4, v8
	v_xor_b32_e32 v1, s1, v2
	ds_read_b32 v25, v27 offset:128
	v_and_b32_e32 v2, v4, v5
	; wave barrier
	v_and_b32_e32 v1, v2, v1
	v_mbcnt_lo_u32_b32 v26, v1, 0
	v_cmp_ne_u32_e64 s1, 0, v1
	v_cmp_eq_u32_e32 vcc_lo, 0, v26
	s_and_b32 s2, s1, vcc_lo
	s_and_saveexec_b32 s1, s2
	s_cbranch_execz .LBB183_77
; %bb.76:
	s_waitcnt lgkmcnt(0)
	v_bcnt_u32_b32 v1, v1, v25
	ds_write_b32 v27, v1 offset:128
.LBB183_77:
	s_or_b32 exec_lo, exec_lo, s1
	; wave barrier
	s_waitcnt lgkmcnt(0)
	s_barrier
	buffer_gl0_inv
	ds_read2_b32 v[7:8], v15 offset0:32 offset1:33
	ds_read2_b32 v[5:6], v15 offset0:34 offset1:35
	;; [unrolled: 1-line block ×4, first 2 shown]
	ds_read_b32 v28, v15 offset:160
	v_and_b32_e32 v31, 16, v18
	v_and_b32_e32 v32, 31, v0
	s_mov_b32 s6, exec_lo
	v_cmp_eq_u32_e64 s4, 0, v31
	s_waitcnt lgkmcnt(3)
	v_add3_u32 v29, v8, v7, v5
	s_waitcnt lgkmcnt(2)
	v_add3_u32 v29, v29, v6, v3
	;; [unrolled: 2-line block ×4, first 2 shown]
	v_and_b32_e32 v29, 15, v18
	v_mov_b32_dpp v30, v28 row_shr:1 row_mask:0xf bank_mask:0xf
	v_cmp_eq_u32_e32 vcc_lo, 0, v29
	v_cmp_lt_u32_e64 s1, 1, v29
	v_cmp_lt_u32_e64 s2, 3, v29
	;; [unrolled: 1-line block ×3, first 2 shown]
	v_cndmask_b32_e64 v30, v30, 0, vcc_lo
	v_add_nc_u32_e32 v28, v30, v28
	v_mov_b32_dpp v30, v28 row_shr:2 row_mask:0xf bank_mask:0xf
	v_cndmask_b32_e64 v30, 0, v30, s1
	v_add_nc_u32_e32 v28, v28, v30
	v_mov_b32_dpp v30, v28 row_shr:4 row_mask:0xf bank_mask:0xf
	v_cndmask_b32_e64 v30, 0, v30, s2
	v_add_nc_u32_e32 v28, v28, v30
	v_mov_b32_dpp v30, v28 row_shr:8 row_mask:0xf bank_mask:0xf
	v_cndmask_b32_e64 v29, 0, v30, s3
	v_bfe_i32 v30, v18, 4, 1
	v_add_nc_u32_e32 v28, v28, v29
	ds_swizzle_b32 v29, v28 offset:swizzle(BROADCAST,32,15)
	s_waitcnt lgkmcnt(0)
	v_and_b32_e32 v30, v30, v29
	v_lshrrev_b32_e32 v29, 5, v0
	v_add_nc_u32_e32 v28, v28, v30
	v_cmpx_eq_u32_e32 31, v32
; %bb.78:
	v_lshlrev_b32_e32 v30, 2, v29
	ds_write_b32 v30, v28
; %bb.79:
	s_or_b32 exec_lo, exec_lo, s6
	v_cmp_lt_u32_e64 s5, 31, v0
	s_mov_b32 s11, exec_lo
	s_waitcnt lgkmcnt(0)
	s_barrier
	buffer_gl0_inv
	v_cmpx_gt_u32_e32 32, v0
	s_cbranch_execz .LBB183_81
; %bb.80:
	ds_read_b32 v30, v17
	s_waitcnt lgkmcnt(0)
	v_mov_b32_dpp v31, v30 row_shr:1 row_mask:0xf bank_mask:0xf
	v_cndmask_b32_e64 v31, v31, 0, vcc_lo
	v_add_nc_u32_e32 v30, v31, v30
	v_mov_b32_dpp v31, v30 row_shr:2 row_mask:0xf bank_mask:0xf
	v_cndmask_b32_e64 v31, 0, v31, s1
	v_add_nc_u32_e32 v30, v30, v31
	v_mov_b32_dpp v31, v30 row_shr:4 row_mask:0xf bank_mask:0xf
	v_cndmask_b32_e64 v31, 0, v31, s2
	;; [unrolled: 3-line block ×3, first 2 shown]
	v_add_nc_u32_e32 v30, v30, v31
	ds_swizzle_b32 v31, v30 offset:swizzle(BROADCAST,32,15)
	s_waitcnt lgkmcnt(0)
	v_cndmask_b32_e64 v31, v31, 0, s4
	v_add_nc_u32_e32 v30, v30, v31
	ds_write_b32 v17, v30
.LBB183_81:
	s_or_b32 exec_lo, exec_lo, s11
	v_mov_b32_e32 v30, 0
	s_waitcnt lgkmcnt(0)
	s_barrier
	buffer_gl0_inv
	s_and_saveexec_b32 s1, s5
; %bb.82:
	v_lshl_add_u32 v29, v29, 2, -4
	ds_read_b32 v30, v29
; %bb.83:
	s_or_b32 exec_lo, exec_lo, s1
	v_sub_co_u32 v29, vcc_lo, v18, 1
	s_waitcnt lgkmcnt(0)
	v_add_nc_u32_e32 v28, v30, v28
	v_cmp_gt_i32_e64 s1, 0, v29
	v_cndmask_b32_e64 v29, v29, v18, s1
	v_lshlrev_b32_e32 v29, 2, v29
	ds_bpermute_b32 v28, v29, v28
	s_waitcnt lgkmcnt(0)
	v_cndmask_b32_e32 v28, v28, v30, vcc_lo
	v_cmp_lt_u32_e32 vcc_lo, 0xff, v0
	v_cndmask_b32_e64 v28, v28, 0, s0
	v_cmp_gt_u32_e64 s0, 0x100, v0
	v_add_nc_u32_e32 v7, v28, v7
	v_add_nc_u32_e32 v8, v7, v8
	;; [unrolled: 1-line block ×8, first 2 shown]
	ds_write2_b32 v15, v28, v7 offset0:32 offset1:33
	ds_write2_b32 v15, v8, v5 offset0:34 offset1:35
	;; [unrolled: 1-line block ×4, first 2 shown]
	ds_write_b32 v15, v2 offset:160
	s_waitcnt lgkmcnt(0)
	s_barrier
	buffer_gl0_inv
	ds_read_b32 v1, v16 offset:128
	ds_read_b32 v2, v21 offset:128
	;; [unrolled: 1-line block ×4, first 2 shown]
                                        ; implicit-def: $vgpr7
                                        ; implicit-def: $vgpr8
	s_and_saveexec_b32 s2, s0
	s_cbranch_execz .LBB183_87
; %bb.84:
	v_mul_u32_u24_e32 v5, 0x84, v0
	v_add_nc_u32_e32 v6, 1, v0
	s_mov_b32 s3, exec_lo
	ds_read_b32 v7, v5 offset:128
	v_mov_b32_e32 v5, 0x1000
	v_cmpx_ne_u32_e32 0x100, v6
; %bb.85:
	v_mul_u32_u24_e32 v5, 0x84, v6
	ds_read_b32 v5, v5 offset:128
; %bb.86:
	s_or_b32 exec_lo, exec_lo, s3
	s_waitcnt lgkmcnt(0)
	v_sub_nc_u32_e32 v8, v5, v7
.LBB183_87:
	s_or_b32 exec_lo, exec_lo, s2
	s_waitcnt lgkmcnt(3)
	v_add_nc_u32_e32 v21, v1, v14
	s_waitcnt lgkmcnt(2)
	v_add3_u32 v16, v20, v19, v2
	s_waitcnt lgkmcnt(1)
	v_add3_u32 v15, v23, v22, v3
	;; [unrolled: 2-line block ×3, first 2 shown]
	v_mov_b32_e32 v2, 0
	v_lshlrev_b32_e32 v1, 2, v21
	v_lshlrev_b32_e32 v3, 2, v16
	;; [unrolled: 1-line block ×4, first 2 shown]
	s_barrier
	buffer_gl0_inv
	ds_write_b32 v1, v10 offset:1024
	ds_write_b32 v3, v11 offset:1024
	;; [unrolled: 1-line block ×4, first 2 shown]
	s_and_saveexec_b32 s1, s0
	s_cbranch_execz .LBB183_97
; %bb.88:
	v_lshl_add_u32 v1, s33, 8, v0
	v_mov_b32_e32 v10, 0
	s_mov_b32 s2, 0
	s_mov_b32 s3, s33
	v_lshlrev_b64 v[3:4], 2, v[1:2]
	v_or_b32_e32 v1, 2.0, v8
	v_add_co_u32 v3, s0, s14, v3
	v_add_co_ci_u32_e64 v4, null, s15, v4, s0
                                        ; implicit-def: $sgpr0
	global_store_dword v[3:4], v1, off
	s_branch .LBB183_91
	.p2align	6
.LBB183_89:                             ;   in Loop: Header=BB183_91 Depth=1
	s_or_b32 exec_lo, exec_lo, s5
.LBB183_90:                             ;   in Loop: Header=BB183_91 Depth=1
	s_or_b32 exec_lo, exec_lo, s4
	v_and_b32_e32 v5, 0x3fffffff, v1
	v_cmp_gt_i32_e64 s0, -2.0, v1
	v_add_nc_u32_e32 v10, v5, v10
	s_and_b32 s4, exec_lo, s0
	s_or_b32 s2, s4, s2
	s_andn2_b32 exec_lo, exec_lo, s2
	s_cbranch_execz .LBB183_96
.LBB183_91:                             ; =>This Loop Header: Depth=1
                                        ;     Child Loop BB183_94 Depth 2
	s_or_b32 s0, s0, exec_lo
	s_cmp_eq_u32 s3, 0
	s_cbranch_scc1 .LBB183_95
; %bb.92:                               ;   in Loop: Header=BB183_91 Depth=1
	s_add_i32 s3, s3, -1
	s_mov_b32 s4, exec_lo
	v_lshl_or_b32 v1, s3, 8, v0
	v_lshlrev_b64 v[5:6], 2, v[1:2]
	v_add_co_u32 v5, s0, s14, v5
	v_add_co_ci_u32_e64 v6, null, s15, v6, s0
	global_load_dword v1, v[5:6], off glc dlc
	s_waitcnt vmcnt(0)
	v_cmpx_gt_u32_e32 2.0, v1
	s_cbranch_execz .LBB183_90
; %bb.93:                               ;   in Loop: Header=BB183_91 Depth=1
	s_mov_b32 s5, 0
.LBB183_94:                             ;   Parent Loop BB183_91 Depth=1
                                        ; =>  This Inner Loop Header: Depth=2
	global_load_dword v1, v[5:6], off glc dlc
	s_waitcnt vmcnt(0)
	v_cmp_lt_u32_e64 s0, 0x3fffffff, v1
	s_or_b32 s5, s0, s5
	s_andn2_b32 exec_lo, exec_lo, s5
	s_cbranch_execnz .LBB183_94
	s_branch .LBB183_89
.LBB183_95:                             ;   in Loop: Header=BB183_91 Depth=1
                                        ; implicit-def: $sgpr3
	s_and_b32 s4, exec_lo, s0
	s_or_b32 s2, s4, s2
	s_andn2_b32 exec_lo, exec_lo, s2
	s_cbranch_execnz .LBB183_91
.LBB183_96:
	s_or_b32 exec_lo, exec_lo, s2
	v_add_nc_u32_e32 v1, v10, v8
	v_sub_nc_u32_e32 v2, v10, v7
	v_or_b32_e32 v1, 0x80000000, v1
	global_store_dword v[3:4], v1, off
	global_load_dword v1, v17, s[24:25]
	s_waitcnt vmcnt(0)
	v_add_nc_u32_e32 v1, v2, v1
	ds_write_b32 v17, v1
.LBB183_97:
	s_or_b32 exec_lo, exec_lo, s1
	s_waitcnt lgkmcnt(0)
	s_waitcnt_vscnt null, 0x0
	s_barrier
	buffer_gl0_inv
	ds_read2st64_b32 v[1:2], v17 offset0:4 offset1:20
	ds_read2st64_b32 v[3:4], v17 offset0:36 offset1:52
	v_or_b32_e32 v28, 0x400, v0
	v_or_b32_e32 v29, 0x800, v0
	v_lshlrev_b32_e32 v12, 3, v18
	v_lshlrev_b32_e32 v24, 3, v9
	s_lshl_b64 s[0:1], s[8:9], 3
	v_or_b32_e32 v30, 0xc00, v0
	s_add_u32 s0, s20, s0
	s_addc_u32 s1, s21, s1
	v_add_co_u32 v25, s0, s0, v12
	v_add_co_ci_u32_e64 v31, null, s1, 0, s0
	v_min_u32_e32 v16, 0x1000, v16
	v_min_u32_e32 v15, 0x1000, v15
	;; [unrolled: 1-line block ×3, first 2 shown]
	s_add_i32 s7, s7, -1
	v_lshlrev_b32_e32 v16, 3, v16
	s_waitcnt lgkmcnt(1)
	v_lshrrev_b32_e32 v5, s28, v1
	v_lshrrev_b32_e32 v6, s28, v2
	v_lshlrev_b32_e32 v15, 3, v15
	v_lshlrev_b32_e32 v14, 3, v14
	s_cmp_eq_u32 s33, s7
	v_and_b32_e32 v5, s10, v5
	v_lshlrev_b32_e32 v13, 2, v5
	v_and_b32_e32 v5, s10, v6
	s_waitcnt lgkmcnt(0)
	v_lshrrev_b32_e32 v6, s28, v3
	ds_read_b32 v10, v13
	v_lshlrev_b32_e32 v20, 2, v5
	v_and_b32_e32 v5, s10, v6
	v_lshrrev_b32_e32 v6, s28, v4
	ds_read_b32 v11, v20
	v_lshlrev_b32_e32 v26, 2, v5
	v_and_b32_e32 v5, s10, v6
	v_mov_b32_e32 v6, 0
	ds_read_b32 v19, v26
	v_lshlrev_b32_e32 v27, 2, v5
	ds_read_b32 v22, v27
	s_waitcnt lgkmcnt(3)
	v_add_nc_u32_e32 v5, v10, v0
	v_lshlrev_b64 v[9:10], 2, v[5:6]
	s_waitcnt lgkmcnt(2)
	v_add_nc_u32_e32 v5, v11, v28
	v_lshlrev_b64 v[11:12], 2, v[5:6]
	s_waitcnt lgkmcnt(1)
	v_add_nc_u32_e32 v5, v19, v29
	v_add_co_u32 v9, s0, s18, v9
	v_add_co_ci_u32_e64 v10, null, s19, v10, s0
	v_lshlrev_b64 v[18:19], 2, v[5:6]
	s_waitcnt lgkmcnt(0)
	v_add_nc_u32_e32 v5, v22, v30
	v_add_co_u32 v11, s0, s18, v11
	v_add_co_ci_u32_e64 v12, null, s19, v12, s0
	v_lshlrev_b64 v[22:23], 2, v[5:6]
	v_add_co_u32 v18, s0, s18, v18
	v_add_co_ci_u32_e64 v19, null, s19, v19, s0
	v_min_u32_e32 v5, 0x1000, v21
	v_add_co_u32 v22, s0, s18, v22
	v_add_co_ci_u32_e64 v23, null, s19, v23, s0
	v_add_co_u32 v24, s0, v25, v24
	v_add_co_ci_u32_e64 v25, null, 0, v31, s0
	global_store_dword v[9:10], v1, off
	global_store_dword v[11:12], v2, off
	;; [unrolled: 1-line block ×4, first 2 shown]
	s_clause 0x3
	global_load_dwordx2 v[1:2], v[24:25], off
	global_load_dwordx2 v[3:4], v[24:25], off offset:256
	global_load_dwordx2 v[9:10], v[24:25], off offset:512
	;; [unrolled: 1-line block ×3, first 2 shown]
	v_lshlrev_b32_e32 v5, 3, v5
	s_waitcnt vmcnt(0)
	s_waitcnt_vscnt null, 0x0
	s_barrier
	buffer_gl0_inv
	ds_write_b64 v5, v[1:2] offset:1024
	ds_write_b64 v16, v[3:4] offset:1024
	;; [unrolled: 1-line block ×4, first 2 shown]
	s_waitcnt lgkmcnt(0)
	s_barrier
	buffer_gl0_inv
	ds_read_b32 v1, v13
	ds_read_b32 v4, v20
	;; [unrolled: 1-line block ×4, first 2 shown]
	v_add_nc_u32_e32 v9, v17, v17
	s_waitcnt lgkmcnt(3)
	v_add_nc_u32_e32 v5, v1, v0
	ds_read2st64_b64 v[0:3], v9 offset0:2 offset1:18
	ds_read2st64_b64 v[9:12], v9 offset0:34 offset1:50
	v_lshlrev_b64 v[13:14], 3, v[5:6]
	s_waitcnt lgkmcnt(4)
	v_add_nc_u32_e32 v5, v4, v28
	v_lshlrev_b64 v[15:16], 3, v[5:6]
	s_waitcnt lgkmcnt(3)
	v_add_nc_u32_e32 v5, v18, v29
	v_add_co_u32 v13, s0, s22, v13
	v_add_co_ci_u32_e64 v14, null, s23, v14, s0
	v_lshlrev_b64 v[18:19], 3, v[5:6]
	s_waitcnt lgkmcnt(2)
	v_add_nc_u32_e32 v5, v20, v30
	v_add_co_u32 v15, s0, s22, v15
	v_add_co_ci_u32_e64 v16, null, s23, v16, s0
	s_waitcnt lgkmcnt(1)
	global_store_dwordx2 v[13:14], v[0:1], off
	v_lshlrev_b64 v[0:1], 3, v[5:6]
	global_store_dwordx2 v[15:16], v[2:3], off
	v_add_co_u32 v2, s0, s22, v18
	v_add_co_ci_u32_e64 v3, null, s23, v19, s0
	v_add_co_u32 v0, s0, s22, v0
	v_add_co_ci_u32_e64 v1, null, s23, v1, s0
	s_cselect_b32 s0, -1, 0
	s_xor_b32 s1, vcc_lo, -1
	s_waitcnt lgkmcnt(0)
	global_store_dwordx2 v[2:3], v[9:10], off
	s_and_b32 s0, s1, s0
	global_store_dwordx2 v[0:1], v[11:12], off
	s_and_saveexec_b32 s1, s0
	s_cbranch_execz .LBB183_99
; %bb.98:
	ds_read_b32 v0, v17
	s_waitcnt lgkmcnt(0)
	v_add3_u32 v0, v7, v8, v0
	global_store_dword v17, v0, s[26:27]
.LBB183_99:
	s_endpgm
	.section	.rodata,"a",@progbits
	.p2align	6, 0x0
	.amdhsa_kernel _ZN7rocprim17ROCPRIM_400000_NS6detail17trampoline_kernelINS0_14default_configENS1_35radix_sort_onesweep_config_selectorIjN6thrust23THRUST_200600_302600_NS5tupleIffNS6_9null_typeES8_S8_S8_S8_S8_S8_S8_EEEEZZNS1_29radix_sort_onesweep_iterationIS3_Lb0ENS6_6detail15normal_iteratorINS6_10device_ptrIjEEEESG_NSD_INSE_IS9_EEEESI_jNS0_19identity_decomposerENS1_16block_id_wrapperIjLb1EEEEE10hipError_tT1_PNSt15iterator_traitsISN_E10value_typeET2_T3_PNSO_IST_E10value_typeET4_T5_PSY_SZ_PNS1_23onesweep_lookback_stateEbbT6_jjT7_P12ihipStream_tbENKUlT_T0_SN_SS_E_clISG_SG_SI_SI_EEDaS16_S17_SN_SS_EUlS16_E_NS1_11comp_targetILNS1_3genE8ELNS1_11target_archE1030ELNS1_3gpuE2ELNS1_3repE0EEENS1_47radix_sort_onesweep_sort_config_static_selectorELNS0_4arch9wavefront6targetE0EEEvSN_
		.amdhsa_group_segment_fixed_size 37000
		.amdhsa_private_segment_fixed_size 0
		.amdhsa_kernarg_size 344
		.amdhsa_user_sgpr_count 6
		.amdhsa_user_sgpr_private_segment_buffer 1
		.amdhsa_user_sgpr_dispatch_ptr 0
		.amdhsa_user_sgpr_queue_ptr 0
		.amdhsa_user_sgpr_kernarg_segment_ptr 1
		.amdhsa_user_sgpr_dispatch_id 0
		.amdhsa_user_sgpr_flat_scratch_init 0
		.amdhsa_user_sgpr_private_segment_size 0
		.amdhsa_wavefront_size32 1
		.amdhsa_uses_dynamic_stack 0
		.amdhsa_system_sgpr_private_segment_wavefront_offset 0
		.amdhsa_system_sgpr_workgroup_id_x 1
		.amdhsa_system_sgpr_workgroup_id_y 0
		.amdhsa_system_sgpr_workgroup_id_z 0
		.amdhsa_system_sgpr_workgroup_info 0
		.amdhsa_system_vgpr_workitem_id 2
		.amdhsa_next_free_vgpr 35
		.amdhsa_next_free_sgpr 38
		.amdhsa_reserve_vcc 1
		.amdhsa_reserve_flat_scratch 0
		.amdhsa_float_round_mode_32 0
		.amdhsa_float_round_mode_16_64 0
		.amdhsa_float_denorm_mode_32 3
		.amdhsa_float_denorm_mode_16_64 3
		.amdhsa_dx10_clamp 1
		.amdhsa_ieee_mode 1
		.amdhsa_fp16_overflow 0
		.amdhsa_workgroup_processor_mode 1
		.amdhsa_memory_ordered 1
		.amdhsa_forward_progress 1
		.amdhsa_shared_vgpr_count 0
		.amdhsa_exception_fp_ieee_invalid_op 0
		.amdhsa_exception_fp_denorm_src 0
		.amdhsa_exception_fp_ieee_div_zero 0
		.amdhsa_exception_fp_ieee_overflow 0
		.amdhsa_exception_fp_ieee_underflow 0
		.amdhsa_exception_fp_ieee_inexact 0
		.amdhsa_exception_int_div_zero 0
	.end_amdhsa_kernel
	.section	.text._ZN7rocprim17ROCPRIM_400000_NS6detail17trampoline_kernelINS0_14default_configENS1_35radix_sort_onesweep_config_selectorIjN6thrust23THRUST_200600_302600_NS5tupleIffNS6_9null_typeES8_S8_S8_S8_S8_S8_S8_EEEEZZNS1_29radix_sort_onesweep_iterationIS3_Lb0ENS6_6detail15normal_iteratorINS6_10device_ptrIjEEEESG_NSD_INSE_IS9_EEEESI_jNS0_19identity_decomposerENS1_16block_id_wrapperIjLb1EEEEE10hipError_tT1_PNSt15iterator_traitsISN_E10value_typeET2_T3_PNSO_IST_E10value_typeET4_T5_PSY_SZ_PNS1_23onesweep_lookback_stateEbbT6_jjT7_P12ihipStream_tbENKUlT_T0_SN_SS_E_clISG_SG_SI_SI_EEDaS16_S17_SN_SS_EUlS16_E_NS1_11comp_targetILNS1_3genE8ELNS1_11target_archE1030ELNS1_3gpuE2ELNS1_3repE0EEENS1_47radix_sort_onesweep_sort_config_static_selectorELNS0_4arch9wavefront6targetE0EEEvSN_,"axG",@progbits,_ZN7rocprim17ROCPRIM_400000_NS6detail17trampoline_kernelINS0_14default_configENS1_35radix_sort_onesweep_config_selectorIjN6thrust23THRUST_200600_302600_NS5tupleIffNS6_9null_typeES8_S8_S8_S8_S8_S8_S8_EEEEZZNS1_29radix_sort_onesweep_iterationIS3_Lb0ENS6_6detail15normal_iteratorINS6_10device_ptrIjEEEESG_NSD_INSE_IS9_EEEESI_jNS0_19identity_decomposerENS1_16block_id_wrapperIjLb1EEEEE10hipError_tT1_PNSt15iterator_traitsISN_E10value_typeET2_T3_PNSO_IST_E10value_typeET4_T5_PSY_SZ_PNS1_23onesweep_lookback_stateEbbT6_jjT7_P12ihipStream_tbENKUlT_T0_SN_SS_E_clISG_SG_SI_SI_EEDaS16_S17_SN_SS_EUlS16_E_NS1_11comp_targetILNS1_3genE8ELNS1_11target_archE1030ELNS1_3gpuE2ELNS1_3repE0EEENS1_47radix_sort_onesweep_sort_config_static_selectorELNS0_4arch9wavefront6targetE0EEEvSN_,comdat
.Lfunc_end183:
	.size	_ZN7rocprim17ROCPRIM_400000_NS6detail17trampoline_kernelINS0_14default_configENS1_35radix_sort_onesweep_config_selectorIjN6thrust23THRUST_200600_302600_NS5tupleIffNS6_9null_typeES8_S8_S8_S8_S8_S8_S8_EEEEZZNS1_29radix_sort_onesweep_iterationIS3_Lb0ENS6_6detail15normal_iteratorINS6_10device_ptrIjEEEESG_NSD_INSE_IS9_EEEESI_jNS0_19identity_decomposerENS1_16block_id_wrapperIjLb1EEEEE10hipError_tT1_PNSt15iterator_traitsISN_E10value_typeET2_T3_PNSO_IST_E10value_typeET4_T5_PSY_SZ_PNS1_23onesweep_lookback_stateEbbT6_jjT7_P12ihipStream_tbENKUlT_T0_SN_SS_E_clISG_SG_SI_SI_EEDaS16_S17_SN_SS_EUlS16_E_NS1_11comp_targetILNS1_3genE8ELNS1_11target_archE1030ELNS1_3gpuE2ELNS1_3repE0EEENS1_47radix_sort_onesweep_sort_config_static_selectorELNS0_4arch9wavefront6targetE0EEEvSN_, .Lfunc_end183-_ZN7rocprim17ROCPRIM_400000_NS6detail17trampoline_kernelINS0_14default_configENS1_35radix_sort_onesweep_config_selectorIjN6thrust23THRUST_200600_302600_NS5tupleIffNS6_9null_typeES8_S8_S8_S8_S8_S8_S8_EEEEZZNS1_29radix_sort_onesweep_iterationIS3_Lb0ENS6_6detail15normal_iteratorINS6_10device_ptrIjEEEESG_NSD_INSE_IS9_EEEESI_jNS0_19identity_decomposerENS1_16block_id_wrapperIjLb1EEEEE10hipError_tT1_PNSt15iterator_traitsISN_E10value_typeET2_T3_PNSO_IST_E10value_typeET4_T5_PSY_SZ_PNS1_23onesweep_lookback_stateEbbT6_jjT7_P12ihipStream_tbENKUlT_T0_SN_SS_E_clISG_SG_SI_SI_EEDaS16_S17_SN_SS_EUlS16_E_NS1_11comp_targetILNS1_3genE8ELNS1_11target_archE1030ELNS1_3gpuE2ELNS1_3repE0EEENS1_47radix_sort_onesweep_sort_config_static_selectorELNS0_4arch9wavefront6targetE0EEEvSN_
                                        ; -- End function
	.set _ZN7rocprim17ROCPRIM_400000_NS6detail17trampoline_kernelINS0_14default_configENS1_35radix_sort_onesweep_config_selectorIjN6thrust23THRUST_200600_302600_NS5tupleIffNS6_9null_typeES8_S8_S8_S8_S8_S8_S8_EEEEZZNS1_29radix_sort_onesweep_iterationIS3_Lb0ENS6_6detail15normal_iteratorINS6_10device_ptrIjEEEESG_NSD_INSE_IS9_EEEESI_jNS0_19identity_decomposerENS1_16block_id_wrapperIjLb1EEEEE10hipError_tT1_PNSt15iterator_traitsISN_E10value_typeET2_T3_PNSO_IST_E10value_typeET4_T5_PSY_SZ_PNS1_23onesweep_lookback_stateEbbT6_jjT7_P12ihipStream_tbENKUlT_T0_SN_SS_E_clISG_SG_SI_SI_EEDaS16_S17_SN_SS_EUlS16_E_NS1_11comp_targetILNS1_3genE8ELNS1_11target_archE1030ELNS1_3gpuE2ELNS1_3repE0EEENS1_47radix_sort_onesweep_sort_config_static_selectorELNS0_4arch9wavefront6targetE0EEEvSN_.num_vgpr, 35
	.set _ZN7rocprim17ROCPRIM_400000_NS6detail17trampoline_kernelINS0_14default_configENS1_35radix_sort_onesweep_config_selectorIjN6thrust23THRUST_200600_302600_NS5tupleIffNS6_9null_typeES8_S8_S8_S8_S8_S8_S8_EEEEZZNS1_29radix_sort_onesweep_iterationIS3_Lb0ENS6_6detail15normal_iteratorINS6_10device_ptrIjEEEESG_NSD_INSE_IS9_EEEESI_jNS0_19identity_decomposerENS1_16block_id_wrapperIjLb1EEEEE10hipError_tT1_PNSt15iterator_traitsISN_E10value_typeET2_T3_PNSO_IST_E10value_typeET4_T5_PSY_SZ_PNS1_23onesweep_lookback_stateEbbT6_jjT7_P12ihipStream_tbENKUlT_T0_SN_SS_E_clISG_SG_SI_SI_EEDaS16_S17_SN_SS_EUlS16_E_NS1_11comp_targetILNS1_3genE8ELNS1_11target_archE1030ELNS1_3gpuE2ELNS1_3repE0EEENS1_47radix_sort_onesweep_sort_config_static_selectorELNS0_4arch9wavefront6targetE0EEEvSN_.num_agpr, 0
	.set _ZN7rocprim17ROCPRIM_400000_NS6detail17trampoline_kernelINS0_14default_configENS1_35radix_sort_onesweep_config_selectorIjN6thrust23THRUST_200600_302600_NS5tupleIffNS6_9null_typeES8_S8_S8_S8_S8_S8_S8_EEEEZZNS1_29radix_sort_onesweep_iterationIS3_Lb0ENS6_6detail15normal_iteratorINS6_10device_ptrIjEEEESG_NSD_INSE_IS9_EEEESI_jNS0_19identity_decomposerENS1_16block_id_wrapperIjLb1EEEEE10hipError_tT1_PNSt15iterator_traitsISN_E10value_typeET2_T3_PNSO_IST_E10value_typeET4_T5_PSY_SZ_PNS1_23onesweep_lookback_stateEbbT6_jjT7_P12ihipStream_tbENKUlT_T0_SN_SS_E_clISG_SG_SI_SI_EEDaS16_S17_SN_SS_EUlS16_E_NS1_11comp_targetILNS1_3genE8ELNS1_11target_archE1030ELNS1_3gpuE2ELNS1_3repE0EEENS1_47radix_sort_onesweep_sort_config_static_selectorELNS0_4arch9wavefront6targetE0EEEvSN_.numbered_sgpr, 38
	.set _ZN7rocprim17ROCPRIM_400000_NS6detail17trampoline_kernelINS0_14default_configENS1_35radix_sort_onesweep_config_selectorIjN6thrust23THRUST_200600_302600_NS5tupleIffNS6_9null_typeES8_S8_S8_S8_S8_S8_S8_EEEEZZNS1_29radix_sort_onesweep_iterationIS3_Lb0ENS6_6detail15normal_iteratorINS6_10device_ptrIjEEEESG_NSD_INSE_IS9_EEEESI_jNS0_19identity_decomposerENS1_16block_id_wrapperIjLb1EEEEE10hipError_tT1_PNSt15iterator_traitsISN_E10value_typeET2_T3_PNSO_IST_E10value_typeET4_T5_PSY_SZ_PNS1_23onesweep_lookback_stateEbbT6_jjT7_P12ihipStream_tbENKUlT_T0_SN_SS_E_clISG_SG_SI_SI_EEDaS16_S17_SN_SS_EUlS16_E_NS1_11comp_targetILNS1_3genE8ELNS1_11target_archE1030ELNS1_3gpuE2ELNS1_3repE0EEENS1_47radix_sort_onesweep_sort_config_static_selectorELNS0_4arch9wavefront6targetE0EEEvSN_.num_named_barrier, 0
	.set _ZN7rocprim17ROCPRIM_400000_NS6detail17trampoline_kernelINS0_14default_configENS1_35radix_sort_onesweep_config_selectorIjN6thrust23THRUST_200600_302600_NS5tupleIffNS6_9null_typeES8_S8_S8_S8_S8_S8_S8_EEEEZZNS1_29radix_sort_onesweep_iterationIS3_Lb0ENS6_6detail15normal_iteratorINS6_10device_ptrIjEEEESG_NSD_INSE_IS9_EEEESI_jNS0_19identity_decomposerENS1_16block_id_wrapperIjLb1EEEEE10hipError_tT1_PNSt15iterator_traitsISN_E10value_typeET2_T3_PNSO_IST_E10value_typeET4_T5_PSY_SZ_PNS1_23onesweep_lookback_stateEbbT6_jjT7_P12ihipStream_tbENKUlT_T0_SN_SS_E_clISG_SG_SI_SI_EEDaS16_S17_SN_SS_EUlS16_E_NS1_11comp_targetILNS1_3genE8ELNS1_11target_archE1030ELNS1_3gpuE2ELNS1_3repE0EEENS1_47radix_sort_onesweep_sort_config_static_selectorELNS0_4arch9wavefront6targetE0EEEvSN_.private_seg_size, 0
	.set _ZN7rocprim17ROCPRIM_400000_NS6detail17trampoline_kernelINS0_14default_configENS1_35radix_sort_onesweep_config_selectorIjN6thrust23THRUST_200600_302600_NS5tupleIffNS6_9null_typeES8_S8_S8_S8_S8_S8_S8_EEEEZZNS1_29radix_sort_onesweep_iterationIS3_Lb0ENS6_6detail15normal_iteratorINS6_10device_ptrIjEEEESG_NSD_INSE_IS9_EEEESI_jNS0_19identity_decomposerENS1_16block_id_wrapperIjLb1EEEEE10hipError_tT1_PNSt15iterator_traitsISN_E10value_typeET2_T3_PNSO_IST_E10value_typeET4_T5_PSY_SZ_PNS1_23onesweep_lookback_stateEbbT6_jjT7_P12ihipStream_tbENKUlT_T0_SN_SS_E_clISG_SG_SI_SI_EEDaS16_S17_SN_SS_EUlS16_E_NS1_11comp_targetILNS1_3genE8ELNS1_11target_archE1030ELNS1_3gpuE2ELNS1_3repE0EEENS1_47radix_sort_onesweep_sort_config_static_selectorELNS0_4arch9wavefront6targetE0EEEvSN_.uses_vcc, 1
	.set _ZN7rocprim17ROCPRIM_400000_NS6detail17trampoline_kernelINS0_14default_configENS1_35radix_sort_onesweep_config_selectorIjN6thrust23THRUST_200600_302600_NS5tupleIffNS6_9null_typeES8_S8_S8_S8_S8_S8_S8_EEEEZZNS1_29radix_sort_onesweep_iterationIS3_Lb0ENS6_6detail15normal_iteratorINS6_10device_ptrIjEEEESG_NSD_INSE_IS9_EEEESI_jNS0_19identity_decomposerENS1_16block_id_wrapperIjLb1EEEEE10hipError_tT1_PNSt15iterator_traitsISN_E10value_typeET2_T3_PNSO_IST_E10value_typeET4_T5_PSY_SZ_PNS1_23onesweep_lookback_stateEbbT6_jjT7_P12ihipStream_tbENKUlT_T0_SN_SS_E_clISG_SG_SI_SI_EEDaS16_S17_SN_SS_EUlS16_E_NS1_11comp_targetILNS1_3genE8ELNS1_11target_archE1030ELNS1_3gpuE2ELNS1_3repE0EEENS1_47radix_sort_onesweep_sort_config_static_selectorELNS0_4arch9wavefront6targetE0EEEvSN_.uses_flat_scratch, 0
	.set _ZN7rocprim17ROCPRIM_400000_NS6detail17trampoline_kernelINS0_14default_configENS1_35radix_sort_onesweep_config_selectorIjN6thrust23THRUST_200600_302600_NS5tupleIffNS6_9null_typeES8_S8_S8_S8_S8_S8_S8_EEEEZZNS1_29radix_sort_onesweep_iterationIS3_Lb0ENS6_6detail15normal_iteratorINS6_10device_ptrIjEEEESG_NSD_INSE_IS9_EEEESI_jNS0_19identity_decomposerENS1_16block_id_wrapperIjLb1EEEEE10hipError_tT1_PNSt15iterator_traitsISN_E10value_typeET2_T3_PNSO_IST_E10value_typeET4_T5_PSY_SZ_PNS1_23onesweep_lookback_stateEbbT6_jjT7_P12ihipStream_tbENKUlT_T0_SN_SS_E_clISG_SG_SI_SI_EEDaS16_S17_SN_SS_EUlS16_E_NS1_11comp_targetILNS1_3genE8ELNS1_11target_archE1030ELNS1_3gpuE2ELNS1_3repE0EEENS1_47radix_sort_onesweep_sort_config_static_selectorELNS0_4arch9wavefront6targetE0EEEvSN_.has_dyn_sized_stack, 0
	.set _ZN7rocprim17ROCPRIM_400000_NS6detail17trampoline_kernelINS0_14default_configENS1_35radix_sort_onesweep_config_selectorIjN6thrust23THRUST_200600_302600_NS5tupleIffNS6_9null_typeES8_S8_S8_S8_S8_S8_S8_EEEEZZNS1_29radix_sort_onesweep_iterationIS3_Lb0ENS6_6detail15normal_iteratorINS6_10device_ptrIjEEEESG_NSD_INSE_IS9_EEEESI_jNS0_19identity_decomposerENS1_16block_id_wrapperIjLb1EEEEE10hipError_tT1_PNSt15iterator_traitsISN_E10value_typeET2_T3_PNSO_IST_E10value_typeET4_T5_PSY_SZ_PNS1_23onesweep_lookback_stateEbbT6_jjT7_P12ihipStream_tbENKUlT_T0_SN_SS_E_clISG_SG_SI_SI_EEDaS16_S17_SN_SS_EUlS16_E_NS1_11comp_targetILNS1_3genE8ELNS1_11target_archE1030ELNS1_3gpuE2ELNS1_3repE0EEENS1_47radix_sort_onesweep_sort_config_static_selectorELNS0_4arch9wavefront6targetE0EEEvSN_.has_recursion, 0
	.set _ZN7rocprim17ROCPRIM_400000_NS6detail17trampoline_kernelINS0_14default_configENS1_35radix_sort_onesweep_config_selectorIjN6thrust23THRUST_200600_302600_NS5tupleIffNS6_9null_typeES8_S8_S8_S8_S8_S8_S8_EEEEZZNS1_29radix_sort_onesweep_iterationIS3_Lb0ENS6_6detail15normal_iteratorINS6_10device_ptrIjEEEESG_NSD_INSE_IS9_EEEESI_jNS0_19identity_decomposerENS1_16block_id_wrapperIjLb1EEEEE10hipError_tT1_PNSt15iterator_traitsISN_E10value_typeET2_T3_PNSO_IST_E10value_typeET4_T5_PSY_SZ_PNS1_23onesweep_lookback_stateEbbT6_jjT7_P12ihipStream_tbENKUlT_T0_SN_SS_E_clISG_SG_SI_SI_EEDaS16_S17_SN_SS_EUlS16_E_NS1_11comp_targetILNS1_3genE8ELNS1_11target_archE1030ELNS1_3gpuE2ELNS1_3repE0EEENS1_47radix_sort_onesweep_sort_config_static_selectorELNS0_4arch9wavefront6targetE0EEEvSN_.has_indirect_call, 0
	.section	.AMDGPU.csdata,"",@progbits
; Kernel info:
; codeLenInByte = 7812
; TotalNumSgprs: 40
; NumVgprs: 35
; ScratchSize: 0
; MemoryBound: 0
; FloatMode: 240
; IeeeMode: 1
; LDSByteSize: 37000 bytes/workgroup (compile time only)
; SGPRBlocks: 0
; VGPRBlocks: 4
; NumSGPRsForWavesPerEU: 40
; NumVGPRsForWavesPerEU: 35
; Occupancy: 16
; WaveLimiterHint : 1
; COMPUTE_PGM_RSRC2:SCRATCH_EN: 0
; COMPUTE_PGM_RSRC2:USER_SGPR: 6
; COMPUTE_PGM_RSRC2:TRAP_HANDLER: 0
; COMPUTE_PGM_RSRC2:TGID_X_EN: 1
; COMPUTE_PGM_RSRC2:TGID_Y_EN: 0
; COMPUTE_PGM_RSRC2:TGID_Z_EN: 0
; COMPUTE_PGM_RSRC2:TIDIG_COMP_CNT: 2
	.section	.text._ZN7rocprim17ROCPRIM_400000_NS6detail17trampoline_kernelINS0_14default_configENS1_35radix_sort_onesweep_config_selectorIjN6thrust23THRUST_200600_302600_NS5tupleIffNS6_9null_typeES8_S8_S8_S8_S8_S8_S8_EEEEZZNS1_29radix_sort_onesweep_iterationIS3_Lb0ENS6_6detail15normal_iteratorINS6_10device_ptrIjEEEESG_NSD_INSE_IS9_EEEESI_jNS0_19identity_decomposerENS1_16block_id_wrapperIjLb1EEEEE10hipError_tT1_PNSt15iterator_traitsISN_E10value_typeET2_T3_PNSO_IST_E10value_typeET4_T5_PSY_SZ_PNS1_23onesweep_lookback_stateEbbT6_jjT7_P12ihipStream_tbENKUlT_T0_SN_SS_E_clISG_PjSI_PS9_EEDaS16_S17_SN_SS_EUlS16_E_NS1_11comp_targetILNS1_3genE0ELNS1_11target_archE4294967295ELNS1_3gpuE0ELNS1_3repE0EEENS1_47radix_sort_onesweep_sort_config_static_selectorELNS0_4arch9wavefront6targetE0EEEvSN_,"axG",@progbits,_ZN7rocprim17ROCPRIM_400000_NS6detail17trampoline_kernelINS0_14default_configENS1_35radix_sort_onesweep_config_selectorIjN6thrust23THRUST_200600_302600_NS5tupleIffNS6_9null_typeES8_S8_S8_S8_S8_S8_S8_EEEEZZNS1_29radix_sort_onesweep_iterationIS3_Lb0ENS6_6detail15normal_iteratorINS6_10device_ptrIjEEEESG_NSD_INSE_IS9_EEEESI_jNS0_19identity_decomposerENS1_16block_id_wrapperIjLb1EEEEE10hipError_tT1_PNSt15iterator_traitsISN_E10value_typeET2_T3_PNSO_IST_E10value_typeET4_T5_PSY_SZ_PNS1_23onesweep_lookback_stateEbbT6_jjT7_P12ihipStream_tbENKUlT_T0_SN_SS_E_clISG_PjSI_PS9_EEDaS16_S17_SN_SS_EUlS16_E_NS1_11comp_targetILNS1_3genE0ELNS1_11target_archE4294967295ELNS1_3gpuE0ELNS1_3repE0EEENS1_47radix_sort_onesweep_sort_config_static_selectorELNS0_4arch9wavefront6targetE0EEEvSN_,comdat
	.protected	_ZN7rocprim17ROCPRIM_400000_NS6detail17trampoline_kernelINS0_14default_configENS1_35radix_sort_onesweep_config_selectorIjN6thrust23THRUST_200600_302600_NS5tupleIffNS6_9null_typeES8_S8_S8_S8_S8_S8_S8_EEEEZZNS1_29radix_sort_onesweep_iterationIS3_Lb0ENS6_6detail15normal_iteratorINS6_10device_ptrIjEEEESG_NSD_INSE_IS9_EEEESI_jNS0_19identity_decomposerENS1_16block_id_wrapperIjLb1EEEEE10hipError_tT1_PNSt15iterator_traitsISN_E10value_typeET2_T3_PNSO_IST_E10value_typeET4_T5_PSY_SZ_PNS1_23onesweep_lookback_stateEbbT6_jjT7_P12ihipStream_tbENKUlT_T0_SN_SS_E_clISG_PjSI_PS9_EEDaS16_S17_SN_SS_EUlS16_E_NS1_11comp_targetILNS1_3genE0ELNS1_11target_archE4294967295ELNS1_3gpuE0ELNS1_3repE0EEENS1_47radix_sort_onesweep_sort_config_static_selectorELNS0_4arch9wavefront6targetE0EEEvSN_ ; -- Begin function _ZN7rocprim17ROCPRIM_400000_NS6detail17trampoline_kernelINS0_14default_configENS1_35radix_sort_onesweep_config_selectorIjN6thrust23THRUST_200600_302600_NS5tupleIffNS6_9null_typeES8_S8_S8_S8_S8_S8_S8_EEEEZZNS1_29radix_sort_onesweep_iterationIS3_Lb0ENS6_6detail15normal_iteratorINS6_10device_ptrIjEEEESG_NSD_INSE_IS9_EEEESI_jNS0_19identity_decomposerENS1_16block_id_wrapperIjLb1EEEEE10hipError_tT1_PNSt15iterator_traitsISN_E10value_typeET2_T3_PNSO_IST_E10value_typeET4_T5_PSY_SZ_PNS1_23onesweep_lookback_stateEbbT6_jjT7_P12ihipStream_tbENKUlT_T0_SN_SS_E_clISG_PjSI_PS9_EEDaS16_S17_SN_SS_EUlS16_E_NS1_11comp_targetILNS1_3genE0ELNS1_11target_archE4294967295ELNS1_3gpuE0ELNS1_3repE0EEENS1_47radix_sort_onesweep_sort_config_static_selectorELNS0_4arch9wavefront6targetE0EEEvSN_
	.globl	_ZN7rocprim17ROCPRIM_400000_NS6detail17trampoline_kernelINS0_14default_configENS1_35radix_sort_onesweep_config_selectorIjN6thrust23THRUST_200600_302600_NS5tupleIffNS6_9null_typeES8_S8_S8_S8_S8_S8_S8_EEEEZZNS1_29radix_sort_onesweep_iterationIS3_Lb0ENS6_6detail15normal_iteratorINS6_10device_ptrIjEEEESG_NSD_INSE_IS9_EEEESI_jNS0_19identity_decomposerENS1_16block_id_wrapperIjLb1EEEEE10hipError_tT1_PNSt15iterator_traitsISN_E10value_typeET2_T3_PNSO_IST_E10value_typeET4_T5_PSY_SZ_PNS1_23onesweep_lookback_stateEbbT6_jjT7_P12ihipStream_tbENKUlT_T0_SN_SS_E_clISG_PjSI_PS9_EEDaS16_S17_SN_SS_EUlS16_E_NS1_11comp_targetILNS1_3genE0ELNS1_11target_archE4294967295ELNS1_3gpuE0ELNS1_3repE0EEENS1_47radix_sort_onesweep_sort_config_static_selectorELNS0_4arch9wavefront6targetE0EEEvSN_
	.p2align	8
	.type	_ZN7rocprim17ROCPRIM_400000_NS6detail17trampoline_kernelINS0_14default_configENS1_35radix_sort_onesweep_config_selectorIjN6thrust23THRUST_200600_302600_NS5tupleIffNS6_9null_typeES8_S8_S8_S8_S8_S8_S8_EEEEZZNS1_29radix_sort_onesweep_iterationIS3_Lb0ENS6_6detail15normal_iteratorINS6_10device_ptrIjEEEESG_NSD_INSE_IS9_EEEESI_jNS0_19identity_decomposerENS1_16block_id_wrapperIjLb1EEEEE10hipError_tT1_PNSt15iterator_traitsISN_E10value_typeET2_T3_PNSO_IST_E10value_typeET4_T5_PSY_SZ_PNS1_23onesweep_lookback_stateEbbT6_jjT7_P12ihipStream_tbENKUlT_T0_SN_SS_E_clISG_PjSI_PS9_EEDaS16_S17_SN_SS_EUlS16_E_NS1_11comp_targetILNS1_3genE0ELNS1_11target_archE4294967295ELNS1_3gpuE0ELNS1_3repE0EEENS1_47radix_sort_onesweep_sort_config_static_selectorELNS0_4arch9wavefront6targetE0EEEvSN_,@function
_ZN7rocprim17ROCPRIM_400000_NS6detail17trampoline_kernelINS0_14default_configENS1_35radix_sort_onesweep_config_selectorIjN6thrust23THRUST_200600_302600_NS5tupleIffNS6_9null_typeES8_S8_S8_S8_S8_S8_S8_EEEEZZNS1_29radix_sort_onesweep_iterationIS3_Lb0ENS6_6detail15normal_iteratorINS6_10device_ptrIjEEEESG_NSD_INSE_IS9_EEEESI_jNS0_19identity_decomposerENS1_16block_id_wrapperIjLb1EEEEE10hipError_tT1_PNSt15iterator_traitsISN_E10value_typeET2_T3_PNSO_IST_E10value_typeET4_T5_PSY_SZ_PNS1_23onesweep_lookback_stateEbbT6_jjT7_P12ihipStream_tbENKUlT_T0_SN_SS_E_clISG_PjSI_PS9_EEDaS16_S17_SN_SS_EUlS16_E_NS1_11comp_targetILNS1_3genE0ELNS1_11target_archE4294967295ELNS1_3gpuE0ELNS1_3repE0EEENS1_47radix_sort_onesweep_sort_config_static_selectorELNS0_4arch9wavefront6targetE0EEEvSN_: ; @_ZN7rocprim17ROCPRIM_400000_NS6detail17trampoline_kernelINS0_14default_configENS1_35radix_sort_onesweep_config_selectorIjN6thrust23THRUST_200600_302600_NS5tupleIffNS6_9null_typeES8_S8_S8_S8_S8_S8_S8_EEEEZZNS1_29radix_sort_onesweep_iterationIS3_Lb0ENS6_6detail15normal_iteratorINS6_10device_ptrIjEEEESG_NSD_INSE_IS9_EEEESI_jNS0_19identity_decomposerENS1_16block_id_wrapperIjLb1EEEEE10hipError_tT1_PNSt15iterator_traitsISN_E10value_typeET2_T3_PNSO_IST_E10value_typeET4_T5_PSY_SZ_PNS1_23onesweep_lookback_stateEbbT6_jjT7_P12ihipStream_tbENKUlT_T0_SN_SS_E_clISG_PjSI_PS9_EEDaS16_S17_SN_SS_EUlS16_E_NS1_11comp_targetILNS1_3genE0ELNS1_11target_archE4294967295ELNS1_3gpuE0ELNS1_3repE0EEENS1_47radix_sort_onesweep_sort_config_static_selectorELNS0_4arch9wavefront6targetE0EEEvSN_
; %bb.0:
	.section	.rodata,"a",@progbits
	.p2align	6, 0x0
	.amdhsa_kernel _ZN7rocprim17ROCPRIM_400000_NS6detail17trampoline_kernelINS0_14default_configENS1_35radix_sort_onesweep_config_selectorIjN6thrust23THRUST_200600_302600_NS5tupleIffNS6_9null_typeES8_S8_S8_S8_S8_S8_S8_EEEEZZNS1_29radix_sort_onesweep_iterationIS3_Lb0ENS6_6detail15normal_iteratorINS6_10device_ptrIjEEEESG_NSD_INSE_IS9_EEEESI_jNS0_19identity_decomposerENS1_16block_id_wrapperIjLb1EEEEE10hipError_tT1_PNSt15iterator_traitsISN_E10value_typeET2_T3_PNSO_IST_E10value_typeET4_T5_PSY_SZ_PNS1_23onesweep_lookback_stateEbbT6_jjT7_P12ihipStream_tbENKUlT_T0_SN_SS_E_clISG_PjSI_PS9_EEDaS16_S17_SN_SS_EUlS16_E_NS1_11comp_targetILNS1_3genE0ELNS1_11target_archE4294967295ELNS1_3gpuE0ELNS1_3repE0EEENS1_47radix_sort_onesweep_sort_config_static_selectorELNS0_4arch9wavefront6targetE0EEEvSN_
		.amdhsa_group_segment_fixed_size 0
		.amdhsa_private_segment_fixed_size 0
		.amdhsa_kernarg_size 88
		.amdhsa_user_sgpr_count 6
		.amdhsa_user_sgpr_private_segment_buffer 1
		.amdhsa_user_sgpr_dispatch_ptr 0
		.amdhsa_user_sgpr_queue_ptr 0
		.amdhsa_user_sgpr_kernarg_segment_ptr 1
		.amdhsa_user_sgpr_dispatch_id 0
		.amdhsa_user_sgpr_flat_scratch_init 0
		.amdhsa_user_sgpr_private_segment_size 0
		.amdhsa_wavefront_size32 1
		.amdhsa_uses_dynamic_stack 0
		.amdhsa_system_sgpr_private_segment_wavefront_offset 0
		.amdhsa_system_sgpr_workgroup_id_x 1
		.amdhsa_system_sgpr_workgroup_id_y 0
		.amdhsa_system_sgpr_workgroup_id_z 0
		.amdhsa_system_sgpr_workgroup_info 0
		.amdhsa_system_vgpr_workitem_id 0
		.amdhsa_next_free_vgpr 1
		.amdhsa_next_free_sgpr 1
		.amdhsa_reserve_vcc 0
		.amdhsa_reserve_flat_scratch 0
		.amdhsa_float_round_mode_32 0
		.amdhsa_float_round_mode_16_64 0
		.amdhsa_float_denorm_mode_32 3
		.amdhsa_float_denorm_mode_16_64 3
		.amdhsa_dx10_clamp 1
		.amdhsa_ieee_mode 1
		.amdhsa_fp16_overflow 0
		.amdhsa_workgroup_processor_mode 1
		.amdhsa_memory_ordered 1
		.amdhsa_forward_progress 1
		.amdhsa_shared_vgpr_count 0
		.amdhsa_exception_fp_ieee_invalid_op 0
		.amdhsa_exception_fp_denorm_src 0
		.amdhsa_exception_fp_ieee_div_zero 0
		.amdhsa_exception_fp_ieee_overflow 0
		.amdhsa_exception_fp_ieee_underflow 0
		.amdhsa_exception_fp_ieee_inexact 0
		.amdhsa_exception_int_div_zero 0
	.end_amdhsa_kernel
	.section	.text._ZN7rocprim17ROCPRIM_400000_NS6detail17trampoline_kernelINS0_14default_configENS1_35radix_sort_onesweep_config_selectorIjN6thrust23THRUST_200600_302600_NS5tupleIffNS6_9null_typeES8_S8_S8_S8_S8_S8_S8_EEEEZZNS1_29radix_sort_onesweep_iterationIS3_Lb0ENS6_6detail15normal_iteratorINS6_10device_ptrIjEEEESG_NSD_INSE_IS9_EEEESI_jNS0_19identity_decomposerENS1_16block_id_wrapperIjLb1EEEEE10hipError_tT1_PNSt15iterator_traitsISN_E10value_typeET2_T3_PNSO_IST_E10value_typeET4_T5_PSY_SZ_PNS1_23onesweep_lookback_stateEbbT6_jjT7_P12ihipStream_tbENKUlT_T0_SN_SS_E_clISG_PjSI_PS9_EEDaS16_S17_SN_SS_EUlS16_E_NS1_11comp_targetILNS1_3genE0ELNS1_11target_archE4294967295ELNS1_3gpuE0ELNS1_3repE0EEENS1_47radix_sort_onesweep_sort_config_static_selectorELNS0_4arch9wavefront6targetE0EEEvSN_,"axG",@progbits,_ZN7rocprim17ROCPRIM_400000_NS6detail17trampoline_kernelINS0_14default_configENS1_35radix_sort_onesweep_config_selectorIjN6thrust23THRUST_200600_302600_NS5tupleIffNS6_9null_typeES8_S8_S8_S8_S8_S8_S8_EEEEZZNS1_29radix_sort_onesweep_iterationIS3_Lb0ENS6_6detail15normal_iteratorINS6_10device_ptrIjEEEESG_NSD_INSE_IS9_EEEESI_jNS0_19identity_decomposerENS1_16block_id_wrapperIjLb1EEEEE10hipError_tT1_PNSt15iterator_traitsISN_E10value_typeET2_T3_PNSO_IST_E10value_typeET4_T5_PSY_SZ_PNS1_23onesweep_lookback_stateEbbT6_jjT7_P12ihipStream_tbENKUlT_T0_SN_SS_E_clISG_PjSI_PS9_EEDaS16_S17_SN_SS_EUlS16_E_NS1_11comp_targetILNS1_3genE0ELNS1_11target_archE4294967295ELNS1_3gpuE0ELNS1_3repE0EEENS1_47radix_sort_onesweep_sort_config_static_selectorELNS0_4arch9wavefront6targetE0EEEvSN_,comdat
.Lfunc_end184:
	.size	_ZN7rocprim17ROCPRIM_400000_NS6detail17trampoline_kernelINS0_14default_configENS1_35radix_sort_onesweep_config_selectorIjN6thrust23THRUST_200600_302600_NS5tupleIffNS6_9null_typeES8_S8_S8_S8_S8_S8_S8_EEEEZZNS1_29radix_sort_onesweep_iterationIS3_Lb0ENS6_6detail15normal_iteratorINS6_10device_ptrIjEEEESG_NSD_INSE_IS9_EEEESI_jNS0_19identity_decomposerENS1_16block_id_wrapperIjLb1EEEEE10hipError_tT1_PNSt15iterator_traitsISN_E10value_typeET2_T3_PNSO_IST_E10value_typeET4_T5_PSY_SZ_PNS1_23onesweep_lookback_stateEbbT6_jjT7_P12ihipStream_tbENKUlT_T0_SN_SS_E_clISG_PjSI_PS9_EEDaS16_S17_SN_SS_EUlS16_E_NS1_11comp_targetILNS1_3genE0ELNS1_11target_archE4294967295ELNS1_3gpuE0ELNS1_3repE0EEENS1_47radix_sort_onesweep_sort_config_static_selectorELNS0_4arch9wavefront6targetE0EEEvSN_, .Lfunc_end184-_ZN7rocprim17ROCPRIM_400000_NS6detail17trampoline_kernelINS0_14default_configENS1_35radix_sort_onesweep_config_selectorIjN6thrust23THRUST_200600_302600_NS5tupleIffNS6_9null_typeES8_S8_S8_S8_S8_S8_S8_EEEEZZNS1_29radix_sort_onesweep_iterationIS3_Lb0ENS6_6detail15normal_iteratorINS6_10device_ptrIjEEEESG_NSD_INSE_IS9_EEEESI_jNS0_19identity_decomposerENS1_16block_id_wrapperIjLb1EEEEE10hipError_tT1_PNSt15iterator_traitsISN_E10value_typeET2_T3_PNSO_IST_E10value_typeET4_T5_PSY_SZ_PNS1_23onesweep_lookback_stateEbbT6_jjT7_P12ihipStream_tbENKUlT_T0_SN_SS_E_clISG_PjSI_PS9_EEDaS16_S17_SN_SS_EUlS16_E_NS1_11comp_targetILNS1_3genE0ELNS1_11target_archE4294967295ELNS1_3gpuE0ELNS1_3repE0EEENS1_47radix_sort_onesweep_sort_config_static_selectorELNS0_4arch9wavefront6targetE0EEEvSN_
                                        ; -- End function
	.set _ZN7rocprim17ROCPRIM_400000_NS6detail17trampoline_kernelINS0_14default_configENS1_35radix_sort_onesweep_config_selectorIjN6thrust23THRUST_200600_302600_NS5tupleIffNS6_9null_typeES8_S8_S8_S8_S8_S8_S8_EEEEZZNS1_29radix_sort_onesweep_iterationIS3_Lb0ENS6_6detail15normal_iteratorINS6_10device_ptrIjEEEESG_NSD_INSE_IS9_EEEESI_jNS0_19identity_decomposerENS1_16block_id_wrapperIjLb1EEEEE10hipError_tT1_PNSt15iterator_traitsISN_E10value_typeET2_T3_PNSO_IST_E10value_typeET4_T5_PSY_SZ_PNS1_23onesweep_lookback_stateEbbT6_jjT7_P12ihipStream_tbENKUlT_T0_SN_SS_E_clISG_PjSI_PS9_EEDaS16_S17_SN_SS_EUlS16_E_NS1_11comp_targetILNS1_3genE0ELNS1_11target_archE4294967295ELNS1_3gpuE0ELNS1_3repE0EEENS1_47radix_sort_onesweep_sort_config_static_selectorELNS0_4arch9wavefront6targetE0EEEvSN_.num_vgpr, 0
	.set _ZN7rocprim17ROCPRIM_400000_NS6detail17trampoline_kernelINS0_14default_configENS1_35radix_sort_onesweep_config_selectorIjN6thrust23THRUST_200600_302600_NS5tupleIffNS6_9null_typeES8_S8_S8_S8_S8_S8_S8_EEEEZZNS1_29radix_sort_onesweep_iterationIS3_Lb0ENS6_6detail15normal_iteratorINS6_10device_ptrIjEEEESG_NSD_INSE_IS9_EEEESI_jNS0_19identity_decomposerENS1_16block_id_wrapperIjLb1EEEEE10hipError_tT1_PNSt15iterator_traitsISN_E10value_typeET2_T3_PNSO_IST_E10value_typeET4_T5_PSY_SZ_PNS1_23onesweep_lookback_stateEbbT6_jjT7_P12ihipStream_tbENKUlT_T0_SN_SS_E_clISG_PjSI_PS9_EEDaS16_S17_SN_SS_EUlS16_E_NS1_11comp_targetILNS1_3genE0ELNS1_11target_archE4294967295ELNS1_3gpuE0ELNS1_3repE0EEENS1_47radix_sort_onesweep_sort_config_static_selectorELNS0_4arch9wavefront6targetE0EEEvSN_.num_agpr, 0
	.set _ZN7rocprim17ROCPRIM_400000_NS6detail17trampoline_kernelINS0_14default_configENS1_35radix_sort_onesweep_config_selectorIjN6thrust23THRUST_200600_302600_NS5tupleIffNS6_9null_typeES8_S8_S8_S8_S8_S8_S8_EEEEZZNS1_29radix_sort_onesweep_iterationIS3_Lb0ENS6_6detail15normal_iteratorINS6_10device_ptrIjEEEESG_NSD_INSE_IS9_EEEESI_jNS0_19identity_decomposerENS1_16block_id_wrapperIjLb1EEEEE10hipError_tT1_PNSt15iterator_traitsISN_E10value_typeET2_T3_PNSO_IST_E10value_typeET4_T5_PSY_SZ_PNS1_23onesweep_lookback_stateEbbT6_jjT7_P12ihipStream_tbENKUlT_T0_SN_SS_E_clISG_PjSI_PS9_EEDaS16_S17_SN_SS_EUlS16_E_NS1_11comp_targetILNS1_3genE0ELNS1_11target_archE4294967295ELNS1_3gpuE0ELNS1_3repE0EEENS1_47radix_sort_onesweep_sort_config_static_selectorELNS0_4arch9wavefront6targetE0EEEvSN_.numbered_sgpr, 0
	.set _ZN7rocprim17ROCPRIM_400000_NS6detail17trampoline_kernelINS0_14default_configENS1_35radix_sort_onesweep_config_selectorIjN6thrust23THRUST_200600_302600_NS5tupleIffNS6_9null_typeES8_S8_S8_S8_S8_S8_S8_EEEEZZNS1_29radix_sort_onesweep_iterationIS3_Lb0ENS6_6detail15normal_iteratorINS6_10device_ptrIjEEEESG_NSD_INSE_IS9_EEEESI_jNS0_19identity_decomposerENS1_16block_id_wrapperIjLb1EEEEE10hipError_tT1_PNSt15iterator_traitsISN_E10value_typeET2_T3_PNSO_IST_E10value_typeET4_T5_PSY_SZ_PNS1_23onesweep_lookback_stateEbbT6_jjT7_P12ihipStream_tbENKUlT_T0_SN_SS_E_clISG_PjSI_PS9_EEDaS16_S17_SN_SS_EUlS16_E_NS1_11comp_targetILNS1_3genE0ELNS1_11target_archE4294967295ELNS1_3gpuE0ELNS1_3repE0EEENS1_47radix_sort_onesweep_sort_config_static_selectorELNS0_4arch9wavefront6targetE0EEEvSN_.num_named_barrier, 0
	.set _ZN7rocprim17ROCPRIM_400000_NS6detail17trampoline_kernelINS0_14default_configENS1_35radix_sort_onesweep_config_selectorIjN6thrust23THRUST_200600_302600_NS5tupleIffNS6_9null_typeES8_S8_S8_S8_S8_S8_S8_EEEEZZNS1_29radix_sort_onesweep_iterationIS3_Lb0ENS6_6detail15normal_iteratorINS6_10device_ptrIjEEEESG_NSD_INSE_IS9_EEEESI_jNS0_19identity_decomposerENS1_16block_id_wrapperIjLb1EEEEE10hipError_tT1_PNSt15iterator_traitsISN_E10value_typeET2_T3_PNSO_IST_E10value_typeET4_T5_PSY_SZ_PNS1_23onesweep_lookback_stateEbbT6_jjT7_P12ihipStream_tbENKUlT_T0_SN_SS_E_clISG_PjSI_PS9_EEDaS16_S17_SN_SS_EUlS16_E_NS1_11comp_targetILNS1_3genE0ELNS1_11target_archE4294967295ELNS1_3gpuE0ELNS1_3repE0EEENS1_47radix_sort_onesweep_sort_config_static_selectorELNS0_4arch9wavefront6targetE0EEEvSN_.private_seg_size, 0
	.set _ZN7rocprim17ROCPRIM_400000_NS6detail17trampoline_kernelINS0_14default_configENS1_35radix_sort_onesweep_config_selectorIjN6thrust23THRUST_200600_302600_NS5tupleIffNS6_9null_typeES8_S8_S8_S8_S8_S8_S8_EEEEZZNS1_29radix_sort_onesweep_iterationIS3_Lb0ENS6_6detail15normal_iteratorINS6_10device_ptrIjEEEESG_NSD_INSE_IS9_EEEESI_jNS0_19identity_decomposerENS1_16block_id_wrapperIjLb1EEEEE10hipError_tT1_PNSt15iterator_traitsISN_E10value_typeET2_T3_PNSO_IST_E10value_typeET4_T5_PSY_SZ_PNS1_23onesweep_lookback_stateEbbT6_jjT7_P12ihipStream_tbENKUlT_T0_SN_SS_E_clISG_PjSI_PS9_EEDaS16_S17_SN_SS_EUlS16_E_NS1_11comp_targetILNS1_3genE0ELNS1_11target_archE4294967295ELNS1_3gpuE0ELNS1_3repE0EEENS1_47radix_sort_onesweep_sort_config_static_selectorELNS0_4arch9wavefront6targetE0EEEvSN_.uses_vcc, 0
	.set _ZN7rocprim17ROCPRIM_400000_NS6detail17trampoline_kernelINS0_14default_configENS1_35radix_sort_onesweep_config_selectorIjN6thrust23THRUST_200600_302600_NS5tupleIffNS6_9null_typeES8_S8_S8_S8_S8_S8_S8_EEEEZZNS1_29radix_sort_onesweep_iterationIS3_Lb0ENS6_6detail15normal_iteratorINS6_10device_ptrIjEEEESG_NSD_INSE_IS9_EEEESI_jNS0_19identity_decomposerENS1_16block_id_wrapperIjLb1EEEEE10hipError_tT1_PNSt15iterator_traitsISN_E10value_typeET2_T3_PNSO_IST_E10value_typeET4_T5_PSY_SZ_PNS1_23onesweep_lookback_stateEbbT6_jjT7_P12ihipStream_tbENKUlT_T0_SN_SS_E_clISG_PjSI_PS9_EEDaS16_S17_SN_SS_EUlS16_E_NS1_11comp_targetILNS1_3genE0ELNS1_11target_archE4294967295ELNS1_3gpuE0ELNS1_3repE0EEENS1_47radix_sort_onesweep_sort_config_static_selectorELNS0_4arch9wavefront6targetE0EEEvSN_.uses_flat_scratch, 0
	.set _ZN7rocprim17ROCPRIM_400000_NS6detail17trampoline_kernelINS0_14default_configENS1_35radix_sort_onesweep_config_selectorIjN6thrust23THRUST_200600_302600_NS5tupleIffNS6_9null_typeES8_S8_S8_S8_S8_S8_S8_EEEEZZNS1_29radix_sort_onesweep_iterationIS3_Lb0ENS6_6detail15normal_iteratorINS6_10device_ptrIjEEEESG_NSD_INSE_IS9_EEEESI_jNS0_19identity_decomposerENS1_16block_id_wrapperIjLb1EEEEE10hipError_tT1_PNSt15iterator_traitsISN_E10value_typeET2_T3_PNSO_IST_E10value_typeET4_T5_PSY_SZ_PNS1_23onesweep_lookback_stateEbbT6_jjT7_P12ihipStream_tbENKUlT_T0_SN_SS_E_clISG_PjSI_PS9_EEDaS16_S17_SN_SS_EUlS16_E_NS1_11comp_targetILNS1_3genE0ELNS1_11target_archE4294967295ELNS1_3gpuE0ELNS1_3repE0EEENS1_47radix_sort_onesweep_sort_config_static_selectorELNS0_4arch9wavefront6targetE0EEEvSN_.has_dyn_sized_stack, 0
	.set _ZN7rocprim17ROCPRIM_400000_NS6detail17trampoline_kernelINS0_14default_configENS1_35radix_sort_onesweep_config_selectorIjN6thrust23THRUST_200600_302600_NS5tupleIffNS6_9null_typeES8_S8_S8_S8_S8_S8_S8_EEEEZZNS1_29radix_sort_onesweep_iterationIS3_Lb0ENS6_6detail15normal_iteratorINS6_10device_ptrIjEEEESG_NSD_INSE_IS9_EEEESI_jNS0_19identity_decomposerENS1_16block_id_wrapperIjLb1EEEEE10hipError_tT1_PNSt15iterator_traitsISN_E10value_typeET2_T3_PNSO_IST_E10value_typeET4_T5_PSY_SZ_PNS1_23onesweep_lookback_stateEbbT6_jjT7_P12ihipStream_tbENKUlT_T0_SN_SS_E_clISG_PjSI_PS9_EEDaS16_S17_SN_SS_EUlS16_E_NS1_11comp_targetILNS1_3genE0ELNS1_11target_archE4294967295ELNS1_3gpuE0ELNS1_3repE0EEENS1_47radix_sort_onesweep_sort_config_static_selectorELNS0_4arch9wavefront6targetE0EEEvSN_.has_recursion, 0
	.set _ZN7rocprim17ROCPRIM_400000_NS6detail17trampoline_kernelINS0_14default_configENS1_35radix_sort_onesweep_config_selectorIjN6thrust23THRUST_200600_302600_NS5tupleIffNS6_9null_typeES8_S8_S8_S8_S8_S8_S8_EEEEZZNS1_29radix_sort_onesweep_iterationIS3_Lb0ENS6_6detail15normal_iteratorINS6_10device_ptrIjEEEESG_NSD_INSE_IS9_EEEESI_jNS0_19identity_decomposerENS1_16block_id_wrapperIjLb1EEEEE10hipError_tT1_PNSt15iterator_traitsISN_E10value_typeET2_T3_PNSO_IST_E10value_typeET4_T5_PSY_SZ_PNS1_23onesweep_lookback_stateEbbT6_jjT7_P12ihipStream_tbENKUlT_T0_SN_SS_E_clISG_PjSI_PS9_EEDaS16_S17_SN_SS_EUlS16_E_NS1_11comp_targetILNS1_3genE0ELNS1_11target_archE4294967295ELNS1_3gpuE0ELNS1_3repE0EEENS1_47radix_sort_onesweep_sort_config_static_selectorELNS0_4arch9wavefront6targetE0EEEvSN_.has_indirect_call, 0
	.section	.AMDGPU.csdata,"",@progbits
; Kernel info:
; codeLenInByte = 0
; TotalNumSgprs: 0
; NumVgprs: 0
; ScratchSize: 0
; MemoryBound: 0
; FloatMode: 240
; IeeeMode: 1
; LDSByteSize: 0 bytes/workgroup (compile time only)
; SGPRBlocks: 0
; VGPRBlocks: 0
; NumSGPRsForWavesPerEU: 1
; NumVGPRsForWavesPerEU: 1
; Occupancy: 16
; WaveLimiterHint : 0
; COMPUTE_PGM_RSRC2:SCRATCH_EN: 0
; COMPUTE_PGM_RSRC2:USER_SGPR: 6
; COMPUTE_PGM_RSRC2:TRAP_HANDLER: 0
; COMPUTE_PGM_RSRC2:TGID_X_EN: 1
; COMPUTE_PGM_RSRC2:TGID_Y_EN: 0
; COMPUTE_PGM_RSRC2:TGID_Z_EN: 0
; COMPUTE_PGM_RSRC2:TIDIG_COMP_CNT: 0
	.section	.text._ZN7rocprim17ROCPRIM_400000_NS6detail17trampoline_kernelINS0_14default_configENS1_35radix_sort_onesweep_config_selectorIjN6thrust23THRUST_200600_302600_NS5tupleIffNS6_9null_typeES8_S8_S8_S8_S8_S8_S8_EEEEZZNS1_29radix_sort_onesweep_iterationIS3_Lb0ENS6_6detail15normal_iteratorINS6_10device_ptrIjEEEESG_NSD_INSE_IS9_EEEESI_jNS0_19identity_decomposerENS1_16block_id_wrapperIjLb1EEEEE10hipError_tT1_PNSt15iterator_traitsISN_E10value_typeET2_T3_PNSO_IST_E10value_typeET4_T5_PSY_SZ_PNS1_23onesweep_lookback_stateEbbT6_jjT7_P12ihipStream_tbENKUlT_T0_SN_SS_E_clISG_PjSI_PS9_EEDaS16_S17_SN_SS_EUlS16_E_NS1_11comp_targetILNS1_3genE6ELNS1_11target_archE950ELNS1_3gpuE13ELNS1_3repE0EEENS1_47radix_sort_onesweep_sort_config_static_selectorELNS0_4arch9wavefront6targetE0EEEvSN_,"axG",@progbits,_ZN7rocprim17ROCPRIM_400000_NS6detail17trampoline_kernelINS0_14default_configENS1_35radix_sort_onesweep_config_selectorIjN6thrust23THRUST_200600_302600_NS5tupleIffNS6_9null_typeES8_S8_S8_S8_S8_S8_S8_EEEEZZNS1_29radix_sort_onesweep_iterationIS3_Lb0ENS6_6detail15normal_iteratorINS6_10device_ptrIjEEEESG_NSD_INSE_IS9_EEEESI_jNS0_19identity_decomposerENS1_16block_id_wrapperIjLb1EEEEE10hipError_tT1_PNSt15iterator_traitsISN_E10value_typeET2_T3_PNSO_IST_E10value_typeET4_T5_PSY_SZ_PNS1_23onesweep_lookback_stateEbbT6_jjT7_P12ihipStream_tbENKUlT_T0_SN_SS_E_clISG_PjSI_PS9_EEDaS16_S17_SN_SS_EUlS16_E_NS1_11comp_targetILNS1_3genE6ELNS1_11target_archE950ELNS1_3gpuE13ELNS1_3repE0EEENS1_47radix_sort_onesweep_sort_config_static_selectorELNS0_4arch9wavefront6targetE0EEEvSN_,comdat
	.protected	_ZN7rocprim17ROCPRIM_400000_NS6detail17trampoline_kernelINS0_14default_configENS1_35radix_sort_onesweep_config_selectorIjN6thrust23THRUST_200600_302600_NS5tupleIffNS6_9null_typeES8_S8_S8_S8_S8_S8_S8_EEEEZZNS1_29radix_sort_onesweep_iterationIS3_Lb0ENS6_6detail15normal_iteratorINS6_10device_ptrIjEEEESG_NSD_INSE_IS9_EEEESI_jNS0_19identity_decomposerENS1_16block_id_wrapperIjLb1EEEEE10hipError_tT1_PNSt15iterator_traitsISN_E10value_typeET2_T3_PNSO_IST_E10value_typeET4_T5_PSY_SZ_PNS1_23onesweep_lookback_stateEbbT6_jjT7_P12ihipStream_tbENKUlT_T0_SN_SS_E_clISG_PjSI_PS9_EEDaS16_S17_SN_SS_EUlS16_E_NS1_11comp_targetILNS1_3genE6ELNS1_11target_archE950ELNS1_3gpuE13ELNS1_3repE0EEENS1_47radix_sort_onesweep_sort_config_static_selectorELNS0_4arch9wavefront6targetE0EEEvSN_ ; -- Begin function _ZN7rocprim17ROCPRIM_400000_NS6detail17trampoline_kernelINS0_14default_configENS1_35radix_sort_onesweep_config_selectorIjN6thrust23THRUST_200600_302600_NS5tupleIffNS6_9null_typeES8_S8_S8_S8_S8_S8_S8_EEEEZZNS1_29radix_sort_onesweep_iterationIS3_Lb0ENS6_6detail15normal_iteratorINS6_10device_ptrIjEEEESG_NSD_INSE_IS9_EEEESI_jNS0_19identity_decomposerENS1_16block_id_wrapperIjLb1EEEEE10hipError_tT1_PNSt15iterator_traitsISN_E10value_typeET2_T3_PNSO_IST_E10value_typeET4_T5_PSY_SZ_PNS1_23onesweep_lookback_stateEbbT6_jjT7_P12ihipStream_tbENKUlT_T0_SN_SS_E_clISG_PjSI_PS9_EEDaS16_S17_SN_SS_EUlS16_E_NS1_11comp_targetILNS1_3genE6ELNS1_11target_archE950ELNS1_3gpuE13ELNS1_3repE0EEENS1_47radix_sort_onesweep_sort_config_static_selectorELNS0_4arch9wavefront6targetE0EEEvSN_
	.globl	_ZN7rocprim17ROCPRIM_400000_NS6detail17trampoline_kernelINS0_14default_configENS1_35radix_sort_onesweep_config_selectorIjN6thrust23THRUST_200600_302600_NS5tupleIffNS6_9null_typeES8_S8_S8_S8_S8_S8_S8_EEEEZZNS1_29radix_sort_onesweep_iterationIS3_Lb0ENS6_6detail15normal_iteratorINS6_10device_ptrIjEEEESG_NSD_INSE_IS9_EEEESI_jNS0_19identity_decomposerENS1_16block_id_wrapperIjLb1EEEEE10hipError_tT1_PNSt15iterator_traitsISN_E10value_typeET2_T3_PNSO_IST_E10value_typeET4_T5_PSY_SZ_PNS1_23onesweep_lookback_stateEbbT6_jjT7_P12ihipStream_tbENKUlT_T0_SN_SS_E_clISG_PjSI_PS9_EEDaS16_S17_SN_SS_EUlS16_E_NS1_11comp_targetILNS1_3genE6ELNS1_11target_archE950ELNS1_3gpuE13ELNS1_3repE0EEENS1_47radix_sort_onesweep_sort_config_static_selectorELNS0_4arch9wavefront6targetE0EEEvSN_
	.p2align	8
	.type	_ZN7rocprim17ROCPRIM_400000_NS6detail17trampoline_kernelINS0_14default_configENS1_35radix_sort_onesweep_config_selectorIjN6thrust23THRUST_200600_302600_NS5tupleIffNS6_9null_typeES8_S8_S8_S8_S8_S8_S8_EEEEZZNS1_29radix_sort_onesweep_iterationIS3_Lb0ENS6_6detail15normal_iteratorINS6_10device_ptrIjEEEESG_NSD_INSE_IS9_EEEESI_jNS0_19identity_decomposerENS1_16block_id_wrapperIjLb1EEEEE10hipError_tT1_PNSt15iterator_traitsISN_E10value_typeET2_T3_PNSO_IST_E10value_typeET4_T5_PSY_SZ_PNS1_23onesweep_lookback_stateEbbT6_jjT7_P12ihipStream_tbENKUlT_T0_SN_SS_E_clISG_PjSI_PS9_EEDaS16_S17_SN_SS_EUlS16_E_NS1_11comp_targetILNS1_3genE6ELNS1_11target_archE950ELNS1_3gpuE13ELNS1_3repE0EEENS1_47radix_sort_onesweep_sort_config_static_selectorELNS0_4arch9wavefront6targetE0EEEvSN_,@function
_ZN7rocprim17ROCPRIM_400000_NS6detail17trampoline_kernelINS0_14default_configENS1_35radix_sort_onesweep_config_selectorIjN6thrust23THRUST_200600_302600_NS5tupleIffNS6_9null_typeES8_S8_S8_S8_S8_S8_S8_EEEEZZNS1_29radix_sort_onesweep_iterationIS3_Lb0ENS6_6detail15normal_iteratorINS6_10device_ptrIjEEEESG_NSD_INSE_IS9_EEEESI_jNS0_19identity_decomposerENS1_16block_id_wrapperIjLb1EEEEE10hipError_tT1_PNSt15iterator_traitsISN_E10value_typeET2_T3_PNSO_IST_E10value_typeET4_T5_PSY_SZ_PNS1_23onesweep_lookback_stateEbbT6_jjT7_P12ihipStream_tbENKUlT_T0_SN_SS_E_clISG_PjSI_PS9_EEDaS16_S17_SN_SS_EUlS16_E_NS1_11comp_targetILNS1_3genE6ELNS1_11target_archE950ELNS1_3gpuE13ELNS1_3repE0EEENS1_47radix_sort_onesweep_sort_config_static_selectorELNS0_4arch9wavefront6targetE0EEEvSN_: ; @_ZN7rocprim17ROCPRIM_400000_NS6detail17trampoline_kernelINS0_14default_configENS1_35radix_sort_onesweep_config_selectorIjN6thrust23THRUST_200600_302600_NS5tupleIffNS6_9null_typeES8_S8_S8_S8_S8_S8_S8_EEEEZZNS1_29radix_sort_onesweep_iterationIS3_Lb0ENS6_6detail15normal_iteratorINS6_10device_ptrIjEEEESG_NSD_INSE_IS9_EEEESI_jNS0_19identity_decomposerENS1_16block_id_wrapperIjLb1EEEEE10hipError_tT1_PNSt15iterator_traitsISN_E10value_typeET2_T3_PNSO_IST_E10value_typeET4_T5_PSY_SZ_PNS1_23onesweep_lookback_stateEbbT6_jjT7_P12ihipStream_tbENKUlT_T0_SN_SS_E_clISG_PjSI_PS9_EEDaS16_S17_SN_SS_EUlS16_E_NS1_11comp_targetILNS1_3genE6ELNS1_11target_archE950ELNS1_3gpuE13ELNS1_3repE0EEENS1_47radix_sort_onesweep_sort_config_static_selectorELNS0_4arch9wavefront6targetE0EEEvSN_
; %bb.0:
	.section	.rodata,"a",@progbits
	.p2align	6, 0x0
	.amdhsa_kernel _ZN7rocprim17ROCPRIM_400000_NS6detail17trampoline_kernelINS0_14default_configENS1_35radix_sort_onesweep_config_selectorIjN6thrust23THRUST_200600_302600_NS5tupleIffNS6_9null_typeES8_S8_S8_S8_S8_S8_S8_EEEEZZNS1_29radix_sort_onesweep_iterationIS3_Lb0ENS6_6detail15normal_iteratorINS6_10device_ptrIjEEEESG_NSD_INSE_IS9_EEEESI_jNS0_19identity_decomposerENS1_16block_id_wrapperIjLb1EEEEE10hipError_tT1_PNSt15iterator_traitsISN_E10value_typeET2_T3_PNSO_IST_E10value_typeET4_T5_PSY_SZ_PNS1_23onesweep_lookback_stateEbbT6_jjT7_P12ihipStream_tbENKUlT_T0_SN_SS_E_clISG_PjSI_PS9_EEDaS16_S17_SN_SS_EUlS16_E_NS1_11comp_targetILNS1_3genE6ELNS1_11target_archE950ELNS1_3gpuE13ELNS1_3repE0EEENS1_47radix_sort_onesweep_sort_config_static_selectorELNS0_4arch9wavefront6targetE0EEEvSN_
		.amdhsa_group_segment_fixed_size 0
		.amdhsa_private_segment_fixed_size 0
		.amdhsa_kernarg_size 88
		.amdhsa_user_sgpr_count 6
		.amdhsa_user_sgpr_private_segment_buffer 1
		.amdhsa_user_sgpr_dispatch_ptr 0
		.amdhsa_user_sgpr_queue_ptr 0
		.amdhsa_user_sgpr_kernarg_segment_ptr 1
		.amdhsa_user_sgpr_dispatch_id 0
		.amdhsa_user_sgpr_flat_scratch_init 0
		.amdhsa_user_sgpr_private_segment_size 0
		.amdhsa_wavefront_size32 1
		.amdhsa_uses_dynamic_stack 0
		.amdhsa_system_sgpr_private_segment_wavefront_offset 0
		.amdhsa_system_sgpr_workgroup_id_x 1
		.amdhsa_system_sgpr_workgroup_id_y 0
		.amdhsa_system_sgpr_workgroup_id_z 0
		.amdhsa_system_sgpr_workgroup_info 0
		.amdhsa_system_vgpr_workitem_id 0
		.amdhsa_next_free_vgpr 1
		.amdhsa_next_free_sgpr 1
		.amdhsa_reserve_vcc 0
		.amdhsa_reserve_flat_scratch 0
		.amdhsa_float_round_mode_32 0
		.amdhsa_float_round_mode_16_64 0
		.amdhsa_float_denorm_mode_32 3
		.amdhsa_float_denorm_mode_16_64 3
		.amdhsa_dx10_clamp 1
		.amdhsa_ieee_mode 1
		.amdhsa_fp16_overflow 0
		.amdhsa_workgroup_processor_mode 1
		.amdhsa_memory_ordered 1
		.amdhsa_forward_progress 1
		.amdhsa_shared_vgpr_count 0
		.amdhsa_exception_fp_ieee_invalid_op 0
		.amdhsa_exception_fp_denorm_src 0
		.amdhsa_exception_fp_ieee_div_zero 0
		.amdhsa_exception_fp_ieee_overflow 0
		.amdhsa_exception_fp_ieee_underflow 0
		.amdhsa_exception_fp_ieee_inexact 0
		.amdhsa_exception_int_div_zero 0
	.end_amdhsa_kernel
	.section	.text._ZN7rocprim17ROCPRIM_400000_NS6detail17trampoline_kernelINS0_14default_configENS1_35radix_sort_onesweep_config_selectorIjN6thrust23THRUST_200600_302600_NS5tupleIffNS6_9null_typeES8_S8_S8_S8_S8_S8_S8_EEEEZZNS1_29radix_sort_onesweep_iterationIS3_Lb0ENS6_6detail15normal_iteratorINS6_10device_ptrIjEEEESG_NSD_INSE_IS9_EEEESI_jNS0_19identity_decomposerENS1_16block_id_wrapperIjLb1EEEEE10hipError_tT1_PNSt15iterator_traitsISN_E10value_typeET2_T3_PNSO_IST_E10value_typeET4_T5_PSY_SZ_PNS1_23onesweep_lookback_stateEbbT6_jjT7_P12ihipStream_tbENKUlT_T0_SN_SS_E_clISG_PjSI_PS9_EEDaS16_S17_SN_SS_EUlS16_E_NS1_11comp_targetILNS1_3genE6ELNS1_11target_archE950ELNS1_3gpuE13ELNS1_3repE0EEENS1_47radix_sort_onesweep_sort_config_static_selectorELNS0_4arch9wavefront6targetE0EEEvSN_,"axG",@progbits,_ZN7rocprim17ROCPRIM_400000_NS6detail17trampoline_kernelINS0_14default_configENS1_35radix_sort_onesweep_config_selectorIjN6thrust23THRUST_200600_302600_NS5tupleIffNS6_9null_typeES8_S8_S8_S8_S8_S8_S8_EEEEZZNS1_29radix_sort_onesweep_iterationIS3_Lb0ENS6_6detail15normal_iteratorINS6_10device_ptrIjEEEESG_NSD_INSE_IS9_EEEESI_jNS0_19identity_decomposerENS1_16block_id_wrapperIjLb1EEEEE10hipError_tT1_PNSt15iterator_traitsISN_E10value_typeET2_T3_PNSO_IST_E10value_typeET4_T5_PSY_SZ_PNS1_23onesweep_lookback_stateEbbT6_jjT7_P12ihipStream_tbENKUlT_T0_SN_SS_E_clISG_PjSI_PS9_EEDaS16_S17_SN_SS_EUlS16_E_NS1_11comp_targetILNS1_3genE6ELNS1_11target_archE950ELNS1_3gpuE13ELNS1_3repE0EEENS1_47radix_sort_onesweep_sort_config_static_selectorELNS0_4arch9wavefront6targetE0EEEvSN_,comdat
.Lfunc_end185:
	.size	_ZN7rocprim17ROCPRIM_400000_NS6detail17trampoline_kernelINS0_14default_configENS1_35radix_sort_onesweep_config_selectorIjN6thrust23THRUST_200600_302600_NS5tupleIffNS6_9null_typeES8_S8_S8_S8_S8_S8_S8_EEEEZZNS1_29radix_sort_onesweep_iterationIS3_Lb0ENS6_6detail15normal_iteratorINS6_10device_ptrIjEEEESG_NSD_INSE_IS9_EEEESI_jNS0_19identity_decomposerENS1_16block_id_wrapperIjLb1EEEEE10hipError_tT1_PNSt15iterator_traitsISN_E10value_typeET2_T3_PNSO_IST_E10value_typeET4_T5_PSY_SZ_PNS1_23onesweep_lookback_stateEbbT6_jjT7_P12ihipStream_tbENKUlT_T0_SN_SS_E_clISG_PjSI_PS9_EEDaS16_S17_SN_SS_EUlS16_E_NS1_11comp_targetILNS1_3genE6ELNS1_11target_archE950ELNS1_3gpuE13ELNS1_3repE0EEENS1_47radix_sort_onesweep_sort_config_static_selectorELNS0_4arch9wavefront6targetE0EEEvSN_, .Lfunc_end185-_ZN7rocprim17ROCPRIM_400000_NS6detail17trampoline_kernelINS0_14default_configENS1_35radix_sort_onesweep_config_selectorIjN6thrust23THRUST_200600_302600_NS5tupleIffNS6_9null_typeES8_S8_S8_S8_S8_S8_S8_EEEEZZNS1_29radix_sort_onesweep_iterationIS3_Lb0ENS6_6detail15normal_iteratorINS6_10device_ptrIjEEEESG_NSD_INSE_IS9_EEEESI_jNS0_19identity_decomposerENS1_16block_id_wrapperIjLb1EEEEE10hipError_tT1_PNSt15iterator_traitsISN_E10value_typeET2_T3_PNSO_IST_E10value_typeET4_T5_PSY_SZ_PNS1_23onesweep_lookback_stateEbbT6_jjT7_P12ihipStream_tbENKUlT_T0_SN_SS_E_clISG_PjSI_PS9_EEDaS16_S17_SN_SS_EUlS16_E_NS1_11comp_targetILNS1_3genE6ELNS1_11target_archE950ELNS1_3gpuE13ELNS1_3repE0EEENS1_47radix_sort_onesweep_sort_config_static_selectorELNS0_4arch9wavefront6targetE0EEEvSN_
                                        ; -- End function
	.set _ZN7rocprim17ROCPRIM_400000_NS6detail17trampoline_kernelINS0_14default_configENS1_35radix_sort_onesweep_config_selectorIjN6thrust23THRUST_200600_302600_NS5tupleIffNS6_9null_typeES8_S8_S8_S8_S8_S8_S8_EEEEZZNS1_29radix_sort_onesweep_iterationIS3_Lb0ENS6_6detail15normal_iteratorINS6_10device_ptrIjEEEESG_NSD_INSE_IS9_EEEESI_jNS0_19identity_decomposerENS1_16block_id_wrapperIjLb1EEEEE10hipError_tT1_PNSt15iterator_traitsISN_E10value_typeET2_T3_PNSO_IST_E10value_typeET4_T5_PSY_SZ_PNS1_23onesweep_lookback_stateEbbT6_jjT7_P12ihipStream_tbENKUlT_T0_SN_SS_E_clISG_PjSI_PS9_EEDaS16_S17_SN_SS_EUlS16_E_NS1_11comp_targetILNS1_3genE6ELNS1_11target_archE950ELNS1_3gpuE13ELNS1_3repE0EEENS1_47radix_sort_onesweep_sort_config_static_selectorELNS0_4arch9wavefront6targetE0EEEvSN_.num_vgpr, 0
	.set _ZN7rocprim17ROCPRIM_400000_NS6detail17trampoline_kernelINS0_14default_configENS1_35radix_sort_onesweep_config_selectorIjN6thrust23THRUST_200600_302600_NS5tupleIffNS6_9null_typeES8_S8_S8_S8_S8_S8_S8_EEEEZZNS1_29radix_sort_onesweep_iterationIS3_Lb0ENS6_6detail15normal_iteratorINS6_10device_ptrIjEEEESG_NSD_INSE_IS9_EEEESI_jNS0_19identity_decomposerENS1_16block_id_wrapperIjLb1EEEEE10hipError_tT1_PNSt15iterator_traitsISN_E10value_typeET2_T3_PNSO_IST_E10value_typeET4_T5_PSY_SZ_PNS1_23onesweep_lookback_stateEbbT6_jjT7_P12ihipStream_tbENKUlT_T0_SN_SS_E_clISG_PjSI_PS9_EEDaS16_S17_SN_SS_EUlS16_E_NS1_11comp_targetILNS1_3genE6ELNS1_11target_archE950ELNS1_3gpuE13ELNS1_3repE0EEENS1_47radix_sort_onesweep_sort_config_static_selectorELNS0_4arch9wavefront6targetE0EEEvSN_.num_agpr, 0
	.set _ZN7rocprim17ROCPRIM_400000_NS6detail17trampoline_kernelINS0_14default_configENS1_35radix_sort_onesweep_config_selectorIjN6thrust23THRUST_200600_302600_NS5tupleIffNS6_9null_typeES8_S8_S8_S8_S8_S8_S8_EEEEZZNS1_29radix_sort_onesweep_iterationIS3_Lb0ENS6_6detail15normal_iteratorINS6_10device_ptrIjEEEESG_NSD_INSE_IS9_EEEESI_jNS0_19identity_decomposerENS1_16block_id_wrapperIjLb1EEEEE10hipError_tT1_PNSt15iterator_traitsISN_E10value_typeET2_T3_PNSO_IST_E10value_typeET4_T5_PSY_SZ_PNS1_23onesweep_lookback_stateEbbT6_jjT7_P12ihipStream_tbENKUlT_T0_SN_SS_E_clISG_PjSI_PS9_EEDaS16_S17_SN_SS_EUlS16_E_NS1_11comp_targetILNS1_3genE6ELNS1_11target_archE950ELNS1_3gpuE13ELNS1_3repE0EEENS1_47radix_sort_onesweep_sort_config_static_selectorELNS0_4arch9wavefront6targetE0EEEvSN_.numbered_sgpr, 0
	.set _ZN7rocprim17ROCPRIM_400000_NS6detail17trampoline_kernelINS0_14default_configENS1_35radix_sort_onesweep_config_selectorIjN6thrust23THRUST_200600_302600_NS5tupleIffNS6_9null_typeES8_S8_S8_S8_S8_S8_S8_EEEEZZNS1_29radix_sort_onesweep_iterationIS3_Lb0ENS6_6detail15normal_iteratorINS6_10device_ptrIjEEEESG_NSD_INSE_IS9_EEEESI_jNS0_19identity_decomposerENS1_16block_id_wrapperIjLb1EEEEE10hipError_tT1_PNSt15iterator_traitsISN_E10value_typeET2_T3_PNSO_IST_E10value_typeET4_T5_PSY_SZ_PNS1_23onesweep_lookback_stateEbbT6_jjT7_P12ihipStream_tbENKUlT_T0_SN_SS_E_clISG_PjSI_PS9_EEDaS16_S17_SN_SS_EUlS16_E_NS1_11comp_targetILNS1_3genE6ELNS1_11target_archE950ELNS1_3gpuE13ELNS1_3repE0EEENS1_47radix_sort_onesweep_sort_config_static_selectorELNS0_4arch9wavefront6targetE0EEEvSN_.num_named_barrier, 0
	.set _ZN7rocprim17ROCPRIM_400000_NS6detail17trampoline_kernelINS0_14default_configENS1_35radix_sort_onesweep_config_selectorIjN6thrust23THRUST_200600_302600_NS5tupleIffNS6_9null_typeES8_S8_S8_S8_S8_S8_S8_EEEEZZNS1_29radix_sort_onesweep_iterationIS3_Lb0ENS6_6detail15normal_iteratorINS6_10device_ptrIjEEEESG_NSD_INSE_IS9_EEEESI_jNS0_19identity_decomposerENS1_16block_id_wrapperIjLb1EEEEE10hipError_tT1_PNSt15iterator_traitsISN_E10value_typeET2_T3_PNSO_IST_E10value_typeET4_T5_PSY_SZ_PNS1_23onesweep_lookback_stateEbbT6_jjT7_P12ihipStream_tbENKUlT_T0_SN_SS_E_clISG_PjSI_PS9_EEDaS16_S17_SN_SS_EUlS16_E_NS1_11comp_targetILNS1_3genE6ELNS1_11target_archE950ELNS1_3gpuE13ELNS1_3repE0EEENS1_47radix_sort_onesweep_sort_config_static_selectorELNS0_4arch9wavefront6targetE0EEEvSN_.private_seg_size, 0
	.set _ZN7rocprim17ROCPRIM_400000_NS6detail17trampoline_kernelINS0_14default_configENS1_35radix_sort_onesweep_config_selectorIjN6thrust23THRUST_200600_302600_NS5tupleIffNS6_9null_typeES8_S8_S8_S8_S8_S8_S8_EEEEZZNS1_29radix_sort_onesweep_iterationIS3_Lb0ENS6_6detail15normal_iteratorINS6_10device_ptrIjEEEESG_NSD_INSE_IS9_EEEESI_jNS0_19identity_decomposerENS1_16block_id_wrapperIjLb1EEEEE10hipError_tT1_PNSt15iterator_traitsISN_E10value_typeET2_T3_PNSO_IST_E10value_typeET4_T5_PSY_SZ_PNS1_23onesweep_lookback_stateEbbT6_jjT7_P12ihipStream_tbENKUlT_T0_SN_SS_E_clISG_PjSI_PS9_EEDaS16_S17_SN_SS_EUlS16_E_NS1_11comp_targetILNS1_3genE6ELNS1_11target_archE950ELNS1_3gpuE13ELNS1_3repE0EEENS1_47radix_sort_onesweep_sort_config_static_selectorELNS0_4arch9wavefront6targetE0EEEvSN_.uses_vcc, 0
	.set _ZN7rocprim17ROCPRIM_400000_NS6detail17trampoline_kernelINS0_14default_configENS1_35radix_sort_onesweep_config_selectorIjN6thrust23THRUST_200600_302600_NS5tupleIffNS6_9null_typeES8_S8_S8_S8_S8_S8_S8_EEEEZZNS1_29radix_sort_onesweep_iterationIS3_Lb0ENS6_6detail15normal_iteratorINS6_10device_ptrIjEEEESG_NSD_INSE_IS9_EEEESI_jNS0_19identity_decomposerENS1_16block_id_wrapperIjLb1EEEEE10hipError_tT1_PNSt15iterator_traitsISN_E10value_typeET2_T3_PNSO_IST_E10value_typeET4_T5_PSY_SZ_PNS1_23onesweep_lookback_stateEbbT6_jjT7_P12ihipStream_tbENKUlT_T0_SN_SS_E_clISG_PjSI_PS9_EEDaS16_S17_SN_SS_EUlS16_E_NS1_11comp_targetILNS1_3genE6ELNS1_11target_archE950ELNS1_3gpuE13ELNS1_3repE0EEENS1_47radix_sort_onesweep_sort_config_static_selectorELNS0_4arch9wavefront6targetE0EEEvSN_.uses_flat_scratch, 0
	.set _ZN7rocprim17ROCPRIM_400000_NS6detail17trampoline_kernelINS0_14default_configENS1_35radix_sort_onesweep_config_selectorIjN6thrust23THRUST_200600_302600_NS5tupleIffNS6_9null_typeES8_S8_S8_S8_S8_S8_S8_EEEEZZNS1_29radix_sort_onesweep_iterationIS3_Lb0ENS6_6detail15normal_iteratorINS6_10device_ptrIjEEEESG_NSD_INSE_IS9_EEEESI_jNS0_19identity_decomposerENS1_16block_id_wrapperIjLb1EEEEE10hipError_tT1_PNSt15iterator_traitsISN_E10value_typeET2_T3_PNSO_IST_E10value_typeET4_T5_PSY_SZ_PNS1_23onesweep_lookback_stateEbbT6_jjT7_P12ihipStream_tbENKUlT_T0_SN_SS_E_clISG_PjSI_PS9_EEDaS16_S17_SN_SS_EUlS16_E_NS1_11comp_targetILNS1_3genE6ELNS1_11target_archE950ELNS1_3gpuE13ELNS1_3repE0EEENS1_47radix_sort_onesweep_sort_config_static_selectorELNS0_4arch9wavefront6targetE0EEEvSN_.has_dyn_sized_stack, 0
	.set _ZN7rocprim17ROCPRIM_400000_NS6detail17trampoline_kernelINS0_14default_configENS1_35radix_sort_onesweep_config_selectorIjN6thrust23THRUST_200600_302600_NS5tupleIffNS6_9null_typeES8_S8_S8_S8_S8_S8_S8_EEEEZZNS1_29radix_sort_onesweep_iterationIS3_Lb0ENS6_6detail15normal_iteratorINS6_10device_ptrIjEEEESG_NSD_INSE_IS9_EEEESI_jNS0_19identity_decomposerENS1_16block_id_wrapperIjLb1EEEEE10hipError_tT1_PNSt15iterator_traitsISN_E10value_typeET2_T3_PNSO_IST_E10value_typeET4_T5_PSY_SZ_PNS1_23onesweep_lookback_stateEbbT6_jjT7_P12ihipStream_tbENKUlT_T0_SN_SS_E_clISG_PjSI_PS9_EEDaS16_S17_SN_SS_EUlS16_E_NS1_11comp_targetILNS1_3genE6ELNS1_11target_archE950ELNS1_3gpuE13ELNS1_3repE0EEENS1_47radix_sort_onesweep_sort_config_static_selectorELNS0_4arch9wavefront6targetE0EEEvSN_.has_recursion, 0
	.set _ZN7rocprim17ROCPRIM_400000_NS6detail17trampoline_kernelINS0_14default_configENS1_35radix_sort_onesweep_config_selectorIjN6thrust23THRUST_200600_302600_NS5tupleIffNS6_9null_typeES8_S8_S8_S8_S8_S8_S8_EEEEZZNS1_29radix_sort_onesweep_iterationIS3_Lb0ENS6_6detail15normal_iteratorINS6_10device_ptrIjEEEESG_NSD_INSE_IS9_EEEESI_jNS0_19identity_decomposerENS1_16block_id_wrapperIjLb1EEEEE10hipError_tT1_PNSt15iterator_traitsISN_E10value_typeET2_T3_PNSO_IST_E10value_typeET4_T5_PSY_SZ_PNS1_23onesweep_lookback_stateEbbT6_jjT7_P12ihipStream_tbENKUlT_T0_SN_SS_E_clISG_PjSI_PS9_EEDaS16_S17_SN_SS_EUlS16_E_NS1_11comp_targetILNS1_3genE6ELNS1_11target_archE950ELNS1_3gpuE13ELNS1_3repE0EEENS1_47radix_sort_onesweep_sort_config_static_selectorELNS0_4arch9wavefront6targetE0EEEvSN_.has_indirect_call, 0
	.section	.AMDGPU.csdata,"",@progbits
; Kernel info:
; codeLenInByte = 0
; TotalNumSgprs: 0
; NumVgprs: 0
; ScratchSize: 0
; MemoryBound: 0
; FloatMode: 240
; IeeeMode: 1
; LDSByteSize: 0 bytes/workgroup (compile time only)
; SGPRBlocks: 0
; VGPRBlocks: 0
; NumSGPRsForWavesPerEU: 1
; NumVGPRsForWavesPerEU: 1
; Occupancy: 16
; WaveLimiterHint : 0
; COMPUTE_PGM_RSRC2:SCRATCH_EN: 0
; COMPUTE_PGM_RSRC2:USER_SGPR: 6
; COMPUTE_PGM_RSRC2:TRAP_HANDLER: 0
; COMPUTE_PGM_RSRC2:TGID_X_EN: 1
; COMPUTE_PGM_RSRC2:TGID_Y_EN: 0
; COMPUTE_PGM_RSRC2:TGID_Z_EN: 0
; COMPUTE_PGM_RSRC2:TIDIG_COMP_CNT: 0
	.section	.text._ZN7rocprim17ROCPRIM_400000_NS6detail17trampoline_kernelINS0_14default_configENS1_35radix_sort_onesweep_config_selectorIjN6thrust23THRUST_200600_302600_NS5tupleIffNS6_9null_typeES8_S8_S8_S8_S8_S8_S8_EEEEZZNS1_29radix_sort_onesweep_iterationIS3_Lb0ENS6_6detail15normal_iteratorINS6_10device_ptrIjEEEESG_NSD_INSE_IS9_EEEESI_jNS0_19identity_decomposerENS1_16block_id_wrapperIjLb1EEEEE10hipError_tT1_PNSt15iterator_traitsISN_E10value_typeET2_T3_PNSO_IST_E10value_typeET4_T5_PSY_SZ_PNS1_23onesweep_lookback_stateEbbT6_jjT7_P12ihipStream_tbENKUlT_T0_SN_SS_E_clISG_PjSI_PS9_EEDaS16_S17_SN_SS_EUlS16_E_NS1_11comp_targetILNS1_3genE5ELNS1_11target_archE942ELNS1_3gpuE9ELNS1_3repE0EEENS1_47radix_sort_onesweep_sort_config_static_selectorELNS0_4arch9wavefront6targetE0EEEvSN_,"axG",@progbits,_ZN7rocprim17ROCPRIM_400000_NS6detail17trampoline_kernelINS0_14default_configENS1_35radix_sort_onesweep_config_selectorIjN6thrust23THRUST_200600_302600_NS5tupleIffNS6_9null_typeES8_S8_S8_S8_S8_S8_S8_EEEEZZNS1_29radix_sort_onesweep_iterationIS3_Lb0ENS6_6detail15normal_iteratorINS6_10device_ptrIjEEEESG_NSD_INSE_IS9_EEEESI_jNS0_19identity_decomposerENS1_16block_id_wrapperIjLb1EEEEE10hipError_tT1_PNSt15iterator_traitsISN_E10value_typeET2_T3_PNSO_IST_E10value_typeET4_T5_PSY_SZ_PNS1_23onesweep_lookback_stateEbbT6_jjT7_P12ihipStream_tbENKUlT_T0_SN_SS_E_clISG_PjSI_PS9_EEDaS16_S17_SN_SS_EUlS16_E_NS1_11comp_targetILNS1_3genE5ELNS1_11target_archE942ELNS1_3gpuE9ELNS1_3repE0EEENS1_47radix_sort_onesweep_sort_config_static_selectorELNS0_4arch9wavefront6targetE0EEEvSN_,comdat
	.protected	_ZN7rocprim17ROCPRIM_400000_NS6detail17trampoline_kernelINS0_14default_configENS1_35radix_sort_onesweep_config_selectorIjN6thrust23THRUST_200600_302600_NS5tupleIffNS6_9null_typeES8_S8_S8_S8_S8_S8_S8_EEEEZZNS1_29radix_sort_onesweep_iterationIS3_Lb0ENS6_6detail15normal_iteratorINS6_10device_ptrIjEEEESG_NSD_INSE_IS9_EEEESI_jNS0_19identity_decomposerENS1_16block_id_wrapperIjLb1EEEEE10hipError_tT1_PNSt15iterator_traitsISN_E10value_typeET2_T3_PNSO_IST_E10value_typeET4_T5_PSY_SZ_PNS1_23onesweep_lookback_stateEbbT6_jjT7_P12ihipStream_tbENKUlT_T0_SN_SS_E_clISG_PjSI_PS9_EEDaS16_S17_SN_SS_EUlS16_E_NS1_11comp_targetILNS1_3genE5ELNS1_11target_archE942ELNS1_3gpuE9ELNS1_3repE0EEENS1_47radix_sort_onesweep_sort_config_static_selectorELNS0_4arch9wavefront6targetE0EEEvSN_ ; -- Begin function _ZN7rocprim17ROCPRIM_400000_NS6detail17trampoline_kernelINS0_14default_configENS1_35radix_sort_onesweep_config_selectorIjN6thrust23THRUST_200600_302600_NS5tupleIffNS6_9null_typeES8_S8_S8_S8_S8_S8_S8_EEEEZZNS1_29radix_sort_onesweep_iterationIS3_Lb0ENS6_6detail15normal_iteratorINS6_10device_ptrIjEEEESG_NSD_INSE_IS9_EEEESI_jNS0_19identity_decomposerENS1_16block_id_wrapperIjLb1EEEEE10hipError_tT1_PNSt15iterator_traitsISN_E10value_typeET2_T3_PNSO_IST_E10value_typeET4_T5_PSY_SZ_PNS1_23onesweep_lookback_stateEbbT6_jjT7_P12ihipStream_tbENKUlT_T0_SN_SS_E_clISG_PjSI_PS9_EEDaS16_S17_SN_SS_EUlS16_E_NS1_11comp_targetILNS1_3genE5ELNS1_11target_archE942ELNS1_3gpuE9ELNS1_3repE0EEENS1_47radix_sort_onesweep_sort_config_static_selectorELNS0_4arch9wavefront6targetE0EEEvSN_
	.globl	_ZN7rocprim17ROCPRIM_400000_NS6detail17trampoline_kernelINS0_14default_configENS1_35radix_sort_onesweep_config_selectorIjN6thrust23THRUST_200600_302600_NS5tupleIffNS6_9null_typeES8_S8_S8_S8_S8_S8_S8_EEEEZZNS1_29radix_sort_onesweep_iterationIS3_Lb0ENS6_6detail15normal_iteratorINS6_10device_ptrIjEEEESG_NSD_INSE_IS9_EEEESI_jNS0_19identity_decomposerENS1_16block_id_wrapperIjLb1EEEEE10hipError_tT1_PNSt15iterator_traitsISN_E10value_typeET2_T3_PNSO_IST_E10value_typeET4_T5_PSY_SZ_PNS1_23onesweep_lookback_stateEbbT6_jjT7_P12ihipStream_tbENKUlT_T0_SN_SS_E_clISG_PjSI_PS9_EEDaS16_S17_SN_SS_EUlS16_E_NS1_11comp_targetILNS1_3genE5ELNS1_11target_archE942ELNS1_3gpuE9ELNS1_3repE0EEENS1_47radix_sort_onesweep_sort_config_static_selectorELNS0_4arch9wavefront6targetE0EEEvSN_
	.p2align	8
	.type	_ZN7rocprim17ROCPRIM_400000_NS6detail17trampoline_kernelINS0_14default_configENS1_35radix_sort_onesweep_config_selectorIjN6thrust23THRUST_200600_302600_NS5tupleIffNS6_9null_typeES8_S8_S8_S8_S8_S8_S8_EEEEZZNS1_29radix_sort_onesweep_iterationIS3_Lb0ENS6_6detail15normal_iteratorINS6_10device_ptrIjEEEESG_NSD_INSE_IS9_EEEESI_jNS0_19identity_decomposerENS1_16block_id_wrapperIjLb1EEEEE10hipError_tT1_PNSt15iterator_traitsISN_E10value_typeET2_T3_PNSO_IST_E10value_typeET4_T5_PSY_SZ_PNS1_23onesweep_lookback_stateEbbT6_jjT7_P12ihipStream_tbENKUlT_T0_SN_SS_E_clISG_PjSI_PS9_EEDaS16_S17_SN_SS_EUlS16_E_NS1_11comp_targetILNS1_3genE5ELNS1_11target_archE942ELNS1_3gpuE9ELNS1_3repE0EEENS1_47radix_sort_onesweep_sort_config_static_selectorELNS0_4arch9wavefront6targetE0EEEvSN_,@function
_ZN7rocprim17ROCPRIM_400000_NS6detail17trampoline_kernelINS0_14default_configENS1_35radix_sort_onesweep_config_selectorIjN6thrust23THRUST_200600_302600_NS5tupleIffNS6_9null_typeES8_S8_S8_S8_S8_S8_S8_EEEEZZNS1_29radix_sort_onesweep_iterationIS3_Lb0ENS6_6detail15normal_iteratorINS6_10device_ptrIjEEEESG_NSD_INSE_IS9_EEEESI_jNS0_19identity_decomposerENS1_16block_id_wrapperIjLb1EEEEE10hipError_tT1_PNSt15iterator_traitsISN_E10value_typeET2_T3_PNSO_IST_E10value_typeET4_T5_PSY_SZ_PNS1_23onesweep_lookback_stateEbbT6_jjT7_P12ihipStream_tbENKUlT_T0_SN_SS_E_clISG_PjSI_PS9_EEDaS16_S17_SN_SS_EUlS16_E_NS1_11comp_targetILNS1_3genE5ELNS1_11target_archE942ELNS1_3gpuE9ELNS1_3repE0EEENS1_47radix_sort_onesweep_sort_config_static_selectorELNS0_4arch9wavefront6targetE0EEEvSN_: ; @_ZN7rocprim17ROCPRIM_400000_NS6detail17trampoline_kernelINS0_14default_configENS1_35radix_sort_onesweep_config_selectorIjN6thrust23THRUST_200600_302600_NS5tupleIffNS6_9null_typeES8_S8_S8_S8_S8_S8_S8_EEEEZZNS1_29radix_sort_onesweep_iterationIS3_Lb0ENS6_6detail15normal_iteratorINS6_10device_ptrIjEEEESG_NSD_INSE_IS9_EEEESI_jNS0_19identity_decomposerENS1_16block_id_wrapperIjLb1EEEEE10hipError_tT1_PNSt15iterator_traitsISN_E10value_typeET2_T3_PNSO_IST_E10value_typeET4_T5_PSY_SZ_PNS1_23onesweep_lookback_stateEbbT6_jjT7_P12ihipStream_tbENKUlT_T0_SN_SS_E_clISG_PjSI_PS9_EEDaS16_S17_SN_SS_EUlS16_E_NS1_11comp_targetILNS1_3genE5ELNS1_11target_archE942ELNS1_3gpuE9ELNS1_3repE0EEENS1_47radix_sort_onesweep_sort_config_static_selectorELNS0_4arch9wavefront6targetE0EEEvSN_
; %bb.0:
	.section	.rodata,"a",@progbits
	.p2align	6, 0x0
	.amdhsa_kernel _ZN7rocprim17ROCPRIM_400000_NS6detail17trampoline_kernelINS0_14default_configENS1_35radix_sort_onesweep_config_selectorIjN6thrust23THRUST_200600_302600_NS5tupleIffNS6_9null_typeES8_S8_S8_S8_S8_S8_S8_EEEEZZNS1_29radix_sort_onesweep_iterationIS3_Lb0ENS6_6detail15normal_iteratorINS6_10device_ptrIjEEEESG_NSD_INSE_IS9_EEEESI_jNS0_19identity_decomposerENS1_16block_id_wrapperIjLb1EEEEE10hipError_tT1_PNSt15iterator_traitsISN_E10value_typeET2_T3_PNSO_IST_E10value_typeET4_T5_PSY_SZ_PNS1_23onesweep_lookback_stateEbbT6_jjT7_P12ihipStream_tbENKUlT_T0_SN_SS_E_clISG_PjSI_PS9_EEDaS16_S17_SN_SS_EUlS16_E_NS1_11comp_targetILNS1_3genE5ELNS1_11target_archE942ELNS1_3gpuE9ELNS1_3repE0EEENS1_47radix_sort_onesweep_sort_config_static_selectorELNS0_4arch9wavefront6targetE0EEEvSN_
		.amdhsa_group_segment_fixed_size 0
		.amdhsa_private_segment_fixed_size 0
		.amdhsa_kernarg_size 88
		.amdhsa_user_sgpr_count 6
		.amdhsa_user_sgpr_private_segment_buffer 1
		.amdhsa_user_sgpr_dispatch_ptr 0
		.amdhsa_user_sgpr_queue_ptr 0
		.amdhsa_user_sgpr_kernarg_segment_ptr 1
		.amdhsa_user_sgpr_dispatch_id 0
		.amdhsa_user_sgpr_flat_scratch_init 0
		.amdhsa_user_sgpr_private_segment_size 0
		.amdhsa_wavefront_size32 1
		.amdhsa_uses_dynamic_stack 0
		.amdhsa_system_sgpr_private_segment_wavefront_offset 0
		.amdhsa_system_sgpr_workgroup_id_x 1
		.amdhsa_system_sgpr_workgroup_id_y 0
		.amdhsa_system_sgpr_workgroup_id_z 0
		.amdhsa_system_sgpr_workgroup_info 0
		.amdhsa_system_vgpr_workitem_id 0
		.amdhsa_next_free_vgpr 1
		.amdhsa_next_free_sgpr 1
		.amdhsa_reserve_vcc 0
		.amdhsa_reserve_flat_scratch 0
		.amdhsa_float_round_mode_32 0
		.amdhsa_float_round_mode_16_64 0
		.amdhsa_float_denorm_mode_32 3
		.amdhsa_float_denorm_mode_16_64 3
		.amdhsa_dx10_clamp 1
		.amdhsa_ieee_mode 1
		.amdhsa_fp16_overflow 0
		.amdhsa_workgroup_processor_mode 1
		.amdhsa_memory_ordered 1
		.amdhsa_forward_progress 1
		.amdhsa_shared_vgpr_count 0
		.amdhsa_exception_fp_ieee_invalid_op 0
		.amdhsa_exception_fp_denorm_src 0
		.amdhsa_exception_fp_ieee_div_zero 0
		.amdhsa_exception_fp_ieee_overflow 0
		.amdhsa_exception_fp_ieee_underflow 0
		.amdhsa_exception_fp_ieee_inexact 0
		.amdhsa_exception_int_div_zero 0
	.end_amdhsa_kernel
	.section	.text._ZN7rocprim17ROCPRIM_400000_NS6detail17trampoline_kernelINS0_14default_configENS1_35radix_sort_onesweep_config_selectorIjN6thrust23THRUST_200600_302600_NS5tupleIffNS6_9null_typeES8_S8_S8_S8_S8_S8_S8_EEEEZZNS1_29radix_sort_onesweep_iterationIS3_Lb0ENS6_6detail15normal_iteratorINS6_10device_ptrIjEEEESG_NSD_INSE_IS9_EEEESI_jNS0_19identity_decomposerENS1_16block_id_wrapperIjLb1EEEEE10hipError_tT1_PNSt15iterator_traitsISN_E10value_typeET2_T3_PNSO_IST_E10value_typeET4_T5_PSY_SZ_PNS1_23onesweep_lookback_stateEbbT6_jjT7_P12ihipStream_tbENKUlT_T0_SN_SS_E_clISG_PjSI_PS9_EEDaS16_S17_SN_SS_EUlS16_E_NS1_11comp_targetILNS1_3genE5ELNS1_11target_archE942ELNS1_3gpuE9ELNS1_3repE0EEENS1_47radix_sort_onesweep_sort_config_static_selectorELNS0_4arch9wavefront6targetE0EEEvSN_,"axG",@progbits,_ZN7rocprim17ROCPRIM_400000_NS6detail17trampoline_kernelINS0_14default_configENS1_35radix_sort_onesweep_config_selectorIjN6thrust23THRUST_200600_302600_NS5tupleIffNS6_9null_typeES8_S8_S8_S8_S8_S8_S8_EEEEZZNS1_29radix_sort_onesweep_iterationIS3_Lb0ENS6_6detail15normal_iteratorINS6_10device_ptrIjEEEESG_NSD_INSE_IS9_EEEESI_jNS0_19identity_decomposerENS1_16block_id_wrapperIjLb1EEEEE10hipError_tT1_PNSt15iterator_traitsISN_E10value_typeET2_T3_PNSO_IST_E10value_typeET4_T5_PSY_SZ_PNS1_23onesweep_lookback_stateEbbT6_jjT7_P12ihipStream_tbENKUlT_T0_SN_SS_E_clISG_PjSI_PS9_EEDaS16_S17_SN_SS_EUlS16_E_NS1_11comp_targetILNS1_3genE5ELNS1_11target_archE942ELNS1_3gpuE9ELNS1_3repE0EEENS1_47radix_sort_onesweep_sort_config_static_selectorELNS0_4arch9wavefront6targetE0EEEvSN_,comdat
.Lfunc_end186:
	.size	_ZN7rocprim17ROCPRIM_400000_NS6detail17trampoline_kernelINS0_14default_configENS1_35radix_sort_onesweep_config_selectorIjN6thrust23THRUST_200600_302600_NS5tupleIffNS6_9null_typeES8_S8_S8_S8_S8_S8_S8_EEEEZZNS1_29radix_sort_onesweep_iterationIS3_Lb0ENS6_6detail15normal_iteratorINS6_10device_ptrIjEEEESG_NSD_INSE_IS9_EEEESI_jNS0_19identity_decomposerENS1_16block_id_wrapperIjLb1EEEEE10hipError_tT1_PNSt15iterator_traitsISN_E10value_typeET2_T3_PNSO_IST_E10value_typeET4_T5_PSY_SZ_PNS1_23onesweep_lookback_stateEbbT6_jjT7_P12ihipStream_tbENKUlT_T0_SN_SS_E_clISG_PjSI_PS9_EEDaS16_S17_SN_SS_EUlS16_E_NS1_11comp_targetILNS1_3genE5ELNS1_11target_archE942ELNS1_3gpuE9ELNS1_3repE0EEENS1_47radix_sort_onesweep_sort_config_static_selectorELNS0_4arch9wavefront6targetE0EEEvSN_, .Lfunc_end186-_ZN7rocprim17ROCPRIM_400000_NS6detail17trampoline_kernelINS0_14default_configENS1_35radix_sort_onesweep_config_selectorIjN6thrust23THRUST_200600_302600_NS5tupleIffNS6_9null_typeES8_S8_S8_S8_S8_S8_S8_EEEEZZNS1_29radix_sort_onesweep_iterationIS3_Lb0ENS6_6detail15normal_iteratorINS6_10device_ptrIjEEEESG_NSD_INSE_IS9_EEEESI_jNS0_19identity_decomposerENS1_16block_id_wrapperIjLb1EEEEE10hipError_tT1_PNSt15iterator_traitsISN_E10value_typeET2_T3_PNSO_IST_E10value_typeET4_T5_PSY_SZ_PNS1_23onesweep_lookback_stateEbbT6_jjT7_P12ihipStream_tbENKUlT_T0_SN_SS_E_clISG_PjSI_PS9_EEDaS16_S17_SN_SS_EUlS16_E_NS1_11comp_targetILNS1_3genE5ELNS1_11target_archE942ELNS1_3gpuE9ELNS1_3repE0EEENS1_47radix_sort_onesweep_sort_config_static_selectorELNS0_4arch9wavefront6targetE0EEEvSN_
                                        ; -- End function
	.set _ZN7rocprim17ROCPRIM_400000_NS6detail17trampoline_kernelINS0_14default_configENS1_35radix_sort_onesweep_config_selectorIjN6thrust23THRUST_200600_302600_NS5tupleIffNS6_9null_typeES8_S8_S8_S8_S8_S8_S8_EEEEZZNS1_29radix_sort_onesweep_iterationIS3_Lb0ENS6_6detail15normal_iteratorINS6_10device_ptrIjEEEESG_NSD_INSE_IS9_EEEESI_jNS0_19identity_decomposerENS1_16block_id_wrapperIjLb1EEEEE10hipError_tT1_PNSt15iterator_traitsISN_E10value_typeET2_T3_PNSO_IST_E10value_typeET4_T5_PSY_SZ_PNS1_23onesweep_lookback_stateEbbT6_jjT7_P12ihipStream_tbENKUlT_T0_SN_SS_E_clISG_PjSI_PS9_EEDaS16_S17_SN_SS_EUlS16_E_NS1_11comp_targetILNS1_3genE5ELNS1_11target_archE942ELNS1_3gpuE9ELNS1_3repE0EEENS1_47radix_sort_onesweep_sort_config_static_selectorELNS0_4arch9wavefront6targetE0EEEvSN_.num_vgpr, 0
	.set _ZN7rocprim17ROCPRIM_400000_NS6detail17trampoline_kernelINS0_14default_configENS1_35radix_sort_onesweep_config_selectorIjN6thrust23THRUST_200600_302600_NS5tupleIffNS6_9null_typeES8_S8_S8_S8_S8_S8_S8_EEEEZZNS1_29radix_sort_onesweep_iterationIS3_Lb0ENS6_6detail15normal_iteratorINS6_10device_ptrIjEEEESG_NSD_INSE_IS9_EEEESI_jNS0_19identity_decomposerENS1_16block_id_wrapperIjLb1EEEEE10hipError_tT1_PNSt15iterator_traitsISN_E10value_typeET2_T3_PNSO_IST_E10value_typeET4_T5_PSY_SZ_PNS1_23onesweep_lookback_stateEbbT6_jjT7_P12ihipStream_tbENKUlT_T0_SN_SS_E_clISG_PjSI_PS9_EEDaS16_S17_SN_SS_EUlS16_E_NS1_11comp_targetILNS1_3genE5ELNS1_11target_archE942ELNS1_3gpuE9ELNS1_3repE0EEENS1_47radix_sort_onesweep_sort_config_static_selectorELNS0_4arch9wavefront6targetE0EEEvSN_.num_agpr, 0
	.set _ZN7rocprim17ROCPRIM_400000_NS6detail17trampoline_kernelINS0_14default_configENS1_35radix_sort_onesweep_config_selectorIjN6thrust23THRUST_200600_302600_NS5tupleIffNS6_9null_typeES8_S8_S8_S8_S8_S8_S8_EEEEZZNS1_29radix_sort_onesweep_iterationIS3_Lb0ENS6_6detail15normal_iteratorINS6_10device_ptrIjEEEESG_NSD_INSE_IS9_EEEESI_jNS0_19identity_decomposerENS1_16block_id_wrapperIjLb1EEEEE10hipError_tT1_PNSt15iterator_traitsISN_E10value_typeET2_T3_PNSO_IST_E10value_typeET4_T5_PSY_SZ_PNS1_23onesweep_lookback_stateEbbT6_jjT7_P12ihipStream_tbENKUlT_T0_SN_SS_E_clISG_PjSI_PS9_EEDaS16_S17_SN_SS_EUlS16_E_NS1_11comp_targetILNS1_3genE5ELNS1_11target_archE942ELNS1_3gpuE9ELNS1_3repE0EEENS1_47radix_sort_onesweep_sort_config_static_selectorELNS0_4arch9wavefront6targetE0EEEvSN_.numbered_sgpr, 0
	.set _ZN7rocprim17ROCPRIM_400000_NS6detail17trampoline_kernelINS0_14default_configENS1_35radix_sort_onesweep_config_selectorIjN6thrust23THRUST_200600_302600_NS5tupleIffNS6_9null_typeES8_S8_S8_S8_S8_S8_S8_EEEEZZNS1_29radix_sort_onesweep_iterationIS3_Lb0ENS6_6detail15normal_iteratorINS6_10device_ptrIjEEEESG_NSD_INSE_IS9_EEEESI_jNS0_19identity_decomposerENS1_16block_id_wrapperIjLb1EEEEE10hipError_tT1_PNSt15iterator_traitsISN_E10value_typeET2_T3_PNSO_IST_E10value_typeET4_T5_PSY_SZ_PNS1_23onesweep_lookback_stateEbbT6_jjT7_P12ihipStream_tbENKUlT_T0_SN_SS_E_clISG_PjSI_PS9_EEDaS16_S17_SN_SS_EUlS16_E_NS1_11comp_targetILNS1_3genE5ELNS1_11target_archE942ELNS1_3gpuE9ELNS1_3repE0EEENS1_47radix_sort_onesweep_sort_config_static_selectorELNS0_4arch9wavefront6targetE0EEEvSN_.num_named_barrier, 0
	.set _ZN7rocprim17ROCPRIM_400000_NS6detail17trampoline_kernelINS0_14default_configENS1_35radix_sort_onesweep_config_selectorIjN6thrust23THRUST_200600_302600_NS5tupleIffNS6_9null_typeES8_S8_S8_S8_S8_S8_S8_EEEEZZNS1_29radix_sort_onesweep_iterationIS3_Lb0ENS6_6detail15normal_iteratorINS6_10device_ptrIjEEEESG_NSD_INSE_IS9_EEEESI_jNS0_19identity_decomposerENS1_16block_id_wrapperIjLb1EEEEE10hipError_tT1_PNSt15iterator_traitsISN_E10value_typeET2_T3_PNSO_IST_E10value_typeET4_T5_PSY_SZ_PNS1_23onesweep_lookback_stateEbbT6_jjT7_P12ihipStream_tbENKUlT_T0_SN_SS_E_clISG_PjSI_PS9_EEDaS16_S17_SN_SS_EUlS16_E_NS1_11comp_targetILNS1_3genE5ELNS1_11target_archE942ELNS1_3gpuE9ELNS1_3repE0EEENS1_47radix_sort_onesweep_sort_config_static_selectorELNS0_4arch9wavefront6targetE0EEEvSN_.private_seg_size, 0
	.set _ZN7rocprim17ROCPRIM_400000_NS6detail17trampoline_kernelINS0_14default_configENS1_35radix_sort_onesweep_config_selectorIjN6thrust23THRUST_200600_302600_NS5tupleIffNS6_9null_typeES8_S8_S8_S8_S8_S8_S8_EEEEZZNS1_29radix_sort_onesweep_iterationIS3_Lb0ENS6_6detail15normal_iteratorINS6_10device_ptrIjEEEESG_NSD_INSE_IS9_EEEESI_jNS0_19identity_decomposerENS1_16block_id_wrapperIjLb1EEEEE10hipError_tT1_PNSt15iterator_traitsISN_E10value_typeET2_T3_PNSO_IST_E10value_typeET4_T5_PSY_SZ_PNS1_23onesweep_lookback_stateEbbT6_jjT7_P12ihipStream_tbENKUlT_T0_SN_SS_E_clISG_PjSI_PS9_EEDaS16_S17_SN_SS_EUlS16_E_NS1_11comp_targetILNS1_3genE5ELNS1_11target_archE942ELNS1_3gpuE9ELNS1_3repE0EEENS1_47radix_sort_onesweep_sort_config_static_selectorELNS0_4arch9wavefront6targetE0EEEvSN_.uses_vcc, 0
	.set _ZN7rocprim17ROCPRIM_400000_NS6detail17trampoline_kernelINS0_14default_configENS1_35radix_sort_onesweep_config_selectorIjN6thrust23THRUST_200600_302600_NS5tupleIffNS6_9null_typeES8_S8_S8_S8_S8_S8_S8_EEEEZZNS1_29radix_sort_onesweep_iterationIS3_Lb0ENS6_6detail15normal_iteratorINS6_10device_ptrIjEEEESG_NSD_INSE_IS9_EEEESI_jNS0_19identity_decomposerENS1_16block_id_wrapperIjLb1EEEEE10hipError_tT1_PNSt15iterator_traitsISN_E10value_typeET2_T3_PNSO_IST_E10value_typeET4_T5_PSY_SZ_PNS1_23onesweep_lookback_stateEbbT6_jjT7_P12ihipStream_tbENKUlT_T0_SN_SS_E_clISG_PjSI_PS9_EEDaS16_S17_SN_SS_EUlS16_E_NS1_11comp_targetILNS1_3genE5ELNS1_11target_archE942ELNS1_3gpuE9ELNS1_3repE0EEENS1_47radix_sort_onesweep_sort_config_static_selectorELNS0_4arch9wavefront6targetE0EEEvSN_.uses_flat_scratch, 0
	.set _ZN7rocprim17ROCPRIM_400000_NS6detail17trampoline_kernelINS0_14default_configENS1_35radix_sort_onesweep_config_selectorIjN6thrust23THRUST_200600_302600_NS5tupleIffNS6_9null_typeES8_S8_S8_S8_S8_S8_S8_EEEEZZNS1_29radix_sort_onesweep_iterationIS3_Lb0ENS6_6detail15normal_iteratorINS6_10device_ptrIjEEEESG_NSD_INSE_IS9_EEEESI_jNS0_19identity_decomposerENS1_16block_id_wrapperIjLb1EEEEE10hipError_tT1_PNSt15iterator_traitsISN_E10value_typeET2_T3_PNSO_IST_E10value_typeET4_T5_PSY_SZ_PNS1_23onesweep_lookback_stateEbbT6_jjT7_P12ihipStream_tbENKUlT_T0_SN_SS_E_clISG_PjSI_PS9_EEDaS16_S17_SN_SS_EUlS16_E_NS1_11comp_targetILNS1_3genE5ELNS1_11target_archE942ELNS1_3gpuE9ELNS1_3repE0EEENS1_47radix_sort_onesweep_sort_config_static_selectorELNS0_4arch9wavefront6targetE0EEEvSN_.has_dyn_sized_stack, 0
	.set _ZN7rocprim17ROCPRIM_400000_NS6detail17trampoline_kernelINS0_14default_configENS1_35radix_sort_onesweep_config_selectorIjN6thrust23THRUST_200600_302600_NS5tupleIffNS6_9null_typeES8_S8_S8_S8_S8_S8_S8_EEEEZZNS1_29radix_sort_onesweep_iterationIS3_Lb0ENS6_6detail15normal_iteratorINS6_10device_ptrIjEEEESG_NSD_INSE_IS9_EEEESI_jNS0_19identity_decomposerENS1_16block_id_wrapperIjLb1EEEEE10hipError_tT1_PNSt15iterator_traitsISN_E10value_typeET2_T3_PNSO_IST_E10value_typeET4_T5_PSY_SZ_PNS1_23onesweep_lookback_stateEbbT6_jjT7_P12ihipStream_tbENKUlT_T0_SN_SS_E_clISG_PjSI_PS9_EEDaS16_S17_SN_SS_EUlS16_E_NS1_11comp_targetILNS1_3genE5ELNS1_11target_archE942ELNS1_3gpuE9ELNS1_3repE0EEENS1_47radix_sort_onesweep_sort_config_static_selectorELNS0_4arch9wavefront6targetE0EEEvSN_.has_recursion, 0
	.set _ZN7rocprim17ROCPRIM_400000_NS6detail17trampoline_kernelINS0_14default_configENS1_35radix_sort_onesweep_config_selectorIjN6thrust23THRUST_200600_302600_NS5tupleIffNS6_9null_typeES8_S8_S8_S8_S8_S8_S8_EEEEZZNS1_29radix_sort_onesweep_iterationIS3_Lb0ENS6_6detail15normal_iteratorINS6_10device_ptrIjEEEESG_NSD_INSE_IS9_EEEESI_jNS0_19identity_decomposerENS1_16block_id_wrapperIjLb1EEEEE10hipError_tT1_PNSt15iterator_traitsISN_E10value_typeET2_T3_PNSO_IST_E10value_typeET4_T5_PSY_SZ_PNS1_23onesweep_lookback_stateEbbT6_jjT7_P12ihipStream_tbENKUlT_T0_SN_SS_E_clISG_PjSI_PS9_EEDaS16_S17_SN_SS_EUlS16_E_NS1_11comp_targetILNS1_3genE5ELNS1_11target_archE942ELNS1_3gpuE9ELNS1_3repE0EEENS1_47radix_sort_onesweep_sort_config_static_selectorELNS0_4arch9wavefront6targetE0EEEvSN_.has_indirect_call, 0
	.section	.AMDGPU.csdata,"",@progbits
; Kernel info:
; codeLenInByte = 0
; TotalNumSgprs: 0
; NumVgprs: 0
; ScratchSize: 0
; MemoryBound: 0
; FloatMode: 240
; IeeeMode: 1
; LDSByteSize: 0 bytes/workgroup (compile time only)
; SGPRBlocks: 0
; VGPRBlocks: 0
; NumSGPRsForWavesPerEU: 1
; NumVGPRsForWavesPerEU: 1
; Occupancy: 16
; WaveLimiterHint : 0
; COMPUTE_PGM_RSRC2:SCRATCH_EN: 0
; COMPUTE_PGM_RSRC2:USER_SGPR: 6
; COMPUTE_PGM_RSRC2:TRAP_HANDLER: 0
; COMPUTE_PGM_RSRC2:TGID_X_EN: 1
; COMPUTE_PGM_RSRC2:TGID_Y_EN: 0
; COMPUTE_PGM_RSRC2:TGID_Z_EN: 0
; COMPUTE_PGM_RSRC2:TIDIG_COMP_CNT: 0
	.section	.text._ZN7rocprim17ROCPRIM_400000_NS6detail17trampoline_kernelINS0_14default_configENS1_35radix_sort_onesweep_config_selectorIjN6thrust23THRUST_200600_302600_NS5tupleIffNS6_9null_typeES8_S8_S8_S8_S8_S8_S8_EEEEZZNS1_29radix_sort_onesweep_iterationIS3_Lb0ENS6_6detail15normal_iteratorINS6_10device_ptrIjEEEESG_NSD_INSE_IS9_EEEESI_jNS0_19identity_decomposerENS1_16block_id_wrapperIjLb1EEEEE10hipError_tT1_PNSt15iterator_traitsISN_E10value_typeET2_T3_PNSO_IST_E10value_typeET4_T5_PSY_SZ_PNS1_23onesweep_lookback_stateEbbT6_jjT7_P12ihipStream_tbENKUlT_T0_SN_SS_E_clISG_PjSI_PS9_EEDaS16_S17_SN_SS_EUlS16_E_NS1_11comp_targetILNS1_3genE2ELNS1_11target_archE906ELNS1_3gpuE6ELNS1_3repE0EEENS1_47radix_sort_onesweep_sort_config_static_selectorELNS0_4arch9wavefront6targetE0EEEvSN_,"axG",@progbits,_ZN7rocprim17ROCPRIM_400000_NS6detail17trampoline_kernelINS0_14default_configENS1_35radix_sort_onesweep_config_selectorIjN6thrust23THRUST_200600_302600_NS5tupleIffNS6_9null_typeES8_S8_S8_S8_S8_S8_S8_EEEEZZNS1_29radix_sort_onesweep_iterationIS3_Lb0ENS6_6detail15normal_iteratorINS6_10device_ptrIjEEEESG_NSD_INSE_IS9_EEEESI_jNS0_19identity_decomposerENS1_16block_id_wrapperIjLb1EEEEE10hipError_tT1_PNSt15iterator_traitsISN_E10value_typeET2_T3_PNSO_IST_E10value_typeET4_T5_PSY_SZ_PNS1_23onesweep_lookback_stateEbbT6_jjT7_P12ihipStream_tbENKUlT_T0_SN_SS_E_clISG_PjSI_PS9_EEDaS16_S17_SN_SS_EUlS16_E_NS1_11comp_targetILNS1_3genE2ELNS1_11target_archE906ELNS1_3gpuE6ELNS1_3repE0EEENS1_47radix_sort_onesweep_sort_config_static_selectorELNS0_4arch9wavefront6targetE0EEEvSN_,comdat
	.protected	_ZN7rocprim17ROCPRIM_400000_NS6detail17trampoline_kernelINS0_14default_configENS1_35radix_sort_onesweep_config_selectorIjN6thrust23THRUST_200600_302600_NS5tupleIffNS6_9null_typeES8_S8_S8_S8_S8_S8_S8_EEEEZZNS1_29radix_sort_onesweep_iterationIS3_Lb0ENS6_6detail15normal_iteratorINS6_10device_ptrIjEEEESG_NSD_INSE_IS9_EEEESI_jNS0_19identity_decomposerENS1_16block_id_wrapperIjLb1EEEEE10hipError_tT1_PNSt15iterator_traitsISN_E10value_typeET2_T3_PNSO_IST_E10value_typeET4_T5_PSY_SZ_PNS1_23onesweep_lookback_stateEbbT6_jjT7_P12ihipStream_tbENKUlT_T0_SN_SS_E_clISG_PjSI_PS9_EEDaS16_S17_SN_SS_EUlS16_E_NS1_11comp_targetILNS1_3genE2ELNS1_11target_archE906ELNS1_3gpuE6ELNS1_3repE0EEENS1_47radix_sort_onesweep_sort_config_static_selectorELNS0_4arch9wavefront6targetE0EEEvSN_ ; -- Begin function _ZN7rocprim17ROCPRIM_400000_NS6detail17trampoline_kernelINS0_14default_configENS1_35radix_sort_onesweep_config_selectorIjN6thrust23THRUST_200600_302600_NS5tupleIffNS6_9null_typeES8_S8_S8_S8_S8_S8_S8_EEEEZZNS1_29radix_sort_onesweep_iterationIS3_Lb0ENS6_6detail15normal_iteratorINS6_10device_ptrIjEEEESG_NSD_INSE_IS9_EEEESI_jNS0_19identity_decomposerENS1_16block_id_wrapperIjLb1EEEEE10hipError_tT1_PNSt15iterator_traitsISN_E10value_typeET2_T3_PNSO_IST_E10value_typeET4_T5_PSY_SZ_PNS1_23onesweep_lookback_stateEbbT6_jjT7_P12ihipStream_tbENKUlT_T0_SN_SS_E_clISG_PjSI_PS9_EEDaS16_S17_SN_SS_EUlS16_E_NS1_11comp_targetILNS1_3genE2ELNS1_11target_archE906ELNS1_3gpuE6ELNS1_3repE0EEENS1_47radix_sort_onesweep_sort_config_static_selectorELNS0_4arch9wavefront6targetE0EEEvSN_
	.globl	_ZN7rocprim17ROCPRIM_400000_NS6detail17trampoline_kernelINS0_14default_configENS1_35radix_sort_onesweep_config_selectorIjN6thrust23THRUST_200600_302600_NS5tupleIffNS6_9null_typeES8_S8_S8_S8_S8_S8_S8_EEEEZZNS1_29radix_sort_onesweep_iterationIS3_Lb0ENS6_6detail15normal_iteratorINS6_10device_ptrIjEEEESG_NSD_INSE_IS9_EEEESI_jNS0_19identity_decomposerENS1_16block_id_wrapperIjLb1EEEEE10hipError_tT1_PNSt15iterator_traitsISN_E10value_typeET2_T3_PNSO_IST_E10value_typeET4_T5_PSY_SZ_PNS1_23onesweep_lookback_stateEbbT6_jjT7_P12ihipStream_tbENKUlT_T0_SN_SS_E_clISG_PjSI_PS9_EEDaS16_S17_SN_SS_EUlS16_E_NS1_11comp_targetILNS1_3genE2ELNS1_11target_archE906ELNS1_3gpuE6ELNS1_3repE0EEENS1_47radix_sort_onesweep_sort_config_static_selectorELNS0_4arch9wavefront6targetE0EEEvSN_
	.p2align	8
	.type	_ZN7rocprim17ROCPRIM_400000_NS6detail17trampoline_kernelINS0_14default_configENS1_35radix_sort_onesweep_config_selectorIjN6thrust23THRUST_200600_302600_NS5tupleIffNS6_9null_typeES8_S8_S8_S8_S8_S8_S8_EEEEZZNS1_29radix_sort_onesweep_iterationIS3_Lb0ENS6_6detail15normal_iteratorINS6_10device_ptrIjEEEESG_NSD_INSE_IS9_EEEESI_jNS0_19identity_decomposerENS1_16block_id_wrapperIjLb1EEEEE10hipError_tT1_PNSt15iterator_traitsISN_E10value_typeET2_T3_PNSO_IST_E10value_typeET4_T5_PSY_SZ_PNS1_23onesweep_lookback_stateEbbT6_jjT7_P12ihipStream_tbENKUlT_T0_SN_SS_E_clISG_PjSI_PS9_EEDaS16_S17_SN_SS_EUlS16_E_NS1_11comp_targetILNS1_3genE2ELNS1_11target_archE906ELNS1_3gpuE6ELNS1_3repE0EEENS1_47radix_sort_onesweep_sort_config_static_selectorELNS0_4arch9wavefront6targetE0EEEvSN_,@function
_ZN7rocprim17ROCPRIM_400000_NS6detail17trampoline_kernelINS0_14default_configENS1_35radix_sort_onesweep_config_selectorIjN6thrust23THRUST_200600_302600_NS5tupleIffNS6_9null_typeES8_S8_S8_S8_S8_S8_S8_EEEEZZNS1_29radix_sort_onesweep_iterationIS3_Lb0ENS6_6detail15normal_iteratorINS6_10device_ptrIjEEEESG_NSD_INSE_IS9_EEEESI_jNS0_19identity_decomposerENS1_16block_id_wrapperIjLb1EEEEE10hipError_tT1_PNSt15iterator_traitsISN_E10value_typeET2_T3_PNSO_IST_E10value_typeET4_T5_PSY_SZ_PNS1_23onesweep_lookback_stateEbbT6_jjT7_P12ihipStream_tbENKUlT_T0_SN_SS_E_clISG_PjSI_PS9_EEDaS16_S17_SN_SS_EUlS16_E_NS1_11comp_targetILNS1_3genE2ELNS1_11target_archE906ELNS1_3gpuE6ELNS1_3repE0EEENS1_47radix_sort_onesweep_sort_config_static_selectorELNS0_4arch9wavefront6targetE0EEEvSN_: ; @_ZN7rocprim17ROCPRIM_400000_NS6detail17trampoline_kernelINS0_14default_configENS1_35radix_sort_onesweep_config_selectorIjN6thrust23THRUST_200600_302600_NS5tupleIffNS6_9null_typeES8_S8_S8_S8_S8_S8_S8_EEEEZZNS1_29radix_sort_onesweep_iterationIS3_Lb0ENS6_6detail15normal_iteratorINS6_10device_ptrIjEEEESG_NSD_INSE_IS9_EEEESI_jNS0_19identity_decomposerENS1_16block_id_wrapperIjLb1EEEEE10hipError_tT1_PNSt15iterator_traitsISN_E10value_typeET2_T3_PNSO_IST_E10value_typeET4_T5_PSY_SZ_PNS1_23onesweep_lookback_stateEbbT6_jjT7_P12ihipStream_tbENKUlT_T0_SN_SS_E_clISG_PjSI_PS9_EEDaS16_S17_SN_SS_EUlS16_E_NS1_11comp_targetILNS1_3genE2ELNS1_11target_archE906ELNS1_3gpuE6ELNS1_3repE0EEENS1_47radix_sort_onesweep_sort_config_static_selectorELNS0_4arch9wavefront6targetE0EEEvSN_
; %bb.0:
	.section	.rodata,"a",@progbits
	.p2align	6, 0x0
	.amdhsa_kernel _ZN7rocprim17ROCPRIM_400000_NS6detail17trampoline_kernelINS0_14default_configENS1_35radix_sort_onesweep_config_selectorIjN6thrust23THRUST_200600_302600_NS5tupleIffNS6_9null_typeES8_S8_S8_S8_S8_S8_S8_EEEEZZNS1_29radix_sort_onesweep_iterationIS3_Lb0ENS6_6detail15normal_iteratorINS6_10device_ptrIjEEEESG_NSD_INSE_IS9_EEEESI_jNS0_19identity_decomposerENS1_16block_id_wrapperIjLb1EEEEE10hipError_tT1_PNSt15iterator_traitsISN_E10value_typeET2_T3_PNSO_IST_E10value_typeET4_T5_PSY_SZ_PNS1_23onesweep_lookback_stateEbbT6_jjT7_P12ihipStream_tbENKUlT_T0_SN_SS_E_clISG_PjSI_PS9_EEDaS16_S17_SN_SS_EUlS16_E_NS1_11comp_targetILNS1_3genE2ELNS1_11target_archE906ELNS1_3gpuE6ELNS1_3repE0EEENS1_47radix_sort_onesweep_sort_config_static_selectorELNS0_4arch9wavefront6targetE0EEEvSN_
		.amdhsa_group_segment_fixed_size 0
		.amdhsa_private_segment_fixed_size 0
		.amdhsa_kernarg_size 88
		.amdhsa_user_sgpr_count 6
		.amdhsa_user_sgpr_private_segment_buffer 1
		.amdhsa_user_sgpr_dispatch_ptr 0
		.amdhsa_user_sgpr_queue_ptr 0
		.amdhsa_user_sgpr_kernarg_segment_ptr 1
		.amdhsa_user_sgpr_dispatch_id 0
		.amdhsa_user_sgpr_flat_scratch_init 0
		.amdhsa_user_sgpr_private_segment_size 0
		.amdhsa_wavefront_size32 1
		.amdhsa_uses_dynamic_stack 0
		.amdhsa_system_sgpr_private_segment_wavefront_offset 0
		.amdhsa_system_sgpr_workgroup_id_x 1
		.amdhsa_system_sgpr_workgroup_id_y 0
		.amdhsa_system_sgpr_workgroup_id_z 0
		.amdhsa_system_sgpr_workgroup_info 0
		.amdhsa_system_vgpr_workitem_id 0
		.amdhsa_next_free_vgpr 1
		.amdhsa_next_free_sgpr 1
		.amdhsa_reserve_vcc 0
		.amdhsa_reserve_flat_scratch 0
		.amdhsa_float_round_mode_32 0
		.amdhsa_float_round_mode_16_64 0
		.amdhsa_float_denorm_mode_32 3
		.amdhsa_float_denorm_mode_16_64 3
		.amdhsa_dx10_clamp 1
		.amdhsa_ieee_mode 1
		.amdhsa_fp16_overflow 0
		.amdhsa_workgroup_processor_mode 1
		.amdhsa_memory_ordered 1
		.amdhsa_forward_progress 1
		.amdhsa_shared_vgpr_count 0
		.amdhsa_exception_fp_ieee_invalid_op 0
		.amdhsa_exception_fp_denorm_src 0
		.amdhsa_exception_fp_ieee_div_zero 0
		.amdhsa_exception_fp_ieee_overflow 0
		.amdhsa_exception_fp_ieee_underflow 0
		.amdhsa_exception_fp_ieee_inexact 0
		.amdhsa_exception_int_div_zero 0
	.end_amdhsa_kernel
	.section	.text._ZN7rocprim17ROCPRIM_400000_NS6detail17trampoline_kernelINS0_14default_configENS1_35radix_sort_onesweep_config_selectorIjN6thrust23THRUST_200600_302600_NS5tupleIffNS6_9null_typeES8_S8_S8_S8_S8_S8_S8_EEEEZZNS1_29radix_sort_onesweep_iterationIS3_Lb0ENS6_6detail15normal_iteratorINS6_10device_ptrIjEEEESG_NSD_INSE_IS9_EEEESI_jNS0_19identity_decomposerENS1_16block_id_wrapperIjLb1EEEEE10hipError_tT1_PNSt15iterator_traitsISN_E10value_typeET2_T3_PNSO_IST_E10value_typeET4_T5_PSY_SZ_PNS1_23onesweep_lookback_stateEbbT6_jjT7_P12ihipStream_tbENKUlT_T0_SN_SS_E_clISG_PjSI_PS9_EEDaS16_S17_SN_SS_EUlS16_E_NS1_11comp_targetILNS1_3genE2ELNS1_11target_archE906ELNS1_3gpuE6ELNS1_3repE0EEENS1_47radix_sort_onesweep_sort_config_static_selectorELNS0_4arch9wavefront6targetE0EEEvSN_,"axG",@progbits,_ZN7rocprim17ROCPRIM_400000_NS6detail17trampoline_kernelINS0_14default_configENS1_35radix_sort_onesweep_config_selectorIjN6thrust23THRUST_200600_302600_NS5tupleIffNS6_9null_typeES8_S8_S8_S8_S8_S8_S8_EEEEZZNS1_29radix_sort_onesweep_iterationIS3_Lb0ENS6_6detail15normal_iteratorINS6_10device_ptrIjEEEESG_NSD_INSE_IS9_EEEESI_jNS0_19identity_decomposerENS1_16block_id_wrapperIjLb1EEEEE10hipError_tT1_PNSt15iterator_traitsISN_E10value_typeET2_T3_PNSO_IST_E10value_typeET4_T5_PSY_SZ_PNS1_23onesweep_lookback_stateEbbT6_jjT7_P12ihipStream_tbENKUlT_T0_SN_SS_E_clISG_PjSI_PS9_EEDaS16_S17_SN_SS_EUlS16_E_NS1_11comp_targetILNS1_3genE2ELNS1_11target_archE906ELNS1_3gpuE6ELNS1_3repE0EEENS1_47radix_sort_onesweep_sort_config_static_selectorELNS0_4arch9wavefront6targetE0EEEvSN_,comdat
.Lfunc_end187:
	.size	_ZN7rocprim17ROCPRIM_400000_NS6detail17trampoline_kernelINS0_14default_configENS1_35radix_sort_onesweep_config_selectorIjN6thrust23THRUST_200600_302600_NS5tupleIffNS6_9null_typeES8_S8_S8_S8_S8_S8_S8_EEEEZZNS1_29radix_sort_onesweep_iterationIS3_Lb0ENS6_6detail15normal_iteratorINS6_10device_ptrIjEEEESG_NSD_INSE_IS9_EEEESI_jNS0_19identity_decomposerENS1_16block_id_wrapperIjLb1EEEEE10hipError_tT1_PNSt15iterator_traitsISN_E10value_typeET2_T3_PNSO_IST_E10value_typeET4_T5_PSY_SZ_PNS1_23onesweep_lookback_stateEbbT6_jjT7_P12ihipStream_tbENKUlT_T0_SN_SS_E_clISG_PjSI_PS9_EEDaS16_S17_SN_SS_EUlS16_E_NS1_11comp_targetILNS1_3genE2ELNS1_11target_archE906ELNS1_3gpuE6ELNS1_3repE0EEENS1_47radix_sort_onesweep_sort_config_static_selectorELNS0_4arch9wavefront6targetE0EEEvSN_, .Lfunc_end187-_ZN7rocprim17ROCPRIM_400000_NS6detail17trampoline_kernelINS0_14default_configENS1_35radix_sort_onesweep_config_selectorIjN6thrust23THRUST_200600_302600_NS5tupleIffNS6_9null_typeES8_S8_S8_S8_S8_S8_S8_EEEEZZNS1_29radix_sort_onesweep_iterationIS3_Lb0ENS6_6detail15normal_iteratorINS6_10device_ptrIjEEEESG_NSD_INSE_IS9_EEEESI_jNS0_19identity_decomposerENS1_16block_id_wrapperIjLb1EEEEE10hipError_tT1_PNSt15iterator_traitsISN_E10value_typeET2_T3_PNSO_IST_E10value_typeET4_T5_PSY_SZ_PNS1_23onesweep_lookback_stateEbbT6_jjT7_P12ihipStream_tbENKUlT_T0_SN_SS_E_clISG_PjSI_PS9_EEDaS16_S17_SN_SS_EUlS16_E_NS1_11comp_targetILNS1_3genE2ELNS1_11target_archE906ELNS1_3gpuE6ELNS1_3repE0EEENS1_47radix_sort_onesweep_sort_config_static_selectorELNS0_4arch9wavefront6targetE0EEEvSN_
                                        ; -- End function
	.set _ZN7rocprim17ROCPRIM_400000_NS6detail17trampoline_kernelINS0_14default_configENS1_35radix_sort_onesweep_config_selectorIjN6thrust23THRUST_200600_302600_NS5tupleIffNS6_9null_typeES8_S8_S8_S8_S8_S8_S8_EEEEZZNS1_29radix_sort_onesweep_iterationIS3_Lb0ENS6_6detail15normal_iteratorINS6_10device_ptrIjEEEESG_NSD_INSE_IS9_EEEESI_jNS0_19identity_decomposerENS1_16block_id_wrapperIjLb1EEEEE10hipError_tT1_PNSt15iterator_traitsISN_E10value_typeET2_T3_PNSO_IST_E10value_typeET4_T5_PSY_SZ_PNS1_23onesweep_lookback_stateEbbT6_jjT7_P12ihipStream_tbENKUlT_T0_SN_SS_E_clISG_PjSI_PS9_EEDaS16_S17_SN_SS_EUlS16_E_NS1_11comp_targetILNS1_3genE2ELNS1_11target_archE906ELNS1_3gpuE6ELNS1_3repE0EEENS1_47radix_sort_onesweep_sort_config_static_selectorELNS0_4arch9wavefront6targetE0EEEvSN_.num_vgpr, 0
	.set _ZN7rocprim17ROCPRIM_400000_NS6detail17trampoline_kernelINS0_14default_configENS1_35radix_sort_onesweep_config_selectorIjN6thrust23THRUST_200600_302600_NS5tupleIffNS6_9null_typeES8_S8_S8_S8_S8_S8_S8_EEEEZZNS1_29radix_sort_onesweep_iterationIS3_Lb0ENS6_6detail15normal_iteratorINS6_10device_ptrIjEEEESG_NSD_INSE_IS9_EEEESI_jNS0_19identity_decomposerENS1_16block_id_wrapperIjLb1EEEEE10hipError_tT1_PNSt15iterator_traitsISN_E10value_typeET2_T3_PNSO_IST_E10value_typeET4_T5_PSY_SZ_PNS1_23onesweep_lookback_stateEbbT6_jjT7_P12ihipStream_tbENKUlT_T0_SN_SS_E_clISG_PjSI_PS9_EEDaS16_S17_SN_SS_EUlS16_E_NS1_11comp_targetILNS1_3genE2ELNS1_11target_archE906ELNS1_3gpuE6ELNS1_3repE0EEENS1_47radix_sort_onesweep_sort_config_static_selectorELNS0_4arch9wavefront6targetE0EEEvSN_.num_agpr, 0
	.set _ZN7rocprim17ROCPRIM_400000_NS6detail17trampoline_kernelINS0_14default_configENS1_35radix_sort_onesweep_config_selectorIjN6thrust23THRUST_200600_302600_NS5tupleIffNS6_9null_typeES8_S8_S8_S8_S8_S8_S8_EEEEZZNS1_29radix_sort_onesweep_iterationIS3_Lb0ENS6_6detail15normal_iteratorINS6_10device_ptrIjEEEESG_NSD_INSE_IS9_EEEESI_jNS0_19identity_decomposerENS1_16block_id_wrapperIjLb1EEEEE10hipError_tT1_PNSt15iterator_traitsISN_E10value_typeET2_T3_PNSO_IST_E10value_typeET4_T5_PSY_SZ_PNS1_23onesweep_lookback_stateEbbT6_jjT7_P12ihipStream_tbENKUlT_T0_SN_SS_E_clISG_PjSI_PS9_EEDaS16_S17_SN_SS_EUlS16_E_NS1_11comp_targetILNS1_3genE2ELNS1_11target_archE906ELNS1_3gpuE6ELNS1_3repE0EEENS1_47radix_sort_onesweep_sort_config_static_selectorELNS0_4arch9wavefront6targetE0EEEvSN_.numbered_sgpr, 0
	.set _ZN7rocprim17ROCPRIM_400000_NS6detail17trampoline_kernelINS0_14default_configENS1_35radix_sort_onesweep_config_selectorIjN6thrust23THRUST_200600_302600_NS5tupleIffNS6_9null_typeES8_S8_S8_S8_S8_S8_S8_EEEEZZNS1_29radix_sort_onesweep_iterationIS3_Lb0ENS6_6detail15normal_iteratorINS6_10device_ptrIjEEEESG_NSD_INSE_IS9_EEEESI_jNS0_19identity_decomposerENS1_16block_id_wrapperIjLb1EEEEE10hipError_tT1_PNSt15iterator_traitsISN_E10value_typeET2_T3_PNSO_IST_E10value_typeET4_T5_PSY_SZ_PNS1_23onesweep_lookback_stateEbbT6_jjT7_P12ihipStream_tbENKUlT_T0_SN_SS_E_clISG_PjSI_PS9_EEDaS16_S17_SN_SS_EUlS16_E_NS1_11comp_targetILNS1_3genE2ELNS1_11target_archE906ELNS1_3gpuE6ELNS1_3repE0EEENS1_47radix_sort_onesweep_sort_config_static_selectorELNS0_4arch9wavefront6targetE0EEEvSN_.num_named_barrier, 0
	.set _ZN7rocprim17ROCPRIM_400000_NS6detail17trampoline_kernelINS0_14default_configENS1_35radix_sort_onesweep_config_selectorIjN6thrust23THRUST_200600_302600_NS5tupleIffNS6_9null_typeES8_S8_S8_S8_S8_S8_S8_EEEEZZNS1_29radix_sort_onesweep_iterationIS3_Lb0ENS6_6detail15normal_iteratorINS6_10device_ptrIjEEEESG_NSD_INSE_IS9_EEEESI_jNS0_19identity_decomposerENS1_16block_id_wrapperIjLb1EEEEE10hipError_tT1_PNSt15iterator_traitsISN_E10value_typeET2_T3_PNSO_IST_E10value_typeET4_T5_PSY_SZ_PNS1_23onesweep_lookback_stateEbbT6_jjT7_P12ihipStream_tbENKUlT_T0_SN_SS_E_clISG_PjSI_PS9_EEDaS16_S17_SN_SS_EUlS16_E_NS1_11comp_targetILNS1_3genE2ELNS1_11target_archE906ELNS1_3gpuE6ELNS1_3repE0EEENS1_47radix_sort_onesweep_sort_config_static_selectorELNS0_4arch9wavefront6targetE0EEEvSN_.private_seg_size, 0
	.set _ZN7rocprim17ROCPRIM_400000_NS6detail17trampoline_kernelINS0_14default_configENS1_35radix_sort_onesweep_config_selectorIjN6thrust23THRUST_200600_302600_NS5tupleIffNS6_9null_typeES8_S8_S8_S8_S8_S8_S8_EEEEZZNS1_29radix_sort_onesweep_iterationIS3_Lb0ENS6_6detail15normal_iteratorINS6_10device_ptrIjEEEESG_NSD_INSE_IS9_EEEESI_jNS0_19identity_decomposerENS1_16block_id_wrapperIjLb1EEEEE10hipError_tT1_PNSt15iterator_traitsISN_E10value_typeET2_T3_PNSO_IST_E10value_typeET4_T5_PSY_SZ_PNS1_23onesweep_lookback_stateEbbT6_jjT7_P12ihipStream_tbENKUlT_T0_SN_SS_E_clISG_PjSI_PS9_EEDaS16_S17_SN_SS_EUlS16_E_NS1_11comp_targetILNS1_3genE2ELNS1_11target_archE906ELNS1_3gpuE6ELNS1_3repE0EEENS1_47radix_sort_onesweep_sort_config_static_selectorELNS0_4arch9wavefront6targetE0EEEvSN_.uses_vcc, 0
	.set _ZN7rocprim17ROCPRIM_400000_NS6detail17trampoline_kernelINS0_14default_configENS1_35radix_sort_onesweep_config_selectorIjN6thrust23THRUST_200600_302600_NS5tupleIffNS6_9null_typeES8_S8_S8_S8_S8_S8_S8_EEEEZZNS1_29radix_sort_onesweep_iterationIS3_Lb0ENS6_6detail15normal_iteratorINS6_10device_ptrIjEEEESG_NSD_INSE_IS9_EEEESI_jNS0_19identity_decomposerENS1_16block_id_wrapperIjLb1EEEEE10hipError_tT1_PNSt15iterator_traitsISN_E10value_typeET2_T3_PNSO_IST_E10value_typeET4_T5_PSY_SZ_PNS1_23onesweep_lookback_stateEbbT6_jjT7_P12ihipStream_tbENKUlT_T0_SN_SS_E_clISG_PjSI_PS9_EEDaS16_S17_SN_SS_EUlS16_E_NS1_11comp_targetILNS1_3genE2ELNS1_11target_archE906ELNS1_3gpuE6ELNS1_3repE0EEENS1_47radix_sort_onesweep_sort_config_static_selectorELNS0_4arch9wavefront6targetE0EEEvSN_.uses_flat_scratch, 0
	.set _ZN7rocprim17ROCPRIM_400000_NS6detail17trampoline_kernelINS0_14default_configENS1_35radix_sort_onesweep_config_selectorIjN6thrust23THRUST_200600_302600_NS5tupleIffNS6_9null_typeES8_S8_S8_S8_S8_S8_S8_EEEEZZNS1_29radix_sort_onesweep_iterationIS3_Lb0ENS6_6detail15normal_iteratorINS6_10device_ptrIjEEEESG_NSD_INSE_IS9_EEEESI_jNS0_19identity_decomposerENS1_16block_id_wrapperIjLb1EEEEE10hipError_tT1_PNSt15iterator_traitsISN_E10value_typeET2_T3_PNSO_IST_E10value_typeET4_T5_PSY_SZ_PNS1_23onesweep_lookback_stateEbbT6_jjT7_P12ihipStream_tbENKUlT_T0_SN_SS_E_clISG_PjSI_PS9_EEDaS16_S17_SN_SS_EUlS16_E_NS1_11comp_targetILNS1_3genE2ELNS1_11target_archE906ELNS1_3gpuE6ELNS1_3repE0EEENS1_47radix_sort_onesweep_sort_config_static_selectorELNS0_4arch9wavefront6targetE0EEEvSN_.has_dyn_sized_stack, 0
	.set _ZN7rocprim17ROCPRIM_400000_NS6detail17trampoline_kernelINS0_14default_configENS1_35radix_sort_onesweep_config_selectorIjN6thrust23THRUST_200600_302600_NS5tupleIffNS6_9null_typeES8_S8_S8_S8_S8_S8_S8_EEEEZZNS1_29radix_sort_onesweep_iterationIS3_Lb0ENS6_6detail15normal_iteratorINS6_10device_ptrIjEEEESG_NSD_INSE_IS9_EEEESI_jNS0_19identity_decomposerENS1_16block_id_wrapperIjLb1EEEEE10hipError_tT1_PNSt15iterator_traitsISN_E10value_typeET2_T3_PNSO_IST_E10value_typeET4_T5_PSY_SZ_PNS1_23onesweep_lookback_stateEbbT6_jjT7_P12ihipStream_tbENKUlT_T0_SN_SS_E_clISG_PjSI_PS9_EEDaS16_S17_SN_SS_EUlS16_E_NS1_11comp_targetILNS1_3genE2ELNS1_11target_archE906ELNS1_3gpuE6ELNS1_3repE0EEENS1_47radix_sort_onesweep_sort_config_static_selectorELNS0_4arch9wavefront6targetE0EEEvSN_.has_recursion, 0
	.set _ZN7rocprim17ROCPRIM_400000_NS6detail17trampoline_kernelINS0_14default_configENS1_35radix_sort_onesweep_config_selectorIjN6thrust23THRUST_200600_302600_NS5tupleIffNS6_9null_typeES8_S8_S8_S8_S8_S8_S8_EEEEZZNS1_29radix_sort_onesweep_iterationIS3_Lb0ENS6_6detail15normal_iteratorINS6_10device_ptrIjEEEESG_NSD_INSE_IS9_EEEESI_jNS0_19identity_decomposerENS1_16block_id_wrapperIjLb1EEEEE10hipError_tT1_PNSt15iterator_traitsISN_E10value_typeET2_T3_PNSO_IST_E10value_typeET4_T5_PSY_SZ_PNS1_23onesweep_lookback_stateEbbT6_jjT7_P12ihipStream_tbENKUlT_T0_SN_SS_E_clISG_PjSI_PS9_EEDaS16_S17_SN_SS_EUlS16_E_NS1_11comp_targetILNS1_3genE2ELNS1_11target_archE906ELNS1_3gpuE6ELNS1_3repE0EEENS1_47radix_sort_onesweep_sort_config_static_selectorELNS0_4arch9wavefront6targetE0EEEvSN_.has_indirect_call, 0
	.section	.AMDGPU.csdata,"",@progbits
; Kernel info:
; codeLenInByte = 0
; TotalNumSgprs: 0
; NumVgprs: 0
; ScratchSize: 0
; MemoryBound: 0
; FloatMode: 240
; IeeeMode: 1
; LDSByteSize: 0 bytes/workgroup (compile time only)
; SGPRBlocks: 0
; VGPRBlocks: 0
; NumSGPRsForWavesPerEU: 1
; NumVGPRsForWavesPerEU: 1
; Occupancy: 16
; WaveLimiterHint : 0
; COMPUTE_PGM_RSRC2:SCRATCH_EN: 0
; COMPUTE_PGM_RSRC2:USER_SGPR: 6
; COMPUTE_PGM_RSRC2:TRAP_HANDLER: 0
; COMPUTE_PGM_RSRC2:TGID_X_EN: 1
; COMPUTE_PGM_RSRC2:TGID_Y_EN: 0
; COMPUTE_PGM_RSRC2:TGID_Z_EN: 0
; COMPUTE_PGM_RSRC2:TIDIG_COMP_CNT: 0
	.section	.text._ZN7rocprim17ROCPRIM_400000_NS6detail17trampoline_kernelINS0_14default_configENS1_35radix_sort_onesweep_config_selectorIjN6thrust23THRUST_200600_302600_NS5tupleIffNS6_9null_typeES8_S8_S8_S8_S8_S8_S8_EEEEZZNS1_29radix_sort_onesweep_iterationIS3_Lb0ENS6_6detail15normal_iteratorINS6_10device_ptrIjEEEESG_NSD_INSE_IS9_EEEESI_jNS0_19identity_decomposerENS1_16block_id_wrapperIjLb1EEEEE10hipError_tT1_PNSt15iterator_traitsISN_E10value_typeET2_T3_PNSO_IST_E10value_typeET4_T5_PSY_SZ_PNS1_23onesweep_lookback_stateEbbT6_jjT7_P12ihipStream_tbENKUlT_T0_SN_SS_E_clISG_PjSI_PS9_EEDaS16_S17_SN_SS_EUlS16_E_NS1_11comp_targetILNS1_3genE4ELNS1_11target_archE910ELNS1_3gpuE8ELNS1_3repE0EEENS1_47radix_sort_onesweep_sort_config_static_selectorELNS0_4arch9wavefront6targetE0EEEvSN_,"axG",@progbits,_ZN7rocprim17ROCPRIM_400000_NS6detail17trampoline_kernelINS0_14default_configENS1_35radix_sort_onesweep_config_selectorIjN6thrust23THRUST_200600_302600_NS5tupleIffNS6_9null_typeES8_S8_S8_S8_S8_S8_S8_EEEEZZNS1_29radix_sort_onesweep_iterationIS3_Lb0ENS6_6detail15normal_iteratorINS6_10device_ptrIjEEEESG_NSD_INSE_IS9_EEEESI_jNS0_19identity_decomposerENS1_16block_id_wrapperIjLb1EEEEE10hipError_tT1_PNSt15iterator_traitsISN_E10value_typeET2_T3_PNSO_IST_E10value_typeET4_T5_PSY_SZ_PNS1_23onesweep_lookback_stateEbbT6_jjT7_P12ihipStream_tbENKUlT_T0_SN_SS_E_clISG_PjSI_PS9_EEDaS16_S17_SN_SS_EUlS16_E_NS1_11comp_targetILNS1_3genE4ELNS1_11target_archE910ELNS1_3gpuE8ELNS1_3repE0EEENS1_47radix_sort_onesweep_sort_config_static_selectorELNS0_4arch9wavefront6targetE0EEEvSN_,comdat
	.protected	_ZN7rocprim17ROCPRIM_400000_NS6detail17trampoline_kernelINS0_14default_configENS1_35radix_sort_onesweep_config_selectorIjN6thrust23THRUST_200600_302600_NS5tupleIffNS6_9null_typeES8_S8_S8_S8_S8_S8_S8_EEEEZZNS1_29radix_sort_onesweep_iterationIS3_Lb0ENS6_6detail15normal_iteratorINS6_10device_ptrIjEEEESG_NSD_INSE_IS9_EEEESI_jNS0_19identity_decomposerENS1_16block_id_wrapperIjLb1EEEEE10hipError_tT1_PNSt15iterator_traitsISN_E10value_typeET2_T3_PNSO_IST_E10value_typeET4_T5_PSY_SZ_PNS1_23onesweep_lookback_stateEbbT6_jjT7_P12ihipStream_tbENKUlT_T0_SN_SS_E_clISG_PjSI_PS9_EEDaS16_S17_SN_SS_EUlS16_E_NS1_11comp_targetILNS1_3genE4ELNS1_11target_archE910ELNS1_3gpuE8ELNS1_3repE0EEENS1_47radix_sort_onesweep_sort_config_static_selectorELNS0_4arch9wavefront6targetE0EEEvSN_ ; -- Begin function _ZN7rocprim17ROCPRIM_400000_NS6detail17trampoline_kernelINS0_14default_configENS1_35radix_sort_onesweep_config_selectorIjN6thrust23THRUST_200600_302600_NS5tupleIffNS6_9null_typeES8_S8_S8_S8_S8_S8_S8_EEEEZZNS1_29radix_sort_onesweep_iterationIS3_Lb0ENS6_6detail15normal_iteratorINS6_10device_ptrIjEEEESG_NSD_INSE_IS9_EEEESI_jNS0_19identity_decomposerENS1_16block_id_wrapperIjLb1EEEEE10hipError_tT1_PNSt15iterator_traitsISN_E10value_typeET2_T3_PNSO_IST_E10value_typeET4_T5_PSY_SZ_PNS1_23onesweep_lookback_stateEbbT6_jjT7_P12ihipStream_tbENKUlT_T0_SN_SS_E_clISG_PjSI_PS9_EEDaS16_S17_SN_SS_EUlS16_E_NS1_11comp_targetILNS1_3genE4ELNS1_11target_archE910ELNS1_3gpuE8ELNS1_3repE0EEENS1_47radix_sort_onesweep_sort_config_static_selectorELNS0_4arch9wavefront6targetE0EEEvSN_
	.globl	_ZN7rocprim17ROCPRIM_400000_NS6detail17trampoline_kernelINS0_14default_configENS1_35radix_sort_onesweep_config_selectorIjN6thrust23THRUST_200600_302600_NS5tupleIffNS6_9null_typeES8_S8_S8_S8_S8_S8_S8_EEEEZZNS1_29radix_sort_onesweep_iterationIS3_Lb0ENS6_6detail15normal_iteratorINS6_10device_ptrIjEEEESG_NSD_INSE_IS9_EEEESI_jNS0_19identity_decomposerENS1_16block_id_wrapperIjLb1EEEEE10hipError_tT1_PNSt15iterator_traitsISN_E10value_typeET2_T3_PNSO_IST_E10value_typeET4_T5_PSY_SZ_PNS1_23onesweep_lookback_stateEbbT6_jjT7_P12ihipStream_tbENKUlT_T0_SN_SS_E_clISG_PjSI_PS9_EEDaS16_S17_SN_SS_EUlS16_E_NS1_11comp_targetILNS1_3genE4ELNS1_11target_archE910ELNS1_3gpuE8ELNS1_3repE0EEENS1_47radix_sort_onesweep_sort_config_static_selectorELNS0_4arch9wavefront6targetE0EEEvSN_
	.p2align	8
	.type	_ZN7rocprim17ROCPRIM_400000_NS6detail17trampoline_kernelINS0_14default_configENS1_35radix_sort_onesweep_config_selectorIjN6thrust23THRUST_200600_302600_NS5tupleIffNS6_9null_typeES8_S8_S8_S8_S8_S8_S8_EEEEZZNS1_29radix_sort_onesweep_iterationIS3_Lb0ENS6_6detail15normal_iteratorINS6_10device_ptrIjEEEESG_NSD_INSE_IS9_EEEESI_jNS0_19identity_decomposerENS1_16block_id_wrapperIjLb1EEEEE10hipError_tT1_PNSt15iterator_traitsISN_E10value_typeET2_T3_PNSO_IST_E10value_typeET4_T5_PSY_SZ_PNS1_23onesweep_lookback_stateEbbT6_jjT7_P12ihipStream_tbENKUlT_T0_SN_SS_E_clISG_PjSI_PS9_EEDaS16_S17_SN_SS_EUlS16_E_NS1_11comp_targetILNS1_3genE4ELNS1_11target_archE910ELNS1_3gpuE8ELNS1_3repE0EEENS1_47radix_sort_onesweep_sort_config_static_selectorELNS0_4arch9wavefront6targetE0EEEvSN_,@function
_ZN7rocprim17ROCPRIM_400000_NS6detail17trampoline_kernelINS0_14default_configENS1_35radix_sort_onesweep_config_selectorIjN6thrust23THRUST_200600_302600_NS5tupleIffNS6_9null_typeES8_S8_S8_S8_S8_S8_S8_EEEEZZNS1_29radix_sort_onesweep_iterationIS3_Lb0ENS6_6detail15normal_iteratorINS6_10device_ptrIjEEEESG_NSD_INSE_IS9_EEEESI_jNS0_19identity_decomposerENS1_16block_id_wrapperIjLb1EEEEE10hipError_tT1_PNSt15iterator_traitsISN_E10value_typeET2_T3_PNSO_IST_E10value_typeET4_T5_PSY_SZ_PNS1_23onesweep_lookback_stateEbbT6_jjT7_P12ihipStream_tbENKUlT_T0_SN_SS_E_clISG_PjSI_PS9_EEDaS16_S17_SN_SS_EUlS16_E_NS1_11comp_targetILNS1_3genE4ELNS1_11target_archE910ELNS1_3gpuE8ELNS1_3repE0EEENS1_47radix_sort_onesweep_sort_config_static_selectorELNS0_4arch9wavefront6targetE0EEEvSN_: ; @_ZN7rocprim17ROCPRIM_400000_NS6detail17trampoline_kernelINS0_14default_configENS1_35radix_sort_onesweep_config_selectorIjN6thrust23THRUST_200600_302600_NS5tupleIffNS6_9null_typeES8_S8_S8_S8_S8_S8_S8_EEEEZZNS1_29radix_sort_onesweep_iterationIS3_Lb0ENS6_6detail15normal_iteratorINS6_10device_ptrIjEEEESG_NSD_INSE_IS9_EEEESI_jNS0_19identity_decomposerENS1_16block_id_wrapperIjLb1EEEEE10hipError_tT1_PNSt15iterator_traitsISN_E10value_typeET2_T3_PNSO_IST_E10value_typeET4_T5_PSY_SZ_PNS1_23onesweep_lookback_stateEbbT6_jjT7_P12ihipStream_tbENKUlT_T0_SN_SS_E_clISG_PjSI_PS9_EEDaS16_S17_SN_SS_EUlS16_E_NS1_11comp_targetILNS1_3genE4ELNS1_11target_archE910ELNS1_3gpuE8ELNS1_3repE0EEENS1_47radix_sort_onesweep_sort_config_static_selectorELNS0_4arch9wavefront6targetE0EEEvSN_
; %bb.0:
	.section	.rodata,"a",@progbits
	.p2align	6, 0x0
	.amdhsa_kernel _ZN7rocprim17ROCPRIM_400000_NS6detail17trampoline_kernelINS0_14default_configENS1_35radix_sort_onesweep_config_selectorIjN6thrust23THRUST_200600_302600_NS5tupleIffNS6_9null_typeES8_S8_S8_S8_S8_S8_S8_EEEEZZNS1_29radix_sort_onesweep_iterationIS3_Lb0ENS6_6detail15normal_iteratorINS6_10device_ptrIjEEEESG_NSD_INSE_IS9_EEEESI_jNS0_19identity_decomposerENS1_16block_id_wrapperIjLb1EEEEE10hipError_tT1_PNSt15iterator_traitsISN_E10value_typeET2_T3_PNSO_IST_E10value_typeET4_T5_PSY_SZ_PNS1_23onesweep_lookback_stateEbbT6_jjT7_P12ihipStream_tbENKUlT_T0_SN_SS_E_clISG_PjSI_PS9_EEDaS16_S17_SN_SS_EUlS16_E_NS1_11comp_targetILNS1_3genE4ELNS1_11target_archE910ELNS1_3gpuE8ELNS1_3repE0EEENS1_47radix_sort_onesweep_sort_config_static_selectorELNS0_4arch9wavefront6targetE0EEEvSN_
		.amdhsa_group_segment_fixed_size 0
		.amdhsa_private_segment_fixed_size 0
		.amdhsa_kernarg_size 88
		.amdhsa_user_sgpr_count 6
		.amdhsa_user_sgpr_private_segment_buffer 1
		.amdhsa_user_sgpr_dispatch_ptr 0
		.amdhsa_user_sgpr_queue_ptr 0
		.amdhsa_user_sgpr_kernarg_segment_ptr 1
		.amdhsa_user_sgpr_dispatch_id 0
		.amdhsa_user_sgpr_flat_scratch_init 0
		.amdhsa_user_sgpr_private_segment_size 0
		.amdhsa_wavefront_size32 1
		.amdhsa_uses_dynamic_stack 0
		.amdhsa_system_sgpr_private_segment_wavefront_offset 0
		.amdhsa_system_sgpr_workgroup_id_x 1
		.amdhsa_system_sgpr_workgroup_id_y 0
		.amdhsa_system_sgpr_workgroup_id_z 0
		.amdhsa_system_sgpr_workgroup_info 0
		.amdhsa_system_vgpr_workitem_id 0
		.amdhsa_next_free_vgpr 1
		.amdhsa_next_free_sgpr 1
		.amdhsa_reserve_vcc 0
		.amdhsa_reserve_flat_scratch 0
		.amdhsa_float_round_mode_32 0
		.amdhsa_float_round_mode_16_64 0
		.amdhsa_float_denorm_mode_32 3
		.amdhsa_float_denorm_mode_16_64 3
		.amdhsa_dx10_clamp 1
		.amdhsa_ieee_mode 1
		.amdhsa_fp16_overflow 0
		.amdhsa_workgroup_processor_mode 1
		.amdhsa_memory_ordered 1
		.amdhsa_forward_progress 1
		.amdhsa_shared_vgpr_count 0
		.amdhsa_exception_fp_ieee_invalid_op 0
		.amdhsa_exception_fp_denorm_src 0
		.amdhsa_exception_fp_ieee_div_zero 0
		.amdhsa_exception_fp_ieee_overflow 0
		.amdhsa_exception_fp_ieee_underflow 0
		.amdhsa_exception_fp_ieee_inexact 0
		.amdhsa_exception_int_div_zero 0
	.end_amdhsa_kernel
	.section	.text._ZN7rocprim17ROCPRIM_400000_NS6detail17trampoline_kernelINS0_14default_configENS1_35radix_sort_onesweep_config_selectorIjN6thrust23THRUST_200600_302600_NS5tupleIffNS6_9null_typeES8_S8_S8_S8_S8_S8_S8_EEEEZZNS1_29radix_sort_onesweep_iterationIS3_Lb0ENS6_6detail15normal_iteratorINS6_10device_ptrIjEEEESG_NSD_INSE_IS9_EEEESI_jNS0_19identity_decomposerENS1_16block_id_wrapperIjLb1EEEEE10hipError_tT1_PNSt15iterator_traitsISN_E10value_typeET2_T3_PNSO_IST_E10value_typeET4_T5_PSY_SZ_PNS1_23onesweep_lookback_stateEbbT6_jjT7_P12ihipStream_tbENKUlT_T0_SN_SS_E_clISG_PjSI_PS9_EEDaS16_S17_SN_SS_EUlS16_E_NS1_11comp_targetILNS1_3genE4ELNS1_11target_archE910ELNS1_3gpuE8ELNS1_3repE0EEENS1_47radix_sort_onesweep_sort_config_static_selectorELNS0_4arch9wavefront6targetE0EEEvSN_,"axG",@progbits,_ZN7rocprim17ROCPRIM_400000_NS6detail17trampoline_kernelINS0_14default_configENS1_35radix_sort_onesweep_config_selectorIjN6thrust23THRUST_200600_302600_NS5tupleIffNS6_9null_typeES8_S8_S8_S8_S8_S8_S8_EEEEZZNS1_29radix_sort_onesweep_iterationIS3_Lb0ENS6_6detail15normal_iteratorINS6_10device_ptrIjEEEESG_NSD_INSE_IS9_EEEESI_jNS0_19identity_decomposerENS1_16block_id_wrapperIjLb1EEEEE10hipError_tT1_PNSt15iterator_traitsISN_E10value_typeET2_T3_PNSO_IST_E10value_typeET4_T5_PSY_SZ_PNS1_23onesweep_lookback_stateEbbT6_jjT7_P12ihipStream_tbENKUlT_T0_SN_SS_E_clISG_PjSI_PS9_EEDaS16_S17_SN_SS_EUlS16_E_NS1_11comp_targetILNS1_3genE4ELNS1_11target_archE910ELNS1_3gpuE8ELNS1_3repE0EEENS1_47radix_sort_onesweep_sort_config_static_selectorELNS0_4arch9wavefront6targetE0EEEvSN_,comdat
.Lfunc_end188:
	.size	_ZN7rocprim17ROCPRIM_400000_NS6detail17trampoline_kernelINS0_14default_configENS1_35radix_sort_onesweep_config_selectorIjN6thrust23THRUST_200600_302600_NS5tupleIffNS6_9null_typeES8_S8_S8_S8_S8_S8_S8_EEEEZZNS1_29radix_sort_onesweep_iterationIS3_Lb0ENS6_6detail15normal_iteratorINS6_10device_ptrIjEEEESG_NSD_INSE_IS9_EEEESI_jNS0_19identity_decomposerENS1_16block_id_wrapperIjLb1EEEEE10hipError_tT1_PNSt15iterator_traitsISN_E10value_typeET2_T3_PNSO_IST_E10value_typeET4_T5_PSY_SZ_PNS1_23onesweep_lookback_stateEbbT6_jjT7_P12ihipStream_tbENKUlT_T0_SN_SS_E_clISG_PjSI_PS9_EEDaS16_S17_SN_SS_EUlS16_E_NS1_11comp_targetILNS1_3genE4ELNS1_11target_archE910ELNS1_3gpuE8ELNS1_3repE0EEENS1_47radix_sort_onesweep_sort_config_static_selectorELNS0_4arch9wavefront6targetE0EEEvSN_, .Lfunc_end188-_ZN7rocprim17ROCPRIM_400000_NS6detail17trampoline_kernelINS0_14default_configENS1_35radix_sort_onesweep_config_selectorIjN6thrust23THRUST_200600_302600_NS5tupleIffNS6_9null_typeES8_S8_S8_S8_S8_S8_S8_EEEEZZNS1_29radix_sort_onesweep_iterationIS3_Lb0ENS6_6detail15normal_iteratorINS6_10device_ptrIjEEEESG_NSD_INSE_IS9_EEEESI_jNS0_19identity_decomposerENS1_16block_id_wrapperIjLb1EEEEE10hipError_tT1_PNSt15iterator_traitsISN_E10value_typeET2_T3_PNSO_IST_E10value_typeET4_T5_PSY_SZ_PNS1_23onesweep_lookback_stateEbbT6_jjT7_P12ihipStream_tbENKUlT_T0_SN_SS_E_clISG_PjSI_PS9_EEDaS16_S17_SN_SS_EUlS16_E_NS1_11comp_targetILNS1_3genE4ELNS1_11target_archE910ELNS1_3gpuE8ELNS1_3repE0EEENS1_47radix_sort_onesweep_sort_config_static_selectorELNS0_4arch9wavefront6targetE0EEEvSN_
                                        ; -- End function
	.set _ZN7rocprim17ROCPRIM_400000_NS6detail17trampoline_kernelINS0_14default_configENS1_35radix_sort_onesweep_config_selectorIjN6thrust23THRUST_200600_302600_NS5tupleIffNS6_9null_typeES8_S8_S8_S8_S8_S8_S8_EEEEZZNS1_29radix_sort_onesweep_iterationIS3_Lb0ENS6_6detail15normal_iteratorINS6_10device_ptrIjEEEESG_NSD_INSE_IS9_EEEESI_jNS0_19identity_decomposerENS1_16block_id_wrapperIjLb1EEEEE10hipError_tT1_PNSt15iterator_traitsISN_E10value_typeET2_T3_PNSO_IST_E10value_typeET4_T5_PSY_SZ_PNS1_23onesweep_lookback_stateEbbT6_jjT7_P12ihipStream_tbENKUlT_T0_SN_SS_E_clISG_PjSI_PS9_EEDaS16_S17_SN_SS_EUlS16_E_NS1_11comp_targetILNS1_3genE4ELNS1_11target_archE910ELNS1_3gpuE8ELNS1_3repE0EEENS1_47radix_sort_onesweep_sort_config_static_selectorELNS0_4arch9wavefront6targetE0EEEvSN_.num_vgpr, 0
	.set _ZN7rocprim17ROCPRIM_400000_NS6detail17trampoline_kernelINS0_14default_configENS1_35radix_sort_onesweep_config_selectorIjN6thrust23THRUST_200600_302600_NS5tupleIffNS6_9null_typeES8_S8_S8_S8_S8_S8_S8_EEEEZZNS1_29radix_sort_onesweep_iterationIS3_Lb0ENS6_6detail15normal_iteratorINS6_10device_ptrIjEEEESG_NSD_INSE_IS9_EEEESI_jNS0_19identity_decomposerENS1_16block_id_wrapperIjLb1EEEEE10hipError_tT1_PNSt15iterator_traitsISN_E10value_typeET2_T3_PNSO_IST_E10value_typeET4_T5_PSY_SZ_PNS1_23onesweep_lookback_stateEbbT6_jjT7_P12ihipStream_tbENKUlT_T0_SN_SS_E_clISG_PjSI_PS9_EEDaS16_S17_SN_SS_EUlS16_E_NS1_11comp_targetILNS1_3genE4ELNS1_11target_archE910ELNS1_3gpuE8ELNS1_3repE0EEENS1_47radix_sort_onesweep_sort_config_static_selectorELNS0_4arch9wavefront6targetE0EEEvSN_.num_agpr, 0
	.set _ZN7rocprim17ROCPRIM_400000_NS6detail17trampoline_kernelINS0_14default_configENS1_35radix_sort_onesweep_config_selectorIjN6thrust23THRUST_200600_302600_NS5tupleIffNS6_9null_typeES8_S8_S8_S8_S8_S8_S8_EEEEZZNS1_29radix_sort_onesweep_iterationIS3_Lb0ENS6_6detail15normal_iteratorINS6_10device_ptrIjEEEESG_NSD_INSE_IS9_EEEESI_jNS0_19identity_decomposerENS1_16block_id_wrapperIjLb1EEEEE10hipError_tT1_PNSt15iterator_traitsISN_E10value_typeET2_T3_PNSO_IST_E10value_typeET4_T5_PSY_SZ_PNS1_23onesweep_lookback_stateEbbT6_jjT7_P12ihipStream_tbENKUlT_T0_SN_SS_E_clISG_PjSI_PS9_EEDaS16_S17_SN_SS_EUlS16_E_NS1_11comp_targetILNS1_3genE4ELNS1_11target_archE910ELNS1_3gpuE8ELNS1_3repE0EEENS1_47radix_sort_onesweep_sort_config_static_selectorELNS0_4arch9wavefront6targetE0EEEvSN_.numbered_sgpr, 0
	.set _ZN7rocprim17ROCPRIM_400000_NS6detail17trampoline_kernelINS0_14default_configENS1_35radix_sort_onesweep_config_selectorIjN6thrust23THRUST_200600_302600_NS5tupleIffNS6_9null_typeES8_S8_S8_S8_S8_S8_S8_EEEEZZNS1_29radix_sort_onesweep_iterationIS3_Lb0ENS6_6detail15normal_iteratorINS6_10device_ptrIjEEEESG_NSD_INSE_IS9_EEEESI_jNS0_19identity_decomposerENS1_16block_id_wrapperIjLb1EEEEE10hipError_tT1_PNSt15iterator_traitsISN_E10value_typeET2_T3_PNSO_IST_E10value_typeET4_T5_PSY_SZ_PNS1_23onesweep_lookback_stateEbbT6_jjT7_P12ihipStream_tbENKUlT_T0_SN_SS_E_clISG_PjSI_PS9_EEDaS16_S17_SN_SS_EUlS16_E_NS1_11comp_targetILNS1_3genE4ELNS1_11target_archE910ELNS1_3gpuE8ELNS1_3repE0EEENS1_47radix_sort_onesweep_sort_config_static_selectorELNS0_4arch9wavefront6targetE0EEEvSN_.num_named_barrier, 0
	.set _ZN7rocprim17ROCPRIM_400000_NS6detail17trampoline_kernelINS0_14default_configENS1_35radix_sort_onesweep_config_selectorIjN6thrust23THRUST_200600_302600_NS5tupleIffNS6_9null_typeES8_S8_S8_S8_S8_S8_S8_EEEEZZNS1_29radix_sort_onesweep_iterationIS3_Lb0ENS6_6detail15normal_iteratorINS6_10device_ptrIjEEEESG_NSD_INSE_IS9_EEEESI_jNS0_19identity_decomposerENS1_16block_id_wrapperIjLb1EEEEE10hipError_tT1_PNSt15iterator_traitsISN_E10value_typeET2_T3_PNSO_IST_E10value_typeET4_T5_PSY_SZ_PNS1_23onesweep_lookback_stateEbbT6_jjT7_P12ihipStream_tbENKUlT_T0_SN_SS_E_clISG_PjSI_PS9_EEDaS16_S17_SN_SS_EUlS16_E_NS1_11comp_targetILNS1_3genE4ELNS1_11target_archE910ELNS1_3gpuE8ELNS1_3repE0EEENS1_47radix_sort_onesweep_sort_config_static_selectorELNS0_4arch9wavefront6targetE0EEEvSN_.private_seg_size, 0
	.set _ZN7rocprim17ROCPRIM_400000_NS6detail17trampoline_kernelINS0_14default_configENS1_35radix_sort_onesweep_config_selectorIjN6thrust23THRUST_200600_302600_NS5tupleIffNS6_9null_typeES8_S8_S8_S8_S8_S8_S8_EEEEZZNS1_29radix_sort_onesweep_iterationIS3_Lb0ENS6_6detail15normal_iteratorINS6_10device_ptrIjEEEESG_NSD_INSE_IS9_EEEESI_jNS0_19identity_decomposerENS1_16block_id_wrapperIjLb1EEEEE10hipError_tT1_PNSt15iterator_traitsISN_E10value_typeET2_T3_PNSO_IST_E10value_typeET4_T5_PSY_SZ_PNS1_23onesweep_lookback_stateEbbT6_jjT7_P12ihipStream_tbENKUlT_T0_SN_SS_E_clISG_PjSI_PS9_EEDaS16_S17_SN_SS_EUlS16_E_NS1_11comp_targetILNS1_3genE4ELNS1_11target_archE910ELNS1_3gpuE8ELNS1_3repE0EEENS1_47radix_sort_onesweep_sort_config_static_selectorELNS0_4arch9wavefront6targetE0EEEvSN_.uses_vcc, 0
	.set _ZN7rocprim17ROCPRIM_400000_NS6detail17trampoline_kernelINS0_14default_configENS1_35radix_sort_onesweep_config_selectorIjN6thrust23THRUST_200600_302600_NS5tupleIffNS6_9null_typeES8_S8_S8_S8_S8_S8_S8_EEEEZZNS1_29radix_sort_onesweep_iterationIS3_Lb0ENS6_6detail15normal_iteratorINS6_10device_ptrIjEEEESG_NSD_INSE_IS9_EEEESI_jNS0_19identity_decomposerENS1_16block_id_wrapperIjLb1EEEEE10hipError_tT1_PNSt15iterator_traitsISN_E10value_typeET2_T3_PNSO_IST_E10value_typeET4_T5_PSY_SZ_PNS1_23onesweep_lookback_stateEbbT6_jjT7_P12ihipStream_tbENKUlT_T0_SN_SS_E_clISG_PjSI_PS9_EEDaS16_S17_SN_SS_EUlS16_E_NS1_11comp_targetILNS1_3genE4ELNS1_11target_archE910ELNS1_3gpuE8ELNS1_3repE0EEENS1_47radix_sort_onesweep_sort_config_static_selectorELNS0_4arch9wavefront6targetE0EEEvSN_.uses_flat_scratch, 0
	.set _ZN7rocprim17ROCPRIM_400000_NS6detail17trampoline_kernelINS0_14default_configENS1_35radix_sort_onesweep_config_selectorIjN6thrust23THRUST_200600_302600_NS5tupleIffNS6_9null_typeES8_S8_S8_S8_S8_S8_S8_EEEEZZNS1_29radix_sort_onesweep_iterationIS3_Lb0ENS6_6detail15normal_iteratorINS6_10device_ptrIjEEEESG_NSD_INSE_IS9_EEEESI_jNS0_19identity_decomposerENS1_16block_id_wrapperIjLb1EEEEE10hipError_tT1_PNSt15iterator_traitsISN_E10value_typeET2_T3_PNSO_IST_E10value_typeET4_T5_PSY_SZ_PNS1_23onesweep_lookback_stateEbbT6_jjT7_P12ihipStream_tbENKUlT_T0_SN_SS_E_clISG_PjSI_PS9_EEDaS16_S17_SN_SS_EUlS16_E_NS1_11comp_targetILNS1_3genE4ELNS1_11target_archE910ELNS1_3gpuE8ELNS1_3repE0EEENS1_47radix_sort_onesweep_sort_config_static_selectorELNS0_4arch9wavefront6targetE0EEEvSN_.has_dyn_sized_stack, 0
	.set _ZN7rocprim17ROCPRIM_400000_NS6detail17trampoline_kernelINS0_14default_configENS1_35radix_sort_onesweep_config_selectorIjN6thrust23THRUST_200600_302600_NS5tupleIffNS6_9null_typeES8_S8_S8_S8_S8_S8_S8_EEEEZZNS1_29radix_sort_onesweep_iterationIS3_Lb0ENS6_6detail15normal_iteratorINS6_10device_ptrIjEEEESG_NSD_INSE_IS9_EEEESI_jNS0_19identity_decomposerENS1_16block_id_wrapperIjLb1EEEEE10hipError_tT1_PNSt15iterator_traitsISN_E10value_typeET2_T3_PNSO_IST_E10value_typeET4_T5_PSY_SZ_PNS1_23onesweep_lookback_stateEbbT6_jjT7_P12ihipStream_tbENKUlT_T0_SN_SS_E_clISG_PjSI_PS9_EEDaS16_S17_SN_SS_EUlS16_E_NS1_11comp_targetILNS1_3genE4ELNS1_11target_archE910ELNS1_3gpuE8ELNS1_3repE0EEENS1_47radix_sort_onesweep_sort_config_static_selectorELNS0_4arch9wavefront6targetE0EEEvSN_.has_recursion, 0
	.set _ZN7rocprim17ROCPRIM_400000_NS6detail17trampoline_kernelINS0_14default_configENS1_35radix_sort_onesweep_config_selectorIjN6thrust23THRUST_200600_302600_NS5tupleIffNS6_9null_typeES8_S8_S8_S8_S8_S8_S8_EEEEZZNS1_29radix_sort_onesweep_iterationIS3_Lb0ENS6_6detail15normal_iteratorINS6_10device_ptrIjEEEESG_NSD_INSE_IS9_EEEESI_jNS0_19identity_decomposerENS1_16block_id_wrapperIjLb1EEEEE10hipError_tT1_PNSt15iterator_traitsISN_E10value_typeET2_T3_PNSO_IST_E10value_typeET4_T5_PSY_SZ_PNS1_23onesweep_lookback_stateEbbT6_jjT7_P12ihipStream_tbENKUlT_T0_SN_SS_E_clISG_PjSI_PS9_EEDaS16_S17_SN_SS_EUlS16_E_NS1_11comp_targetILNS1_3genE4ELNS1_11target_archE910ELNS1_3gpuE8ELNS1_3repE0EEENS1_47radix_sort_onesweep_sort_config_static_selectorELNS0_4arch9wavefront6targetE0EEEvSN_.has_indirect_call, 0
	.section	.AMDGPU.csdata,"",@progbits
; Kernel info:
; codeLenInByte = 0
; TotalNumSgprs: 0
; NumVgprs: 0
; ScratchSize: 0
; MemoryBound: 0
; FloatMode: 240
; IeeeMode: 1
; LDSByteSize: 0 bytes/workgroup (compile time only)
; SGPRBlocks: 0
; VGPRBlocks: 0
; NumSGPRsForWavesPerEU: 1
; NumVGPRsForWavesPerEU: 1
; Occupancy: 16
; WaveLimiterHint : 0
; COMPUTE_PGM_RSRC2:SCRATCH_EN: 0
; COMPUTE_PGM_RSRC2:USER_SGPR: 6
; COMPUTE_PGM_RSRC2:TRAP_HANDLER: 0
; COMPUTE_PGM_RSRC2:TGID_X_EN: 1
; COMPUTE_PGM_RSRC2:TGID_Y_EN: 0
; COMPUTE_PGM_RSRC2:TGID_Z_EN: 0
; COMPUTE_PGM_RSRC2:TIDIG_COMP_CNT: 0
	.section	.text._ZN7rocprim17ROCPRIM_400000_NS6detail17trampoline_kernelINS0_14default_configENS1_35radix_sort_onesweep_config_selectorIjN6thrust23THRUST_200600_302600_NS5tupleIffNS6_9null_typeES8_S8_S8_S8_S8_S8_S8_EEEEZZNS1_29radix_sort_onesweep_iterationIS3_Lb0ENS6_6detail15normal_iteratorINS6_10device_ptrIjEEEESG_NSD_INSE_IS9_EEEESI_jNS0_19identity_decomposerENS1_16block_id_wrapperIjLb1EEEEE10hipError_tT1_PNSt15iterator_traitsISN_E10value_typeET2_T3_PNSO_IST_E10value_typeET4_T5_PSY_SZ_PNS1_23onesweep_lookback_stateEbbT6_jjT7_P12ihipStream_tbENKUlT_T0_SN_SS_E_clISG_PjSI_PS9_EEDaS16_S17_SN_SS_EUlS16_E_NS1_11comp_targetILNS1_3genE3ELNS1_11target_archE908ELNS1_3gpuE7ELNS1_3repE0EEENS1_47radix_sort_onesweep_sort_config_static_selectorELNS0_4arch9wavefront6targetE0EEEvSN_,"axG",@progbits,_ZN7rocprim17ROCPRIM_400000_NS6detail17trampoline_kernelINS0_14default_configENS1_35radix_sort_onesweep_config_selectorIjN6thrust23THRUST_200600_302600_NS5tupleIffNS6_9null_typeES8_S8_S8_S8_S8_S8_S8_EEEEZZNS1_29radix_sort_onesweep_iterationIS3_Lb0ENS6_6detail15normal_iteratorINS6_10device_ptrIjEEEESG_NSD_INSE_IS9_EEEESI_jNS0_19identity_decomposerENS1_16block_id_wrapperIjLb1EEEEE10hipError_tT1_PNSt15iterator_traitsISN_E10value_typeET2_T3_PNSO_IST_E10value_typeET4_T5_PSY_SZ_PNS1_23onesweep_lookback_stateEbbT6_jjT7_P12ihipStream_tbENKUlT_T0_SN_SS_E_clISG_PjSI_PS9_EEDaS16_S17_SN_SS_EUlS16_E_NS1_11comp_targetILNS1_3genE3ELNS1_11target_archE908ELNS1_3gpuE7ELNS1_3repE0EEENS1_47radix_sort_onesweep_sort_config_static_selectorELNS0_4arch9wavefront6targetE0EEEvSN_,comdat
	.protected	_ZN7rocprim17ROCPRIM_400000_NS6detail17trampoline_kernelINS0_14default_configENS1_35radix_sort_onesweep_config_selectorIjN6thrust23THRUST_200600_302600_NS5tupleIffNS6_9null_typeES8_S8_S8_S8_S8_S8_S8_EEEEZZNS1_29radix_sort_onesweep_iterationIS3_Lb0ENS6_6detail15normal_iteratorINS6_10device_ptrIjEEEESG_NSD_INSE_IS9_EEEESI_jNS0_19identity_decomposerENS1_16block_id_wrapperIjLb1EEEEE10hipError_tT1_PNSt15iterator_traitsISN_E10value_typeET2_T3_PNSO_IST_E10value_typeET4_T5_PSY_SZ_PNS1_23onesweep_lookback_stateEbbT6_jjT7_P12ihipStream_tbENKUlT_T0_SN_SS_E_clISG_PjSI_PS9_EEDaS16_S17_SN_SS_EUlS16_E_NS1_11comp_targetILNS1_3genE3ELNS1_11target_archE908ELNS1_3gpuE7ELNS1_3repE0EEENS1_47radix_sort_onesweep_sort_config_static_selectorELNS0_4arch9wavefront6targetE0EEEvSN_ ; -- Begin function _ZN7rocprim17ROCPRIM_400000_NS6detail17trampoline_kernelINS0_14default_configENS1_35radix_sort_onesweep_config_selectorIjN6thrust23THRUST_200600_302600_NS5tupleIffNS6_9null_typeES8_S8_S8_S8_S8_S8_S8_EEEEZZNS1_29radix_sort_onesweep_iterationIS3_Lb0ENS6_6detail15normal_iteratorINS6_10device_ptrIjEEEESG_NSD_INSE_IS9_EEEESI_jNS0_19identity_decomposerENS1_16block_id_wrapperIjLb1EEEEE10hipError_tT1_PNSt15iterator_traitsISN_E10value_typeET2_T3_PNSO_IST_E10value_typeET4_T5_PSY_SZ_PNS1_23onesweep_lookback_stateEbbT6_jjT7_P12ihipStream_tbENKUlT_T0_SN_SS_E_clISG_PjSI_PS9_EEDaS16_S17_SN_SS_EUlS16_E_NS1_11comp_targetILNS1_3genE3ELNS1_11target_archE908ELNS1_3gpuE7ELNS1_3repE0EEENS1_47radix_sort_onesweep_sort_config_static_selectorELNS0_4arch9wavefront6targetE0EEEvSN_
	.globl	_ZN7rocprim17ROCPRIM_400000_NS6detail17trampoline_kernelINS0_14default_configENS1_35radix_sort_onesweep_config_selectorIjN6thrust23THRUST_200600_302600_NS5tupleIffNS6_9null_typeES8_S8_S8_S8_S8_S8_S8_EEEEZZNS1_29radix_sort_onesweep_iterationIS3_Lb0ENS6_6detail15normal_iteratorINS6_10device_ptrIjEEEESG_NSD_INSE_IS9_EEEESI_jNS0_19identity_decomposerENS1_16block_id_wrapperIjLb1EEEEE10hipError_tT1_PNSt15iterator_traitsISN_E10value_typeET2_T3_PNSO_IST_E10value_typeET4_T5_PSY_SZ_PNS1_23onesweep_lookback_stateEbbT6_jjT7_P12ihipStream_tbENKUlT_T0_SN_SS_E_clISG_PjSI_PS9_EEDaS16_S17_SN_SS_EUlS16_E_NS1_11comp_targetILNS1_3genE3ELNS1_11target_archE908ELNS1_3gpuE7ELNS1_3repE0EEENS1_47radix_sort_onesweep_sort_config_static_selectorELNS0_4arch9wavefront6targetE0EEEvSN_
	.p2align	8
	.type	_ZN7rocprim17ROCPRIM_400000_NS6detail17trampoline_kernelINS0_14default_configENS1_35radix_sort_onesweep_config_selectorIjN6thrust23THRUST_200600_302600_NS5tupleIffNS6_9null_typeES8_S8_S8_S8_S8_S8_S8_EEEEZZNS1_29radix_sort_onesweep_iterationIS3_Lb0ENS6_6detail15normal_iteratorINS6_10device_ptrIjEEEESG_NSD_INSE_IS9_EEEESI_jNS0_19identity_decomposerENS1_16block_id_wrapperIjLb1EEEEE10hipError_tT1_PNSt15iterator_traitsISN_E10value_typeET2_T3_PNSO_IST_E10value_typeET4_T5_PSY_SZ_PNS1_23onesweep_lookback_stateEbbT6_jjT7_P12ihipStream_tbENKUlT_T0_SN_SS_E_clISG_PjSI_PS9_EEDaS16_S17_SN_SS_EUlS16_E_NS1_11comp_targetILNS1_3genE3ELNS1_11target_archE908ELNS1_3gpuE7ELNS1_3repE0EEENS1_47radix_sort_onesweep_sort_config_static_selectorELNS0_4arch9wavefront6targetE0EEEvSN_,@function
_ZN7rocprim17ROCPRIM_400000_NS6detail17trampoline_kernelINS0_14default_configENS1_35radix_sort_onesweep_config_selectorIjN6thrust23THRUST_200600_302600_NS5tupleIffNS6_9null_typeES8_S8_S8_S8_S8_S8_S8_EEEEZZNS1_29radix_sort_onesweep_iterationIS3_Lb0ENS6_6detail15normal_iteratorINS6_10device_ptrIjEEEESG_NSD_INSE_IS9_EEEESI_jNS0_19identity_decomposerENS1_16block_id_wrapperIjLb1EEEEE10hipError_tT1_PNSt15iterator_traitsISN_E10value_typeET2_T3_PNSO_IST_E10value_typeET4_T5_PSY_SZ_PNS1_23onesweep_lookback_stateEbbT6_jjT7_P12ihipStream_tbENKUlT_T0_SN_SS_E_clISG_PjSI_PS9_EEDaS16_S17_SN_SS_EUlS16_E_NS1_11comp_targetILNS1_3genE3ELNS1_11target_archE908ELNS1_3gpuE7ELNS1_3repE0EEENS1_47radix_sort_onesweep_sort_config_static_selectorELNS0_4arch9wavefront6targetE0EEEvSN_: ; @_ZN7rocprim17ROCPRIM_400000_NS6detail17trampoline_kernelINS0_14default_configENS1_35radix_sort_onesweep_config_selectorIjN6thrust23THRUST_200600_302600_NS5tupleIffNS6_9null_typeES8_S8_S8_S8_S8_S8_S8_EEEEZZNS1_29radix_sort_onesweep_iterationIS3_Lb0ENS6_6detail15normal_iteratorINS6_10device_ptrIjEEEESG_NSD_INSE_IS9_EEEESI_jNS0_19identity_decomposerENS1_16block_id_wrapperIjLb1EEEEE10hipError_tT1_PNSt15iterator_traitsISN_E10value_typeET2_T3_PNSO_IST_E10value_typeET4_T5_PSY_SZ_PNS1_23onesweep_lookback_stateEbbT6_jjT7_P12ihipStream_tbENKUlT_T0_SN_SS_E_clISG_PjSI_PS9_EEDaS16_S17_SN_SS_EUlS16_E_NS1_11comp_targetILNS1_3genE3ELNS1_11target_archE908ELNS1_3gpuE7ELNS1_3repE0EEENS1_47radix_sort_onesweep_sort_config_static_selectorELNS0_4arch9wavefront6targetE0EEEvSN_
; %bb.0:
	.section	.rodata,"a",@progbits
	.p2align	6, 0x0
	.amdhsa_kernel _ZN7rocprim17ROCPRIM_400000_NS6detail17trampoline_kernelINS0_14default_configENS1_35radix_sort_onesweep_config_selectorIjN6thrust23THRUST_200600_302600_NS5tupleIffNS6_9null_typeES8_S8_S8_S8_S8_S8_S8_EEEEZZNS1_29radix_sort_onesweep_iterationIS3_Lb0ENS6_6detail15normal_iteratorINS6_10device_ptrIjEEEESG_NSD_INSE_IS9_EEEESI_jNS0_19identity_decomposerENS1_16block_id_wrapperIjLb1EEEEE10hipError_tT1_PNSt15iterator_traitsISN_E10value_typeET2_T3_PNSO_IST_E10value_typeET4_T5_PSY_SZ_PNS1_23onesweep_lookback_stateEbbT6_jjT7_P12ihipStream_tbENKUlT_T0_SN_SS_E_clISG_PjSI_PS9_EEDaS16_S17_SN_SS_EUlS16_E_NS1_11comp_targetILNS1_3genE3ELNS1_11target_archE908ELNS1_3gpuE7ELNS1_3repE0EEENS1_47radix_sort_onesweep_sort_config_static_selectorELNS0_4arch9wavefront6targetE0EEEvSN_
		.amdhsa_group_segment_fixed_size 0
		.amdhsa_private_segment_fixed_size 0
		.amdhsa_kernarg_size 88
		.amdhsa_user_sgpr_count 6
		.amdhsa_user_sgpr_private_segment_buffer 1
		.amdhsa_user_sgpr_dispatch_ptr 0
		.amdhsa_user_sgpr_queue_ptr 0
		.amdhsa_user_sgpr_kernarg_segment_ptr 1
		.amdhsa_user_sgpr_dispatch_id 0
		.amdhsa_user_sgpr_flat_scratch_init 0
		.amdhsa_user_sgpr_private_segment_size 0
		.amdhsa_wavefront_size32 1
		.amdhsa_uses_dynamic_stack 0
		.amdhsa_system_sgpr_private_segment_wavefront_offset 0
		.amdhsa_system_sgpr_workgroup_id_x 1
		.amdhsa_system_sgpr_workgroup_id_y 0
		.amdhsa_system_sgpr_workgroup_id_z 0
		.amdhsa_system_sgpr_workgroup_info 0
		.amdhsa_system_vgpr_workitem_id 0
		.amdhsa_next_free_vgpr 1
		.amdhsa_next_free_sgpr 1
		.amdhsa_reserve_vcc 0
		.amdhsa_reserve_flat_scratch 0
		.amdhsa_float_round_mode_32 0
		.amdhsa_float_round_mode_16_64 0
		.amdhsa_float_denorm_mode_32 3
		.amdhsa_float_denorm_mode_16_64 3
		.amdhsa_dx10_clamp 1
		.amdhsa_ieee_mode 1
		.amdhsa_fp16_overflow 0
		.amdhsa_workgroup_processor_mode 1
		.amdhsa_memory_ordered 1
		.amdhsa_forward_progress 1
		.amdhsa_shared_vgpr_count 0
		.amdhsa_exception_fp_ieee_invalid_op 0
		.amdhsa_exception_fp_denorm_src 0
		.amdhsa_exception_fp_ieee_div_zero 0
		.amdhsa_exception_fp_ieee_overflow 0
		.amdhsa_exception_fp_ieee_underflow 0
		.amdhsa_exception_fp_ieee_inexact 0
		.amdhsa_exception_int_div_zero 0
	.end_amdhsa_kernel
	.section	.text._ZN7rocprim17ROCPRIM_400000_NS6detail17trampoline_kernelINS0_14default_configENS1_35radix_sort_onesweep_config_selectorIjN6thrust23THRUST_200600_302600_NS5tupleIffNS6_9null_typeES8_S8_S8_S8_S8_S8_S8_EEEEZZNS1_29radix_sort_onesweep_iterationIS3_Lb0ENS6_6detail15normal_iteratorINS6_10device_ptrIjEEEESG_NSD_INSE_IS9_EEEESI_jNS0_19identity_decomposerENS1_16block_id_wrapperIjLb1EEEEE10hipError_tT1_PNSt15iterator_traitsISN_E10value_typeET2_T3_PNSO_IST_E10value_typeET4_T5_PSY_SZ_PNS1_23onesweep_lookback_stateEbbT6_jjT7_P12ihipStream_tbENKUlT_T0_SN_SS_E_clISG_PjSI_PS9_EEDaS16_S17_SN_SS_EUlS16_E_NS1_11comp_targetILNS1_3genE3ELNS1_11target_archE908ELNS1_3gpuE7ELNS1_3repE0EEENS1_47radix_sort_onesweep_sort_config_static_selectorELNS0_4arch9wavefront6targetE0EEEvSN_,"axG",@progbits,_ZN7rocprim17ROCPRIM_400000_NS6detail17trampoline_kernelINS0_14default_configENS1_35radix_sort_onesweep_config_selectorIjN6thrust23THRUST_200600_302600_NS5tupleIffNS6_9null_typeES8_S8_S8_S8_S8_S8_S8_EEEEZZNS1_29radix_sort_onesweep_iterationIS3_Lb0ENS6_6detail15normal_iteratorINS6_10device_ptrIjEEEESG_NSD_INSE_IS9_EEEESI_jNS0_19identity_decomposerENS1_16block_id_wrapperIjLb1EEEEE10hipError_tT1_PNSt15iterator_traitsISN_E10value_typeET2_T3_PNSO_IST_E10value_typeET4_T5_PSY_SZ_PNS1_23onesweep_lookback_stateEbbT6_jjT7_P12ihipStream_tbENKUlT_T0_SN_SS_E_clISG_PjSI_PS9_EEDaS16_S17_SN_SS_EUlS16_E_NS1_11comp_targetILNS1_3genE3ELNS1_11target_archE908ELNS1_3gpuE7ELNS1_3repE0EEENS1_47radix_sort_onesweep_sort_config_static_selectorELNS0_4arch9wavefront6targetE0EEEvSN_,comdat
.Lfunc_end189:
	.size	_ZN7rocprim17ROCPRIM_400000_NS6detail17trampoline_kernelINS0_14default_configENS1_35radix_sort_onesweep_config_selectorIjN6thrust23THRUST_200600_302600_NS5tupleIffNS6_9null_typeES8_S8_S8_S8_S8_S8_S8_EEEEZZNS1_29radix_sort_onesweep_iterationIS3_Lb0ENS6_6detail15normal_iteratorINS6_10device_ptrIjEEEESG_NSD_INSE_IS9_EEEESI_jNS0_19identity_decomposerENS1_16block_id_wrapperIjLb1EEEEE10hipError_tT1_PNSt15iterator_traitsISN_E10value_typeET2_T3_PNSO_IST_E10value_typeET4_T5_PSY_SZ_PNS1_23onesweep_lookback_stateEbbT6_jjT7_P12ihipStream_tbENKUlT_T0_SN_SS_E_clISG_PjSI_PS9_EEDaS16_S17_SN_SS_EUlS16_E_NS1_11comp_targetILNS1_3genE3ELNS1_11target_archE908ELNS1_3gpuE7ELNS1_3repE0EEENS1_47radix_sort_onesweep_sort_config_static_selectorELNS0_4arch9wavefront6targetE0EEEvSN_, .Lfunc_end189-_ZN7rocprim17ROCPRIM_400000_NS6detail17trampoline_kernelINS0_14default_configENS1_35radix_sort_onesweep_config_selectorIjN6thrust23THRUST_200600_302600_NS5tupleIffNS6_9null_typeES8_S8_S8_S8_S8_S8_S8_EEEEZZNS1_29radix_sort_onesweep_iterationIS3_Lb0ENS6_6detail15normal_iteratorINS6_10device_ptrIjEEEESG_NSD_INSE_IS9_EEEESI_jNS0_19identity_decomposerENS1_16block_id_wrapperIjLb1EEEEE10hipError_tT1_PNSt15iterator_traitsISN_E10value_typeET2_T3_PNSO_IST_E10value_typeET4_T5_PSY_SZ_PNS1_23onesweep_lookback_stateEbbT6_jjT7_P12ihipStream_tbENKUlT_T0_SN_SS_E_clISG_PjSI_PS9_EEDaS16_S17_SN_SS_EUlS16_E_NS1_11comp_targetILNS1_3genE3ELNS1_11target_archE908ELNS1_3gpuE7ELNS1_3repE0EEENS1_47radix_sort_onesweep_sort_config_static_selectorELNS0_4arch9wavefront6targetE0EEEvSN_
                                        ; -- End function
	.set _ZN7rocprim17ROCPRIM_400000_NS6detail17trampoline_kernelINS0_14default_configENS1_35radix_sort_onesweep_config_selectorIjN6thrust23THRUST_200600_302600_NS5tupleIffNS6_9null_typeES8_S8_S8_S8_S8_S8_S8_EEEEZZNS1_29radix_sort_onesweep_iterationIS3_Lb0ENS6_6detail15normal_iteratorINS6_10device_ptrIjEEEESG_NSD_INSE_IS9_EEEESI_jNS0_19identity_decomposerENS1_16block_id_wrapperIjLb1EEEEE10hipError_tT1_PNSt15iterator_traitsISN_E10value_typeET2_T3_PNSO_IST_E10value_typeET4_T5_PSY_SZ_PNS1_23onesweep_lookback_stateEbbT6_jjT7_P12ihipStream_tbENKUlT_T0_SN_SS_E_clISG_PjSI_PS9_EEDaS16_S17_SN_SS_EUlS16_E_NS1_11comp_targetILNS1_3genE3ELNS1_11target_archE908ELNS1_3gpuE7ELNS1_3repE0EEENS1_47radix_sort_onesweep_sort_config_static_selectorELNS0_4arch9wavefront6targetE0EEEvSN_.num_vgpr, 0
	.set _ZN7rocprim17ROCPRIM_400000_NS6detail17trampoline_kernelINS0_14default_configENS1_35radix_sort_onesweep_config_selectorIjN6thrust23THRUST_200600_302600_NS5tupleIffNS6_9null_typeES8_S8_S8_S8_S8_S8_S8_EEEEZZNS1_29radix_sort_onesweep_iterationIS3_Lb0ENS6_6detail15normal_iteratorINS6_10device_ptrIjEEEESG_NSD_INSE_IS9_EEEESI_jNS0_19identity_decomposerENS1_16block_id_wrapperIjLb1EEEEE10hipError_tT1_PNSt15iterator_traitsISN_E10value_typeET2_T3_PNSO_IST_E10value_typeET4_T5_PSY_SZ_PNS1_23onesweep_lookback_stateEbbT6_jjT7_P12ihipStream_tbENKUlT_T0_SN_SS_E_clISG_PjSI_PS9_EEDaS16_S17_SN_SS_EUlS16_E_NS1_11comp_targetILNS1_3genE3ELNS1_11target_archE908ELNS1_3gpuE7ELNS1_3repE0EEENS1_47radix_sort_onesweep_sort_config_static_selectorELNS0_4arch9wavefront6targetE0EEEvSN_.num_agpr, 0
	.set _ZN7rocprim17ROCPRIM_400000_NS6detail17trampoline_kernelINS0_14default_configENS1_35radix_sort_onesweep_config_selectorIjN6thrust23THRUST_200600_302600_NS5tupleIffNS6_9null_typeES8_S8_S8_S8_S8_S8_S8_EEEEZZNS1_29radix_sort_onesweep_iterationIS3_Lb0ENS6_6detail15normal_iteratorINS6_10device_ptrIjEEEESG_NSD_INSE_IS9_EEEESI_jNS0_19identity_decomposerENS1_16block_id_wrapperIjLb1EEEEE10hipError_tT1_PNSt15iterator_traitsISN_E10value_typeET2_T3_PNSO_IST_E10value_typeET4_T5_PSY_SZ_PNS1_23onesweep_lookback_stateEbbT6_jjT7_P12ihipStream_tbENKUlT_T0_SN_SS_E_clISG_PjSI_PS9_EEDaS16_S17_SN_SS_EUlS16_E_NS1_11comp_targetILNS1_3genE3ELNS1_11target_archE908ELNS1_3gpuE7ELNS1_3repE0EEENS1_47radix_sort_onesweep_sort_config_static_selectorELNS0_4arch9wavefront6targetE0EEEvSN_.numbered_sgpr, 0
	.set _ZN7rocprim17ROCPRIM_400000_NS6detail17trampoline_kernelINS0_14default_configENS1_35radix_sort_onesweep_config_selectorIjN6thrust23THRUST_200600_302600_NS5tupleIffNS6_9null_typeES8_S8_S8_S8_S8_S8_S8_EEEEZZNS1_29radix_sort_onesweep_iterationIS3_Lb0ENS6_6detail15normal_iteratorINS6_10device_ptrIjEEEESG_NSD_INSE_IS9_EEEESI_jNS0_19identity_decomposerENS1_16block_id_wrapperIjLb1EEEEE10hipError_tT1_PNSt15iterator_traitsISN_E10value_typeET2_T3_PNSO_IST_E10value_typeET4_T5_PSY_SZ_PNS1_23onesweep_lookback_stateEbbT6_jjT7_P12ihipStream_tbENKUlT_T0_SN_SS_E_clISG_PjSI_PS9_EEDaS16_S17_SN_SS_EUlS16_E_NS1_11comp_targetILNS1_3genE3ELNS1_11target_archE908ELNS1_3gpuE7ELNS1_3repE0EEENS1_47radix_sort_onesweep_sort_config_static_selectorELNS0_4arch9wavefront6targetE0EEEvSN_.num_named_barrier, 0
	.set _ZN7rocprim17ROCPRIM_400000_NS6detail17trampoline_kernelINS0_14default_configENS1_35radix_sort_onesweep_config_selectorIjN6thrust23THRUST_200600_302600_NS5tupleIffNS6_9null_typeES8_S8_S8_S8_S8_S8_S8_EEEEZZNS1_29radix_sort_onesweep_iterationIS3_Lb0ENS6_6detail15normal_iteratorINS6_10device_ptrIjEEEESG_NSD_INSE_IS9_EEEESI_jNS0_19identity_decomposerENS1_16block_id_wrapperIjLb1EEEEE10hipError_tT1_PNSt15iterator_traitsISN_E10value_typeET2_T3_PNSO_IST_E10value_typeET4_T5_PSY_SZ_PNS1_23onesweep_lookback_stateEbbT6_jjT7_P12ihipStream_tbENKUlT_T0_SN_SS_E_clISG_PjSI_PS9_EEDaS16_S17_SN_SS_EUlS16_E_NS1_11comp_targetILNS1_3genE3ELNS1_11target_archE908ELNS1_3gpuE7ELNS1_3repE0EEENS1_47radix_sort_onesweep_sort_config_static_selectorELNS0_4arch9wavefront6targetE0EEEvSN_.private_seg_size, 0
	.set _ZN7rocprim17ROCPRIM_400000_NS6detail17trampoline_kernelINS0_14default_configENS1_35radix_sort_onesweep_config_selectorIjN6thrust23THRUST_200600_302600_NS5tupleIffNS6_9null_typeES8_S8_S8_S8_S8_S8_S8_EEEEZZNS1_29radix_sort_onesweep_iterationIS3_Lb0ENS6_6detail15normal_iteratorINS6_10device_ptrIjEEEESG_NSD_INSE_IS9_EEEESI_jNS0_19identity_decomposerENS1_16block_id_wrapperIjLb1EEEEE10hipError_tT1_PNSt15iterator_traitsISN_E10value_typeET2_T3_PNSO_IST_E10value_typeET4_T5_PSY_SZ_PNS1_23onesweep_lookback_stateEbbT6_jjT7_P12ihipStream_tbENKUlT_T0_SN_SS_E_clISG_PjSI_PS9_EEDaS16_S17_SN_SS_EUlS16_E_NS1_11comp_targetILNS1_3genE3ELNS1_11target_archE908ELNS1_3gpuE7ELNS1_3repE0EEENS1_47radix_sort_onesweep_sort_config_static_selectorELNS0_4arch9wavefront6targetE0EEEvSN_.uses_vcc, 0
	.set _ZN7rocprim17ROCPRIM_400000_NS6detail17trampoline_kernelINS0_14default_configENS1_35radix_sort_onesweep_config_selectorIjN6thrust23THRUST_200600_302600_NS5tupleIffNS6_9null_typeES8_S8_S8_S8_S8_S8_S8_EEEEZZNS1_29radix_sort_onesweep_iterationIS3_Lb0ENS6_6detail15normal_iteratorINS6_10device_ptrIjEEEESG_NSD_INSE_IS9_EEEESI_jNS0_19identity_decomposerENS1_16block_id_wrapperIjLb1EEEEE10hipError_tT1_PNSt15iterator_traitsISN_E10value_typeET2_T3_PNSO_IST_E10value_typeET4_T5_PSY_SZ_PNS1_23onesweep_lookback_stateEbbT6_jjT7_P12ihipStream_tbENKUlT_T0_SN_SS_E_clISG_PjSI_PS9_EEDaS16_S17_SN_SS_EUlS16_E_NS1_11comp_targetILNS1_3genE3ELNS1_11target_archE908ELNS1_3gpuE7ELNS1_3repE0EEENS1_47radix_sort_onesweep_sort_config_static_selectorELNS0_4arch9wavefront6targetE0EEEvSN_.uses_flat_scratch, 0
	.set _ZN7rocprim17ROCPRIM_400000_NS6detail17trampoline_kernelINS0_14default_configENS1_35radix_sort_onesweep_config_selectorIjN6thrust23THRUST_200600_302600_NS5tupleIffNS6_9null_typeES8_S8_S8_S8_S8_S8_S8_EEEEZZNS1_29radix_sort_onesweep_iterationIS3_Lb0ENS6_6detail15normal_iteratorINS6_10device_ptrIjEEEESG_NSD_INSE_IS9_EEEESI_jNS0_19identity_decomposerENS1_16block_id_wrapperIjLb1EEEEE10hipError_tT1_PNSt15iterator_traitsISN_E10value_typeET2_T3_PNSO_IST_E10value_typeET4_T5_PSY_SZ_PNS1_23onesweep_lookback_stateEbbT6_jjT7_P12ihipStream_tbENKUlT_T0_SN_SS_E_clISG_PjSI_PS9_EEDaS16_S17_SN_SS_EUlS16_E_NS1_11comp_targetILNS1_3genE3ELNS1_11target_archE908ELNS1_3gpuE7ELNS1_3repE0EEENS1_47radix_sort_onesweep_sort_config_static_selectorELNS0_4arch9wavefront6targetE0EEEvSN_.has_dyn_sized_stack, 0
	.set _ZN7rocprim17ROCPRIM_400000_NS6detail17trampoline_kernelINS0_14default_configENS1_35radix_sort_onesweep_config_selectorIjN6thrust23THRUST_200600_302600_NS5tupleIffNS6_9null_typeES8_S8_S8_S8_S8_S8_S8_EEEEZZNS1_29radix_sort_onesweep_iterationIS3_Lb0ENS6_6detail15normal_iteratorINS6_10device_ptrIjEEEESG_NSD_INSE_IS9_EEEESI_jNS0_19identity_decomposerENS1_16block_id_wrapperIjLb1EEEEE10hipError_tT1_PNSt15iterator_traitsISN_E10value_typeET2_T3_PNSO_IST_E10value_typeET4_T5_PSY_SZ_PNS1_23onesweep_lookback_stateEbbT6_jjT7_P12ihipStream_tbENKUlT_T0_SN_SS_E_clISG_PjSI_PS9_EEDaS16_S17_SN_SS_EUlS16_E_NS1_11comp_targetILNS1_3genE3ELNS1_11target_archE908ELNS1_3gpuE7ELNS1_3repE0EEENS1_47radix_sort_onesweep_sort_config_static_selectorELNS0_4arch9wavefront6targetE0EEEvSN_.has_recursion, 0
	.set _ZN7rocprim17ROCPRIM_400000_NS6detail17trampoline_kernelINS0_14default_configENS1_35radix_sort_onesweep_config_selectorIjN6thrust23THRUST_200600_302600_NS5tupleIffNS6_9null_typeES8_S8_S8_S8_S8_S8_S8_EEEEZZNS1_29radix_sort_onesweep_iterationIS3_Lb0ENS6_6detail15normal_iteratorINS6_10device_ptrIjEEEESG_NSD_INSE_IS9_EEEESI_jNS0_19identity_decomposerENS1_16block_id_wrapperIjLb1EEEEE10hipError_tT1_PNSt15iterator_traitsISN_E10value_typeET2_T3_PNSO_IST_E10value_typeET4_T5_PSY_SZ_PNS1_23onesweep_lookback_stateEbbT6_jjT7_P12ihipStream_tbENKUlT_T0_SN_SS_E_clISG_PjSI_PS9_EEDaS16_S17_SN_SS_EUlS16_E_NS1_11comp_targetILNS1_3genE3ELNS1_11target_archE908ELNS1_3gpuE7ELNS1_3repE0EEENS1_47radix_sort_onesweep_sort_config_static_selectorELNS0_4arch9wavefront6targetE0EEEvSN_.has_indirect_call, 0
	.section	.AMDGPU.csdata,"",@progbits
; Kernel info:
; codeLenInByte = 0
; TotalNumSgprs: 0
; NumVgprs: 0
; ScratchSize: 0
; MemoryBound: 0
; FloatMode: 240
; IeeeMode: 1
; LDSByteSize: 0 bytes/workgroup (compile time only)
; SGPRBlocks: 0
; VGPRBlocks: 0
; NumSGPRsForWavesPerEU: 1
; NumVGPRsForWavesPerEU: 1
; Occupancy: 16
; WaveLimiterHint : 0
; COMPUTE_PGM_RSRC2:SCRATCH_EN: 0
; COMPUTE_PGM_RSRC2:USER_SGPR: 6
; COMPUTE_PGM_RSRC2:TRAP_HANDLER: 0
; COMPUTE_PGM_RSRC2:TGID_X_EN: 1
; COMPUTE_PGM_RSRC2:TGID_Y_EN: 0
; COMPUTE_PGM_RSRC2:TGID_Z_EN: 0
; COMPUTE_PGM_RSRC2:TIDIG_COMP_CNT: 0
	.section	.text._ZN7rocprim17ROCPRIM_400000_NS6detail17trampoline_kernelINS0_14default_configENS1_35radix_sort_onesweep_config_selectorIjN6thrust23THRUST_200600_302600_NS5tupleIffNS6_9null_typeES8_S8_S8_S8_S8_S8_S8_EEEEZZNS1_29radix_sort_onesweep_iterationIS3_Lb0ENS6_6detail15normal_iteratorINS6_10device_ptrIjEEEESG_NSD_INSE_IS9_EEEESI_jNS0_19identity_decomposerENS1_16block_id_wrapperIjLb1EEEEE10hipError_tT1_PNSt15iterator_traitsISN_E10value_typeET2_T3_PNSO_IST_E10value_typeET4_T5_PSY_SZ_PNS1_23onesweep_lookback_stateEbbT6_jjT7_P12ihipStream_tbENKUlT_T0_SN_SS_E_clISG_PjSI_PS9_EEDaS16_S17_SN_SS_EUlS16_E_NS1_11comp_targetILNS1_3genE10ELNS1_11target_archE1201ELNS1_3gpuE5ELNS1_3repE0EEENS1_47radix_sort_onesweep_sort_config_static_selectorELNS0_4arch9wavefront6targetE0EEEvSN_,"axG",@progbits,_ZN7rocprim17ROCPRIM_400000_NS6detail17trampoline_kernelINS0_14default_configENS1_35radix_sort_onesweep_config_selectorIjN6thrust23THRUST_200600_302600_NS5tupleIffNS6_9null_typeES8_S8_S8_S8_S8_S8_S8_EEEEZZNS1_29radix_sort_onesweep_iterationIS3_Lb0ENS6_6detail15normal_iteratorINS6_10device_ptrIjEEEESG_NSD_INSE_IS9_EEEESI_jNS0_19identity_decomposerENS1_16block_id_wrapperIjLb1EEEEE10hipError_tT1_PNSt15iterator_traitsISN_E10value_typeET2_T3_PNSO_IST_E10value_typeET4_T5_PSY_SZ_PNS1_23onesweep_lookback_stateEbbT6_jjT7_P12ihipStream_tbENKUlT_T0_SN_SS_E_clISG_PjSI_PS9_EEDaS16_S17_SN_SS_EUlS16_E_NS1_11comp_targetILNS1_3genE10ELNS1_11target_archE1201ELNS1_3gpuE5ELNS1_3repE0EEENS1_47radix_sort_onesweep_sort_config_static_selectorELNS0_4arch9wavefront6targetE0EEEvSN_,comdat
	.protected	_ZN7rocprim17ROCPRIM_400000_NS6detail17trampoline_kernelINS0_14default_configENS1_35radix_sort_onesweep_config_selectorIjN6thrust23THRUST_200600_302600_NS5tupleIffNS6_9null_typeES8_S8_S8_S8_S8_S8_S8_EEEEZZNS1_29radix_sort_onesweep_iterationIS3_Lb0ENS6_6detail15normal_iteratorINS6_10device_ptrIjEEEESG_NSD_INSE_IS9_EEEESI_jNS0_19identity_decomposerENS1_16block_id_wrapperIjLb1EEEEE10hipError_tT1_PNSt15iterator_traitsISN_E10value_typeET2_T3_PNSO_IST_E10value_typeET4_T5_PSY_SZ_PNS1_23onesweep_lookback_stateEbbT6_jjT7_P12ihipStream_tbENKUlT_T0_SN_SS_E_clISG_PjSI_PS9_EEDaS16_S17_SN_SS_EUlS16_E_NS1_11comp_targetILNS1_3genE10ELNS1_11target_archE1201ELNS1_3gpuE5ELNS1_3repE0EEENS1_47radix_sort_onesweep_sort_config_static_selectorELNS0_4arch9wavefront6targetE0EEEvSN_ ; -- Begin function _ZN7rocprim17ROCPRIM_400000_NS6detail17trampoline_kernelINS0_14default_configENS1_35radix_sort_onesweep_config_selectorIjN6thrust23THRUST_200600_302600_NS5tupleIffNS6_9null_typeES8_S8_S8_S8_S8_S8_S8_EEEEZZNS1_29radix_sort_onesweep_iterationIS3_Lb0ENS6_6detail15normal_iteratorINS6_10device_ptrIjEEEESG_NSD_INSE_IS9_EEEESI_jNS0_19identity_decomposerENS1_16block_id_wrapperIjLb1EEEEE10hipError_tT1_PNSt15iterator_traitsISN_E10value_typeET2_T3_PNSO_IST_E10value_typeET4_T5_PSY_SZ_PNS1_23onesweep_lookback_stateEbbT6_jjT7_P12ihipStream_tbENKUlT_T0_SN_SS_E_clISG_PjSI_PS9_EEDaS16_S17_SN_SS_EUlS16_E_NS1_11comp_targetILNS1_3genE10ELNS1_11target_archE1201ELNS1_3gpuE5ELNS1_3repE0EEENS1_47radix_sort_onesweep_sort_config_static_selectorELNS0_4arch9wavefront6targetE0EEEvSN_
	.globl	_ZN7rocprim17ROCPRIM_400000_NS6detail17trampoline_kernelINS0_14default_configENS1_35radix_sort_onesweep_config_selectorIjN6thrust23THRUST_200600_302600_NS5tupleIffNS6_9null_typeES8_S8_S8_S8_S8_S8_S8_EEEEZZNS1_29radix_sort_onesweep_iterationIS3_Lb0ENS6_6detail15normal_iteratorINS6_10device_ptrIjEEEESG_NSD_INSE_IS9_EEEESI_jNS0_19identity_decomposerENS1_16block_id_wrapperIjLb1EEEEE10hipError_tT1_PNSt15iterator_traitsISN_E10value_typeET2_T3_PNSO_IST_E10value_typeET4_T5_PSY_SZ_PNS1_23onesweep_lookback_stateEbbT6_jjT7_P12ihipStream_tbENKUlT_T0_SN_SS_E_clISG_PjSI_PS9_EEDaS16_S17_SN_SS_EUlS16_E_NS1_11comp_targetILNS1_3genE10ELNS1_11target_archE1201ELNS1_3gpuE5ELNS1_3repE0EEENS1_47radix_sort_onesweep_sort_config_static_selectorELNS0_4arch9wavefront6targetE0EEEvSN_
	.p2align	8
	.type	_ZN7rocprim17ROCPRIM_400000_NS6detail17trampoline_kernelINS0_14default_configENS1_35radix_sort_onesweep_config_selectorIjN6thrust23THRUST_200600_302600_NS5tupleIffNS6_9null_typeES8_S8_S8_S8_S8_S8_S8_EEEEZZNS1_29radix_sort_onesweep_iterationIS3_Lb0ENS6_6detail15normal_iteratorINS6_10device_ptrIjEEEESG_NSD_INSE_IS9_EEEESI_jNS0_19identity_decomposerENS1_16block_id_wrapperIjLb1EEEEE10hipError_tT1_PNSt15iterator_traitsISN_E10value_typeET2_T3_PNSO_IST_E10value_typeET4_T5_PSY_SZ_PNS1_23onesweep_lookback_stateEbbT6_jjT7_P12ihipStream_tbENKUlT_T0_SN_SS_E_clISG_PjSI_PS9_EEDaS16_S17_SN_SS_EUlS16_E_NS1_11comp_targetILNS1_3genE10ELNS1_11target_archE1201ELNS1_3gpuE5ELNS1_3repE0EEENS1_47radix_sort_onesweep_sort_config_static_selectorELNS0_4arch9wavefront6targetE0EEEvSN_,@function
_ZN7rocprim17ROCPRIM_400000_NS6detail17trampoline_kernelINS0_14default_configENS1_35radix_sort_onesweep_config_selectorIjN6thrust23THRUST_200600_302600_NS5tupleIffNS6_9null_typeES8_S8_S8_S8_S8_S8_S8_EEEEZZNS1_29radix_sort_onesweep_iterationIS3_Lb0ENS6_6detail15normal_iteratorINS6_10device_ptrIjEEEESG_NSD_INSE_IS9_EEEESI_jNS0_19identity_decomposerENS1_16block_id_wrapperIjLb1EEEEE10hipError_tT1_PNSt15iterator_traitsISN_E10value_typeET2_T3_PNSO_IST_E10value_typeET4_T5_PSY_SZ_PNS1_23onesweep_lookback_stateEbbT6_jjT7_P12ihipStream_tbENKUlT_T0_SN_SS_E_clISG_PjSI_PS9_EEDaS16_S17_SN_SS_EUlS16_E_NS1_11comp_targetILNS1_3genE10ELNS1_11target_archE1201ELNS1_3gpuE5ELNS1_3repE0EEENS1_47radix_sort_onesweep_sort_config_static_selectorELNS0_4arch9wavefront6targetE0EEEvSN_: ; @_ZN7rocprim17ROCPRIM_400000_NS6detail17trampoline_kernelINS0_14default_configENS1_35radix_sort_onesweep_config_selectorIjN6thrust23THRUST_200600_302600_NS5tupleIffNS6_9null_typeES8_S8_S8_S8_S8_S8_S8_EEEEZZNS1_29radix_sort_onesweep_iterationIS3_Lb0ENS6_6detail15normal_iteratorINS6_10device_ptrIjEEEESG_NSD_INSE_IS9_EEEESI_jNS0_19identity_decomposerENS1_16block_id_wrapperIjLb1EEEEE10hipError_tT1_PNSt15iterator_traitsISN_E10value_typeET2_T3_PNSO_IST_E10value_typeET4_T5_PSY_SZ_PNS1_23onesweep_lookback_stateEbbT6_jjT7_P12ihipStream_tbENKUlT_T0_SN_SS_E_clISG_PjSI_PS9_EEDaS16_S17_SN_SS_EUlS16_E_NS1_11comp_targetILNS1_3genE10ELNS1_11target_archE1201ELNS1_3gpuE5ELNS1_3repE0EEENS1_47radix_sort_onesweep_sort_config_static_selectorELNS0_4arch9wavefront6targetE0EEEvSN_
; %bb.0:
	.section	.rodata,"a",@progbits
	.p2align	6, 0x0
	.amdhsa_kernel _ZN7rocprim17ROCPRIM_400000_NS6detail17trampoline_kernelINS0_14default_configENS1_35radix_sort_onesweep_config_selectorIjN6thrust23THRUST_200600_302600_NS5tupleIffNS6_9null_typeES8_S8_S8_S8_S8_S8_S8_EEEEZZNS1_29radix_sort_onesweep_iterationIS3_Lb0ENS6_6detail15normal_iteratorINS6_10device_ptrIjEEEESG_NSD_INSE_IS9_EEEESI_jNS0_19identity_decomposerENS1_16block_id_wrapperIjLb1EEEEE10hipError_tT1_PNSt15iterator_traitsISN_E10value_typeET2_T3_PNSO_IST_E10value_typeET4_T5_PSY_SZ_PNS1_23onesweep_lookback_stateEbbT6_jjT7_P12ihipStream_tbENKUlT_T0_SN_SS_E_clISG_PjSI_PS9_EEDaS16_S17_SN_SS_EUlS16_E_NS1_11comp_targetILNS1_3genE10ELNS1_11target_archE1201ELNS1_3gpuE5ELNS1_3repE0EEENS1_47radix_sort_onesweep_sort_config_static_selectorELNS0_4arch9wavefront6targetE0EEEvSN_
		.amdhsa_group_segment_fixed_size 0
		.amdhsa_private_segment_fixed_size 0
		.amdhsa_kernarg_size 88
		.amdhsa_user_sgpr_count 6
		.amdhsa_user_sgpr_private_segment_buffer 1
		.amdhsa_user_sgpr_dispatch_ptr 0
		.amdhsa_user_sgpr_queue_ptr 0
		.amdhsa_user_sgpr_kernarg_segment_ptr 1
		.amdhsa_user_sgpr_dispatch_id 0
		.amdhsa_user_sgpr_flat_scratch_init 0
		.amdhsa_user_sgpr_private_segment_size 0
		.amdhsa_wavefront_size32 1
		.amdhsa_uses_dynamic_stack 0
		.amdhsa_system_sgpr_private_segment_wavefront_offset 0
		.amdhsa_system_sgpr_workgroup_id_x 1
		.amdhsa_system_sgpr_workgroup_id_y 0
		.amdhsa_system_sgpr_workgroup_id_z 0
		.amdhsa_system_sgpr_workgroup_info 0
		.amdhsa_system_vgpr_workitem_id 0
		.amdhsa_next_free_vgpr 1
		.amdhsa_next_free_sgpr 1
		.amdhsa_reserve_vcc 0
		.amdhsa_reserve_flat_scratch 0
		.amdhsa_float_round_mode_32 0
		.amdhsa_float_round_mode_16_64 0
		.amdhsa_float_denorm_mode_32 3
		.amdhsa_float_denorm_mode_16_64 3
		.amdhsa_dx10_clamp 1
		.amdhsa_ieee_mode 1
		.amdhsa_fp16_overflow 0
		.amdhsa_workgroup_processor_mode 1
		.amdhsa_memory_ordered 1
		.amdhsa_forward_progress 1
		.amdhsa_shared_vgpr_count 0
		.amdhsa_exception_fp_ieee_invalid_op 0
		.amdhsa_exception_fp_denorm_src 0
		.amdhsa_exception_fp_ieee_div_zero 0
		.amdhsa_exception_fp_ieee_overflow 0
		.amdhsa_exception_fp_ieee_underflow 0
		.amdhsa_exception_fp_ieee_inexact 0
		.amdhsa_exception_int_div_zero 0
	.end_amdhsa_kernel
	.section	.text._ZN7rocprim17ROCPRIM_400000_NS6detail17trampoline_kernelINS0_14default_configENS1_35radix_sort_onesweep_config_selectorIjN6thrust23THRUST_200600_302600_NS5tupleIffNS6_9null_typeES8_S8_S8_S8_S8_S8_S8_EEEEZZNS1_29radix_sort_onesweep_iterationIS3_Lb0ENS6_6detail15normal_iteratorINS6_10device_ptrIjEEEESG_NSD_INSE_IS9_EEEESI_jNS0_19identity_decomposerENS1_16block_id_wrapperIjLb1EEEEE10hipError_tT1_PNSt15iterator_traitsISN_E10value_typeET2_T3_PNSO_IST_E10value_typeET4_T5_PSY_SZ_PNS1_23onesweep_lookback_stateEbbT6_jjT7_P12ihipStream_tbENKUlT_T0_SN_SS_E_clISG_PjSI_PS9_EEDaS16_S17_SN_SS_EUlS16_E_NS1_11comp_targetILNS1_3genE10ELNS1_11target_archE1201ELNS1_3gpuE5ELNS1_3repE0EEENS1_47radix_sort_onesweep_sort_config_static_selectorELNS0_4arch9wavefront6targetE0EEEvSN_,"axG",@progbits,_ZN7rocprim17ROCPRIM_400000_NS6detail17trampoline_kernelINS0_14default_configENS1_35radix_sort_onesweep_config_selectorIjN6thrust23THRUST_200600_302600_NS5tupleIffNS6_9null_typeES8_S8_S8_S8_S8_S8_S8_EEEEZZNS1_29radix_sort_onesweep_iterationIS3_Lb0ENS6_6detail15normal_iteratorINS6_10device_ptrIjEEEESG_NSD_INSE_IS9_EEEESI_jNS0_19identity_decomposerENS1_16block_id_wrapperIjLb1EEEEE10hipError_tT1_PNSt15iterator_traitsISN_E10value_typeET2_T3_PNSO_IST_E10value_typeET4_T5_PSY_SZ_PNS1_23onesweep_lookback_stateEbbT6_jjT7_P12ihipStream_tbENKUlT_T0_SN_SS_E_clISG_PjSI_PS9_EEDaS16_S17_SN_SS_EUlS16_E_NS1_11comp_targetILNS1_3genE10ELNS1_11target_archE1201ELNS1_3gpuE5ELNS1_3repE0EEENS1_47radix_sort_onesweep_sort_config_static_selectorELNS0_4arch9wavefront6targetE0EEEvSN_,comdat
.Lfunc_end190:
	.size	_ZN7rocprim17ROCPRIM_400000_NS6detail17trampoline_kernelINS0_14default_configENS1_35radix_sort_onesweep_config_selectorIjN6thrust23THRUST_200600_302600_NS5tupleIffNS6_9null_typeES8_S8_S8_S8_S8_S8_S8_EEEEZZNS1_29radix_sort_onesweep_iterationIS3_Lb0ENS6_6detail15normal_iteratorINS6_10device_ptrIjEEEESG_NSD_INSE_IS9_EEEESI_jNS0_19identity_decomposerENS1_16block_id_wrapperIjLb1EEEEE10hipError_tT1_PNSt15iterator_traitsISN_E10value_typeET2_T3_PNSO_IST_E10value_typeET4_T5_PSY_SZ_PNS1_23onesweep_lookback_stateEbbT6_jjT7_P12ihipStream_tbENKUlT_T0_SN_SS_E_clISG_PjSI_PS9_EEDaS16_S17_SN_SS_EUlS16_E_NS1_11comp_targetILNS1_3genE10ELNS1_11target_archE1201ELNS1_3gpuE5ELNS1_3repE0EEENS1_47radix_sort_onesweep_sort_config_static_selectorELNS0_4arch9wavefront6targetE0EEEvSN_, .Lfunc_end190-_ZN7rocprim17ROCPRIM_400000_NS6detail17trampoline_kernelINS0_14default_configENS1_35radix_sort_onesweep_config_selectorIjN6thrust23THRUST_200600_302600_NS5tupleIffNS6_9null_typeES8_S8_S8_S8_S8_S8_S8_EEEEZZNS1_29radix_sort_onesweep_iterationIS3_Lb0ENS6_6detail15normal_iteratorINS6_10device_ptrIjEEEESG_NSD_INSE_IS9_EEEESI_jNS0_19identity_decomposerENS1_16block_id_wrapperIjLb1EEEEE10hipError_tT1_PNSt15iterator_traitsISN_E10value_typeET2_T3_PNSO_IST_E10value_typeET4_T5_PSY_SZ_PNS1_23onesweep_lookback_stateEbbT6_jjT7_P12ihipStream_tbENKUlT_T0_SN_SS_E_clISG_PjSI_PS9_EEDaS16_S17_SN_SS_EUlS16_E_NS1_11comp_targetILNS1_3genE10ELNS1_11target_archE1201ELNS1_3gpuE5ELNS1_3repE0EEENS1_47radix_sort_onesweep_sort_config_static_selectorELNS0_4arch9wavefront6targetE0EEEvSN_
                                        ; -- End function
	.set _ZN7rocprim17ROCPRIM_400000_NS6detail17trampoline_kernelINS0_14default_configENS1_35radix_sort_onesweep_config_selectorIjN6thrust23THRUST_200600_302600_NS5tupleIffNS6_9null_typeES8_S8_S8_S8_S8_S8_S8_EEEEZZNS1_29radix_sort_onesweep_iterationIS3_Lb0ENS6_6detail15normal_iteratorINS6_10device_ptrIjEEEESG_NSD_INSE_IS9_EEEESI_jNS0_19identity_decomposerENS1_16block_id_wrapperIjLb1EEEEE10hipError_tT1_PNSt15iterator_traitsISN_E10value_typeET2_T3_PNSO_IST_E10value_typeET4_T5_PSY_SZ_PNS1_23onesweep_lookback_stateEbbT6_jjT7_P12ihipStream_tbENKUlT_T0_SN_SS_E_clISG_PjSI_PS9_EEDaS16_S17_SN_SS_EUlS16_E_NS1_11comp_targetILNS1_3genE10ELNS1_11target_archE1201ELNS1_3gpuE5ELNS1_3repE0EEENS1_47radix_sort_onesweep_sort_config_static_selectorELNS0_4arch9wavefront6targetE0EEEvSN_.num_vgpr, 0
	.set _ZN7rocprim17ROCPRIM_400000_NS6detail17trampoline_kernelINS0_14default_configENS1_35radix_sort_onesweep_config_selectorIjN6thrust23THRUST_200600_302600_NS5tupleIffNS6_9null_typeES8_S8_S8_S8_S8_S8_S8_EEEEZZNS1_29radix_sort_onesweep_iterationIS3_Lb0ENS6_6detail15normal_iteratorINS6_10device_ptrIjEEEESG_NSD_INSE_IS9_EEEESI_jNS0_19identity_decomposerENS1_16block_id_wrapperIjLb1EEEEE10hipError_tT1_PNSt15iterator_traitsISN_E10value_typeET2_T3_PNSO_IST_E10value_typeET4_T5_PSY_SZ_PNS1_23onesweep_lookback_stateEbbT6_jjT7_P12ihipStream_tbENKUlT_T0_SN_SS_E_clISG_PjSI_PS9_EEDaS16_S17_SN_SS_EUlS16_E_NS1_11comp_targetILNS1_3genE10ELNS1_11target_archE1201ELNS1_3gpuE5ELNS1_3repE0EEENS1_47radix_sort_onesweep_sort_config_static_selectorELNS0_4arch9wavefront6targetE0EEEvSN_.num_agpr, 0
	.set _ZN7rocprim17ROCPRIM_400000_NS6detail17trampoline_kernelINS0_14default_configENS1_35radix_sort_onesweep_config_selectorIjN6thrust23THRUST_200600_302600_NS5tupleIffNS6_9null_typeES8_S8_S8_S8_S8_S8_S8_EEEEZZNS1_29radix_sort_onesweep_iterationIS3_Lb0ENS6_6detail15normal_iteratorINS6_10device_ptrIjEEEESG_NSD_INSE_IS9_EEEESI_jNS0_19identity_decomposerENS1_16block_id_wrapperIjLb1EEEEE10hipError_tT1_PNSt15iterator_traitsISN_E10value_typeET2_T3_PNSO_IST_E10value_typeET4_T5_PSY_SZ_PNS1_23onesweep_lookback_stateEbbT6_jjT7_P12ihipStream_tbENKUlT_T0_SN_SS_E_clISG_PjSI_PS9_EEDaS16_S17_SN_SS_EUlS16_E_NS1_11comp_targetILNS1_3genE10ELNS1_11target_archE1201ELNS1_3gpuE5ELNS1_3repE0EEENS1_47radix_sort_onesweep_sort_config_static_selectorELNS0_4arch9wavefront6targetE0EEEvSN_.numbered_sgpr, 0
	.set _ZN7rocprim17ROCPRIM_400000_NS6detail17trampoline_kernelINS0_14default_configENS1_35radix_sort_onesweep_config_selectorIjN6thrust23THRUST_200600_302600_NS5tupleIffNS6_9null_typeES8_S8_S8_S8_S8_S8_S8_EEEEZZNS1_29radix_sort_onesweep_iterationIS3_Lb0ENS6_6detail15normal_iteratorINS6_10device_ptrIjEEEESG_NSD_INSE_IS9_EEEESI_jNS0_19identity_decomposerENS1_16block_id_wrapperIjLb1EEEEE10hipError_tT1_PNSt15iterator_traitsISN_E10value_typeET2_T3_PNSO_IST_E10value_typeET4_T5_PSY_SZ_PNS1_23onesweep_lookback_stateEbbT6_jjT7_P12ihipStream_tbENKUlT_T0_SN_SS_E_clISG_PjSI_PS9_EEDaS16_S17_SN_SS_EUlS16_E_NS1_11comp_targetILNS1_3genE10ELNS1_11target_archE1201ELNS1_3gpuE5ELNS1_3repE0EEENS1_47radix_sort_onesweep_sort_config_static_selectorELNS0_4arch9wavefront6targetE0EEEvSN_.num_named_barrier, 0
	.set _ZN7rocprim17ROCPRIM_400000_NS6detail17trampoline_kernelINS0_14default_configENS1_35radix_sort_onesweep_config_selectorIjN6thrust23THRUST_200600_302600_NS5tupleIffNS6_9null_typeES8_S8_S8_S8_S8_S8_S8_EEEEZZNS1_29radix_sort_onesweep_iterationIS3_Lb0ENS6_6detail15normal_iteratorINS6_10device_ptrIjEEEESG_NSD_INSE_IS9_EEEESI_jNS0_19identity_decomposerENS1_16block_id_wrapperIjLb1EEEEE10hipError_tT1_PNSt15iterator_traitsISN_E10value_typeET2_T3_PNSO_IST_E10value_typeET4_T5_PSY_SZ_PNS1_23onesweep_lookback_stateEbbT6_jjT7_P12ihipStream_tbENKUlT_T0_SN_SS_E_clISG_PjSI_PS9_EEDaS16_S17_SN_SS_EUlS16_E_NS1_11comp_targetILNS1_3genE10ELNS1_11target_archE1201ELNS1_3gpuE5ELNS1_3repE0EEENS1_47radix_sort_onesweep_sort_config_static_selectorELNS0_4arch9wavefront6targetE0EEEvSN_.private_seg_size, 0
	.set _ZN7rocprim17ROCPRIM_400000_NS6detail17trampoline_kernelINS0_14default_configENS1_35radix_sort_onesweep_config_selectorIjN6thrust23THRUST_200600_302600_NS5tupleIffNS6_9null_typeES8_S8_S8_S8_S8_S8_S8_EEEEZZNS1_29radix_sort_onesweep_iterationIS3_Lb0ENS6_6detail15normal_iteratorINS6_10device_ptrIjEEEESG_NSD_INSE_IS9_EEEESI_jNS0_19identity_decomposerENS1_16block_id_wrapperIjLb1EEEEE10hipError_tT1_PNSt15iterator_traitsISN_E10value_typeET2_T3_PNSO_IST_E10value_typeET4_T5_PSY_SZ_PNS1_23onesweep_lookback_stateEbbT6_jjT7_P12ihipStream_tbENKUlT_T0_SN_SS_E_clISG_PjSI_PS9_EEDaS16_S17_SN_SS_EUlS16_E_NS1_11comp_targetILNS1_3genE10ELNS1_11target_archE1201ELNS1_3gpuE5ELNS1_3repE0EEENS1_47radix_sort_onesweep_sort_config_static_selectorELNS0_4arch9wavefront6targetE0EEEvSN_.uses_vcc, 0
	.set _ZN7rocprim17ROCPRIM_400000_NS6detail17trampoline_kernelINS0_14default_configENS1_35radix_sort_onesweep_config_selectorIjN6thrust23THRUST_200600_302600_NS5tupleIffNS6_9null_typeES8_S8_S8_S8_S8_S8_S8_EEEEZZNS1_29radix_sort_onesweep_iterationIS3_Lb0ENS6_6detail15normal_iteratorINS6_10device_ptrIjEEEESG_NSD_INSE_IS9_EEEESI_jNS0_19identity_decomposerENS1_16block_id_wrapperIjLb1EEEEE10hipError_tT1_PNSt15iterator_traitsISN_E10value_typeET2_T3_PNSO_IST_E10value_typeET4_T5_PSY_SZ_PNS1_23onesweep_lookback_stateEbbT6_jjT7_P12ihipStream_tbENKUlT_T0_SN_SS_E_clISG_PjSI_PS9_EEDaS16_S17_SN_SS_EUlS16_E_NS1_11comp_targetILNS1_3genE10ELNS1_11target_archE1201ELNS1_3gpuE5ELNS1_3repE0EEENS1_47radix_sort_onesweep_sort_config_static_selectorELNS0_4arch9wavefront6targetE0EEEvSN_.uses_flat_scratch, 0
	.set _ZN7rocprim17ROCPRIM_400000_NS6detail17trampoline_kernelINS0_14default_configENS1_35radix_sort_onesweep_config_selectorIjN6thrust23THRUST_200600_302600_NS5tupleIffNS6_9null_typeES8_S8_S8_S8_S8_S8_S8_EEEEZZNS1_29radix_sort_onesweep_iterationIS3_Lb0ENS6_6detail15normal_iteratorINS6_10device_ptrIjEEEESG_NSD_INSE_IS9_EEEESI_jNS0_19identity_decomposerENS1_16block_id_wrapperIjLb1EEEEE10hipError_tT1_PNSt15iterator_traitsISN_E10value_typeET2_T3_PNSO_IST_E10value_typeET4_T5_PSY_SZ_PNS1_23onesweep_lookback_stateEbbT6_jjT7_P12ihipStream_tbENKUlT_T0_SN_SS_E_clISG_PjSI_PS9_EEDaS16_S17_SN_SS_EUlS16_E_NS1_11comp_targetILNS1_3genE10ELNS1_11target_archE1201ELNS1_3gpuE5ELNS1_3repE0EEENS1_47radix_sort_onesweep_sort_config_static_selectorELNS0_4arch9wavefront6targetE0EEEvSN_.has_dyn_sized_stack, 0
	.set _ZN7rocprim17ROCPRIM_400000_NS6detail17trampoline_kernelINS0_14default_configENS1_35radix_sort_onesweep_config_selectorIjN6thrust23THRUST_200600_302600_NS5tupleIffNS6_9null_typeES8_S8_S8_S8_S8_S8_S8_EEEEZZNS1_29radix_sort_onesweep_iterationIS3_Lb0ENS6_6detail15normal_iteratorINS6_10device_ptrIjEEEESG_NSD_INSE_IS9_EEEESI_jNS0_19identity_decomposerENS1_16block_id_wrapperIjLb1EEEEE10hipError_tT1_PNSt15iterator_traitsISN_E10value_typeET2_T3_PNSO_IST_E10value_typeET4_T5_PSY_SZ_PNS1_23onesweep_lookback_stateEbbT6_jjT7_P12ihipStream_tbENKUlT_T0_SN_SS_E_clISG_PjSI_PS9_EEDaS16_S17_SN_SS_EUlS16_E_NS1_11comp_targetILNS1_3genE10ELNS1_11target_archE1201ELNS1_3gpuE5ELNS1_3repE0EEENS1_47radix_sort_onesweep_sort_config_static_selectorELNS0_4arch9wavefront6targetE0EEEvSN_.has_recursion, 0
	.set _ZN7rocprim17ROCPRIM_400000_NS6detail17trampoline_kernelINS0_14default_configENS1_35radix_sort_onesweep_config_selectorIjN6thrust23THRUST_200600_302600_NS5tupleIffNS6_9null_typeES8_S8_S8_S8_S8_S8_S8_EEEEZZNS1_29radix_sort_onesweep_iterationIS3_Lb0ENS6_6detail15normal_iteratorINS6_10device_ptrIjEEEESG_NSD_INSE_IS9_EEEESI_jNS0_19identity_decomposerENS1_16block_id_wrapperIjLb1EEEEE10hipError_tT1_PNSt15iterator_traitsISN_E10value_typeET2_T3_PNSO_IST_E10value_typeET4_T5_PSY_SZ_PNS1_23onesweep_lookback_stateEbbT6_jjT7_P12ihipStream_tbENKUlT_T0_SN_SS_E_clISG_PjSI_PS9_EEDaS16_S17_SN_SS_EUlS16_E_NS1_11comp_targetILNS1_3genE10ELNS1_11target_archE1201ELNS1_3gpuE5ELNS1_3repE0EEENS1_47radix_sort_onesweep_sort_config_static_selectorELNS0_4arch9wavefront6targetE0EEEvSN_.has_indirect_call, 0
	.section	.AMDGPU.csdata,"",@progbits
; Kernel info:
; codeLenInByte = 0
; TotalNumSgprs: 0
; NumVgprs: 0
; ScratchSize: 0
; MemoryBound: 0
; FloatMode: 240
; IeeeMode: 1
; LDSByteSize: 0 bytes/workgroup (compile time only)
; SGPRBlocks: 0
; VGPRBlocks: 0
; NumSGPRsForWavesPerEU: 1
; NumVGPRsForWavesPerEU: 1
; Occupancy: 16
; WaveLimiterHint : 0
; COMPUTE_PGM_RSRC2:SCRATCH_EN: 0
; COMPUTE_PGM_RSRC2:USER_SGPR: 6
; COMPUTE_PGM_RSRC2:TRAP_HANDLER: 0
; COMPUTE_PGM_RSRC2:TGID_X_EN: 1
; COMPUTE_PGM_RSRC2:TGID_Y_EN: 0
; COMPUTE_PGM_RSRC2:TGID_Z_EN: 0
; COMPUTE_PGM_RSRC2:TIDIG_COMP_CNT: 0
	.section	.text._ZN7rocprim17ROCPRIM_400000_NS6detail17trampoline_kernelINS0_14default_configENS1_35radix_sort_onesweep_config_selectorIjN6thrust23THRUST_200600_302600_NS5tupleIffNS6_9null_typeES8_S8_S8_S8_S8_S8_S8_EEEEZZNS1_29radix_sort_onesweep_iterationIS3_Lb0ENS6_6detail15normal_iteratorINS6_10device_ptrIjEEEESG_NSD_INSE_IS9_EEEESI_jNS0_19identity_decomposerENS1_16block_id_wrapperIjLb1EEEEE10hipError_tT1_PNSt15iterator_traitsISN_E10value_typeET2_T3_PNSO_IST_E10value_typeET4_T5_PSY_SZ_PNS1_23onesweep_lookback_stateEbbT6_jjT7_P12ihipStream_tbENKUlT_T0_SN_SS_E_clISG_PjSI_PS9_EEDaS16_S17_SN_SS_EUlS16_E_NS1_11comp_targetILNS1_3genE9ELNS1_11target_archE1100ELNS1_3gpuE3ELNS1_3repE0EEENS1_47radix_sort_onesweep_sort_config_static_selectorELNS0_4arch9wavefront6targetE0EEEvSN_,"axG",@progbits,_ZN7rocprim17ROCPRIM_400000_NS6detail17trampoline_kernelINS0_14default_configENS1_35radix_sort_onesweep_config_selectorIjN6thrust23THRUST_200600_302600_NS5tupleIffNS6_9null_typeES8_S8_S8_S8_S8_S8_S8_EEEEZZNS1_29radix_sort_onesweep_iterationIS3_Lb0ENS6_6detail15normal_iteratorINS6_10device_ptrIjEEEESG_NSD_INSE_IS9_EEEESI_jNS0_19identity_decomposerENS1_16block_id_wrapperIjLb1EEEEE10hipError_tT1_PNSt15iterator_traitsISN_E10value_typeET2_T3_PNSO_IST_E10value_typeET4_T5_PSY_SZ_PNS1_23onesweep_lookback_stateEbbT6_jjT7_P12ihipStream_tbENKUlT_T0_SN_SS_E_clISG_PjSI_PS9_EEDaS16_S17_SN_SS_EUlS16_E_NS1_11comp_targetILNS1_3genE9ELNS1_11target_archE1100ELNS1_3gpuE3ELNS1_3repE0EEENS1_47radix_sort_onesweep_sort_config_static_selectorELNS0_4arch9wavefront6targetE0EEEvSN_,comdat
	.protected	_ZN7rocprim17ROCPRIM_400000_NS6detail17trampoline_kernelINS0_14default_configENS1_35radix_sort_onesweep_config_selectorIjN6thrust23THRUST_200600_302600_NS5tupleIffNS6_9null_typeES8_S8_S8_S8_S8_S8_S8_EEEEZZNS1_29radix_sort_onesweep_iterationIS3_Lb0ENS6_6detail15normal_iteratorINS6_10device_ptrIjEEEESG_NSD_INSE_IS9_EEEESI_jNS0_19identity_decomposerENS1_16block_id_wrapperIjLb1EEEEE10hipError_tT1_PNSt15iterator_traitsISN_E10value_typeET2_T3_PNSO_IST_E10value_typeET4_T5_PSY_SZ_PNS1_23onesweep_lookback_stateEbbT6_jjT7_P12ihipStream_tbENKUlT_T0_SN_SS_E_clISG_PjSI_PS9_EEDaS16_S17_SN_SS_EUlS16_E_NS1_11comp_targetILNS1_3genE9ELNS1_11target_archE1100ELNS1_3gpuE3ELNS1_3repE0EEENS1_47radix_sort_onesweep_sort_config_static_selectorELNS0_4arch9wavefront6targetE0EEEvSN_ ; -- Begin function _ZN7rocprim17ROCPRIM_400000_NS6detail17trampoline_kernelINS0_14default_configENS1_35radix_sort_onesweep_config_selectorIjN6thrust23THRUST_200600_302600_NS5tupleIffNS6_9null_typeES8_S8_S8_S8_S8_S8_S8_EEEEZZNS1_29radix_sort_onesweep_iterationIS3_Lb0ENS6_6detail15normal_iteratorINS6_10device_ptrIjEEEESG_NSD_INSE_IS9_EEEESI_jNS0_19identity_decomposerENS1_16block_id_wrapperIjLb1EEEEE10hipError_tT1_PNSt15iterator_traitsISN_E10value_typeET2_T3_PNSO_IST_E10value_typeET4_T5_PSY_SZ_PNS1_23onesweep_lookback_stateEbbT6_jjT7_P12ihipStream_tbENKUlT_T0_SN_SS_E_clISG_PjSI_PS9_EEDaS16_S17_SN_SS_EUlS16_E_NS1_11comp_targetILNS1_3genE9ELNS1_11target_archE1100ELNS1_3gpuE3ELNS1_3repE0EEENS1_47radix_sort_onesweep_sort_config_static_selectorELNS0_4arch9wavefront6targetE0EEEvSN_
	.globl	_ZN7rocprim17ROCPRIM_400000_NS6detail17trampoline_kernelINS0_14default_configENS1_35radix_sort_onesweep_config_selectorIjN6thrust23THRUST_200600_302600_NS5tupleIffNS6_9null_typeES8_S8_S8_S8_S8_S8_S8_EEEEZZNS1_29radix_sort_onesweep_iterationIS3_Lb0ENS6_6detail15normal_iteratorINS6_10device_ptrIjEEEESG_NSD_INSE_IS9_EEEESI_jNS0_19identity_decomposerENS1_16block_id_wrapperIjLb1EEEEE10hipError_tT1_PNSt15iterator_traitsISN_E10value_typeET2_T3_PNSO_IST_E10value_typeET4_T5_PSY_SZ_PNS1_23onesweep_lookback_stateEbbT6_jjT7_P12ihipStream_tbENKUlT_T0_SN_SS_E_clISG_PjSI_PS9_EEDaS16_S17_SN_SS_EUlS16_E_NS1_11comp_targetILNS1_3genE9ELNS1_11target_archE1100ELNS1_3gpuE3ELNS1_3repE0EEENS1_47radix_sort_onesweep_sort_config_static_selectorELNS0_4arch9wavefront6targetE0EEEvSN_
	.p2align	8
	.type	_ZN7rocprim17ROCPRIM_400000_NS6detail17trampoline_kernelINS0_14default_configENS1_35radix_sort_onesweep_config_selectorIjN6thrust23THRUST_200600_302600_NS5tupleIffNS6_9null_typeES8_S8_S8_S8_S8_S8_S8_EEEEZZNS1_29radix_sort_onesweep_iterationIS3_Lb0ENS6_6detail15normal_iteratorINS6_10device_ptrIjEEEESG_NSD_INSE_IS9_EEEESI_jNS0_19identity_decomposerENS1_16block_id_wrapperIjLb1EEEEE10hipError_tT1_PNSt15iterator_traitsISN_E10value_typeET2_T3_PNSO_IST_E10value_typeET4_T5_PSY_SZ_PNS1_23onesweep_lookback_stateEbbT6_jjT7_P12ihipStream_tbENKUlT_T0_SN_SS_E_clISG_PjSI_PS9_EEDaS16_S17_SN_SS_EUlS16_E_NS1_11comp_targetILNS1_3genE9ELNS1_11target_archE1100ELNS1_3gpuE3ELNS1_3repE0EEENS1_47radix_sort_onesweep_sort_config_static_selectorELNS0_4arch9wavefront6targetE0EEEvSN_,@function
_ZN7rocprim17ROCPRIM_400000_NS6detail17trampoline_kernelINS0_14default_configENS1_35radix_sort_onesweep_config_selectorIjN6thrust23THRUST_200600_302600_NS5tupleIffNS6_9null_typeES8_S8_S8_S8_S8_S8_S8_EEEEZZNS1_29radix_sort_onesweep_iterationIS3_Lb0ENS6_6detail15normal_iteratorINS6_10device_ptrIjEEEESG_NSD_INSE_IS9_EEEESI_jNS0_19identity_decomposerENS1_16block_id_wrapperIjLb1EEEEE10hipError_tT1_PNSt15iterator_traitsISN_E10value_typeET2_T3_PNSO_IST_E10value_typeET4_T5_PSY_SZ_PNS1_23onesweep_lookback_stateEbbT6_jjT7_P12ihipStream_tbENKUlT_T0_SN_SS_E_clISG_PjSI_PS9_EEDaS16_S17_SN_SS_EUlS16_E_NS1_11comp_targetILNS1_3genE9ELNS1_11target_archE1100ELNS1_3gpuE3ELNS1_3repE0EEENS1_47radix_sort_onesweep_sort_config_static_selectorELNS0_4arch9wavefront6targetE0EEEvSN_: ; @_ZN7rocprim17ROCPRIM_400000_NS6detail17trampoline_kernelINS0_14default_configENS1_35radix_sort_onesweep_config_selectorIjN6thrust23THRUST_200600_302600_NS5tupleIffNS6_9null_typeES8_S8_S8_S8_S8_S8_S8_EEEEZZNS1_29radix_sort_onesweep_iterationIS3_Lb0ENS6_6detail15normal_iteratorINS6_10device_ptrIjEEEESG_NSD_INSE_IS9_EEEESI_jNS0_19identity_decomposerENS1_16block_id_wrapperIjLb1EEEEE10hipError_tT1_PNSt15iterator_traitsISN_E10value_typeET2_T3_PNSO_IST_E10value_typeET4_T5_PSY_SZ_PNS1_23onesweep_lookback_stateEbbT6_jjT7_P12ihipStream_tbENKUlT_T0_SN_SS_E_clISG_PjSI_PS9_EEDaS16_S17_SN_SS_EUlS16_E_NS1_11comp_targetILNS1_3genE9ELNS1_11target_archE1100ELNS1_3gpuE3ELNS1_3repE0EEENS1_47radix_sort_onesweep_sort_config_static_selectorELNS0_4arch9wavefront6targetE0EEEvSN_
; %bb.0:
	.section	.rodata,"a",@progbits
	.p2align	6, 0x0
	.amdhsa_kernel _ZN7rocprim17ROCPRIM_400000_NS6detail17trampoline_kernelINS0_14default_configENS1_35radix_sort_onesweep_config_selectorIjN6thrust23THRUST_200600_302600_NS5tupleIffNS6_9null_typeES8_S8_S8_S8_S8_S8_S8_EEEEZZNS1_29radix_sort_onesweep_iterationIS3_Lb0ENS6_6detail15normal_iteratorINS6_10device_ptrIjEEEESG_NSD_INSE_IS9_EEEESI_jNS0_19identity_decomposerENS1_16block_id_wrapperIjLb1EEEEE10hipError_tT1_PNSt15iterator_traitsISN_E10value_typeET2_T3_PNSO_IST_E10value_typeET4_T5_PSY_SZ_PNS1_23onesweep_lookback_stateEbbT6_jjT7_P12ihipStream_tbENKUlT_T0_SN_SS_E_clISG_PjSI_PS9_EEDaS16_S17_SN_SS_EUlS16_E_NS1_11comp_targetILNS1_3genE9ELNS1_11target_archE1100ELNS1_3gpuE3ELNS1_3repE0EEENS1_47radix_sort_onesweep_sort_config_static_selectorELNS0_4arch9wavefront6targetE0EEEvSN_
		.amdhsa_group_segment_fixed_size 0
		.amdhsa_private_segment_fixed_size 0
		.amdhsa_kernarg_size 88
		.amdhsa_user_sgpr_count 6
		.amdhsa_user_sgpr_private_segment_buffer 1
		.amdhsa_user_sgpr_dispatch_ptr 0
		.amdhsa_user_sgpr_queue_ptr 0
		.amdhsa_user_sgpr_kernarg_segment_ptr 1
		.amdhsa_user_sgpr_dispatch_id 0
		.amdhsa_user_sgpr_flat_scratch_init 0
		.amdhsa_user_sgpr_private_segment_size 0
		.amdhsa_wavefront_size32 1
		.amdhsa_uses_dynamic_stack 0
		.amdhsa_system_sgpr_private_segment_wavefront_offset 0
		.amdhsa_system_sgpr_workgroup_id_x 1
		.amdhsa_system_sgpr_workgroup_id_y 0
		.amdhsa_system_sgpr_workgroup_id_z 0
		.amdhsa_system_sgpr_workgroup_info 0
		.amdhsa_system_vgpr_workitem_id 0
		.amdhsa_next_free_vgpr 1
		.amdhsa_next_free_sgpr 1
		.amdhsa_reserve_vcc 0
		.amdhsa_reserve_flat_scratch 0
		.amdhsa_float_round_mode_32 0
		.amdhsa_float_round_mode_16_64 0
		.amdhsa_float_denorm_mode_32 3
		.amdhsa_float_denorm_mode_16_64 3
		.amdhsa_dx10_clamp 1
		.amdhsa_ieee_mode 1
		.amdhsa_fp16_overflow 0
		.amdhsa_workgroup_processor_mode 1
		.amdhsa_memory_ordered 1
		.amdhsa_forward_progress 1
		.amdhsa_shared_vgpr_count 0
		.amdhsa_exception_fp_ieee_invalid_op 0
		.amdhsa_exception_fp_denorm_src 0
		.amdhsa_exception_fp_ieee_div_zero 0
		.amdhsa_exception_fp_ieee_overflow 0
		.amdhsa_exception_fp_ieee_underflow 0
		.amdhsa_exception_fp_ieee_inexact 0
		.amdhsa_exception_int_div_zero 0
	.end_amdhsa_kernel
	.section	.text._ZN7rocprim17ROCPRIM_400000_NS6detail17trampoline_kernelINS0_14default_configENS1_35radix_sort_onesweep_config_selectorIjN6thrust23THRUST_200600_302600_NS5tupleIffNS6_9null_typeES8_S8_S8_S8_S8_S8_S8_EEEEZZNS1_29radix_sort_onesweep_iterationIS3_Lb0ENS6_6detail15normal_iteratorINS6_10device_ptrIjEEEESG_NSD_INSE_IS9_EEEESI_jNS0_19identity_decomposerENS1_16block_id_wrapperIjLb1EEEEE10hipError_tT1_PNSt15iterator_traitsISN_E10value_typeET2_T3_PNSO_IST_E10value_typeET4_T5_PSY_SZ_PNS1_23onesweep_lookback_stateEbbT6_jjT7_P12ihipStream_tbENKUlT_T0_SN_SS_E_clISG_PjSI_PS9_EEDaS16_S17_SN_SS_EUlS16_E_NS1_11comp_targetILNS1_3genE9ELNS1_11target_archE1100ELNS1_3gpuE3ELNS1_3repE0EEENS1_47radix_sort_onesweep_sort_config_static_selectorELNS0_4arch9wavefront6targetE0EEEvSN_,"axG",@progbits,_ZN7rocprim17ROCPRIM_400000_NS6detail17trampoline_kernelINS0_14default_configENS1_35radix_sort_onesweep_config_selectorIjN6thrust23THRUST_200600_302600_NS5tupleIffNS6_9null_typeES8_S8_S8_S8_S8_S8_S8_EEEEZZNS1_29radix_sort_onesweep_iterationIS3_Lb0ENS6_6detail15normal_iteratorINS6_10device_ptrIjEEEESG_NSD_INSE_IS9_EEEESI_jNS0_19identity_decomposerENS1_16block_id_wrapperIjLb1EEEEE10hipError_tT1_PNSt15iterator_traitsISN_E10value_typeET2_T3_PNSO_IST_E10value_typeET4_T5_PSY_SZ_PNS1_23onesweep_lookback_stateEbbT6_jjT7_P12ihipStream_tbENKUlT_T0_SN_SS_E_clISG_PjSI_PS9_EEDaS16_S17_SN_SS_EUlS16_E_NS1_11comp_targetILNS1_3genE9ELNS1_11target_archE1100ELNS1_3gpuE3ELNS1_3repE0EEENS1_47radix_sort_onesweep_sort_config_static_selectorELNS0_4arch9wavefront6targetE0EEEvSN_,comdat
.Lfunc_end191:
	.size	_ZN7rocprim17ROCPRIM_400000_NS6detail17trampoline_kernelINS0_14default_configENS1_35radix_sort_onesweep_config_selectorIjN6thrust23THRUST_200600_302600_NS5tupleIffNS6_9null_typeES8_S8_S8_S8_S8_S8_S8_EEEEZZNS1_29radix_sort_onesweep_iterationIS3_Lb0ENS6_6detail15normal_iteratorINS6_10device_ptrIjEEEESG_NSD_INSE_IS9_EEEESI_jNS0_19identity_decomposerENS1_16block_id_wrapperIjLb1EEEEE10hipError_tT1_PNSt15iterator_traitsISN_E10value_typeET2_T3_PNSO_IST_E10value_typeET4_T5_PSY_SZ_PNS1_23onesweep_lookback_stateEbbT6_jjT7_P12ihipStream_tbENKUlT_T0_SN_SS_E_clISG_PjSI_PS9_EEDaS16_S17_SN_SS_EUlS16_E_NS1_11comp_targetILNS1_3genE9ELNS1_11target_archE1100ELNS1_3gpuE3ELNS1_3repE0EEENS1_47radix_sort_onesweep_sort_config_static_selectorELNS0_4arch9wavefront6targetE0EEEvSN_, .Lfunc_end191-_ZN7rocprim17ROCPRIM_400000_NS6detail17trampoline_kernelINS0_14default_configENS1_35radix_sort_onesweep_config_selectorIjN6thrust23THRUST_200600_302600_NS5tupleIffNS6_9null_typeES8_S8_S8_S8_S8_S8_S8_EEEEZZNS1_29radix_sort_onesweep_iterationIS3_Lb0ENS6_6detail15normal_iteratorINS6_10device_ptrIjEEEESG_NSD_INSE_IS9_EEEESI_jNS0_19identity_decomposerENS1_16block_id_wrapperIjLb1EEEEE10hipError_tT1_PNSt15iterator_traitsISN_E10value_typeET2_T3_PNSO_IST_E10value_typeET4_T5_PSY_SZ_PNS1_23onesweep_lookback_stateEbbT6_jjT7_P12ihipStream_tbENKUlT_T0_SN_SS_E_clISG_PjSI_PS9_EEDaS16_S17_SN_SS_EUlS16_E_NS1_11comp_targetILNS1_3genE9ELNS1_11target_archE1100ELNS1_3gpuE3ELNS1_3repE0EEENS1_47radix_sort_onesweep_sort_config_static_selectorELNS0_4arch9wavefront6targetE0EEEvSN_
                                        ; -- End function
	.set _ZN7rocprim17ROCPRIM_400000_NS6detail17trampoline_kernelINS0_14default_configENS1_35radix_sort_onesweep_config_selectorIjN6thrust23THRUST_200600_302600_NS5tupleIffNS6_9null_typeES8_S8_S8_S8_S8_S8_S8_EEEEZZNS1_29radix_sort_onesweep_iterationIS3_Lb0ENS6_6detail15normal_iteratorINS6_10device_ptrIjEEEESG_NSD_INSE_IS9_EEEESI_jNS0_19identity_decomposerENS1_16block_id_wrapperIjLb1EEEEE10hipError_tT1_PNSt15iterator_traitsISN_E10value_typeET2_T3_PNSO_IST_E10value_typeET4_T5_PSY_SZ_PNS1_23onesweep_lookback_stateEbbT6_jjT7_P12ihipStream_tbENKUlT_T0_SN_SS_E_clISG_PjSI_PS9_EEDaS16_S17_SN_SS_EUlS16_E_NS1_11comp_targetILNS1_3genE9ELNS1_11target_archE1100ELNS1_3gpuE3ELNS1_3repE0EEENS1_47radix_sort_onesweep_sort_config_static_selectorELNS0_4arch9wavefront6targetE0EEEvSN_.num_vgpr, 0
	.set _ZN7rocprim17ROCPRIM_400000_NS6detail17trampoline_kernelINS0_14default_configENS1_35radix_sort_onesweep_config_selectorIjN6thrust23THRUST_200600_302600_NS5tupleIffNS6_9null_typeES8_S8_S8_S8_S8_S8_S8_EEEEZZNS1_29radix_sort_onesweep_iterationIS3_Lb0ENS6_6detail15normal_iteratorINS6_10device_ptrIjEEEESG_NSD_INSE_IS9_EEEESI_jNS0_19identity_decomposerENS1_16block_id_wrapperIjLb1EEEEE10hipError_tT1_PNSt15iterator_traitsISN_E10value_typeET2_T3_PNSO_IST_E10value_typeET4_T5_PSY_SZ_PNS1_23onesweep_lookback_stateEbbT6_jjT7_P12ihipStream_tbENKUlT_T0_SN_SS_E_clISG_PjSI_PS9_EEDaS16_S17_SN_SS_EUlS16_E_NS1_11comp_targetILNS1_3genE9ELNS1_11target_archE1100ELNS1_3gpuE3ELNS1_3repE0EEENS1_47radix_sort_onesweep_sort_config_static_selectorELNS0_4arch9wavefront6targetE0EEEvSN_.num_agpr, 0
	.set _ZN7rocprim17ROCPRIM_400000_NS6detail17trampoline_kernelINS0_14default_configENS1_35radix_sort_onesweep_config_selectorIjN6thrust23THRUST_200600_302600_NS5tupleIffNS6_9null_typeES8_S8_S8_S8_S8_S8_S8_EEEEZZNS1_29radix_sort_onesweep_iterationIS3_Lb0ENS6_6detail15normal_iteratorINS6_10device_ptrIjEEEESG_NSD_INSE_IS9_EEEESI_jNS0_19identity_decomposerENS1_16block_id_wrapperIjLb1EEEEE10hipError_tT1_PNSt15iterator_traitsISN_E10value_typeET2_T3_PNSO_IST_E10value_typeET4_T5_PSY_SZ_PNS1_23onesweep_lookback_stateEbbT6_jjT7_P12ihipStream_tbENKUlT_T0_SN_SS_E_clISG_PjSI_PS9_EEDaS16_S17_SN_SS_EUlS16_E_NS1_11comp_targetILNS1_3genE9ELNS1_11target_archE1100ELNS1_3gpuE3ELNS1_3repE0EEENS1_47radix_sort_onesweep_sort_config_static_selectorELNS0_4arch9wavefront6targetE0EEEvSN_.numbered_sgpr, 0
	.set _ZN7rocprim17ROCPRIM_400000_NS6detail17trampoline_kernelINS0_14default_configENS1_35radix_sort_onesweep_config_selectorIjN6thrust23THRUST_200600_302600_NS5tupleIffNS6_9null_typeES8_S8_S8_S8_S8_S8_S8_EEEEZZNS1_29radix_sort_onesweep_iterationIS3_Lb0ENS6_6detail15normal_iteratorINS6_10device_ptrIjEEEESG_NSD_INSE_IS9_EEEESI_jNS0_19identity_decomposerENS1_16block_id_wrapperIjLb1EEEEE10hipError_tT1_PNSt15iterator_traitsISN_E10value_typeET2_T3_PNSO_IST_E10value_typeET4_T5_PSY_SZ_PNS1_23onesweep_lookback_stateEbbT6_jjT7_P12ihipStream_tbENKUlT_T0_SN_SS_E_clISG_PjSI_PS9_EEDaS16_S17_SN_SS_EUlS16_E_NS1_11comp_targetILNS1_3genE9ELNS1_11target_archE1100ELNS1_3gpuE3ELNS1_3repE0EEENS1_47radix_sort_onesweep_sort_config_static_selectorELNS0_4arch9wavefront6targetE0EEEvSN_.num_named_barrier, 0
	.set _ZN7rocprim17ROCPRIM_400000_NS6detail17trampoline_kernelINS0_14default_configENS1_35radix_sort_onesweep_config_selectorIjN6thrust23THRUST_200600_302600_NS5tupleIffNS6_9null_typeES8_S8_S8_S8_S8_S8_S8_EEEEZZNS1_29radix_sort_onesweep_iterationIS3_Lb0ENS6_6detail15normal_iteratorINS6_10device_ptrIjEEEESG_NSD_INSE_IS9_EEEESI_jNS0_19identity_decomposerENS1_16block_id_wrapperIjLb1EEEEE10hipError_tT1_PNSt15iterator_traitsISN_E10value_typeET2_T3_PNSO_IST_E10value_typeET4_T5_PSY_SZ_PNS1_23onesweep_lookback_stateEbbT6_jjT7_P12ihipStream_tbENKUlT_T0_SN_SS_E_clISG_PjSI_PS9_EEDaS16_S17_SN_SS_EUlS16_E_NS1_11comp_targetILNS1_3genE9ELNS1_11target_archE1100ELNS1_3gpuE3ELNS1_3repE0EEENS1_47radix_sort_onesweep_sort_config_static_selectorELNS0_4arch9wavefront6targetE0EEEvSN_.private_seg_size, 0
	.set _ZN7rocprim17ROCPRIM_400000_NS6detail17trampoline_kernelINS0_14default_configENS1_35radix_sort_onesweep_config_selectorIjN6thrust23THRUST_200600_302600_NS5tupleIffNS6_9null_typeES8_S8_S8_S8_S8_S8_S8_EEEEZZNS1_29radix_sort_onesweep_iterationIS3_Lb0ENS6_6detail15normal_iteratorINS6_10device_ptrIjEEEESG_NSD_INSE_IS9_EEEESI_jNS0_19identity_decomposerENS1_16block_id_wrapperIjLb1EEEEE10hipError_tT1_PNSt15iterator_traitsISN_E10value_typeET2_T3_PNSO_IST_E10value_typeET4_T5_PSY_SZ_PNS1_23onesweep_lookback_stateEbbT6_jjT7_P12ihipStream_tbENKUlT_T0_SN_SS_E_clISG_PjSI_PS9_EEDaS16_S17_SN_SS_EUlS16_E_NS1_11comp_targetILNS1_3genE9ELNS1_11target_archE1100ELNS1_3gpuE3ELNS1_3repE0EEENS1_47radix_sort_onesweep_sort_config_static_selectorELNS0_4arch9wavefront6targetE0EEEvSN_.uses_vcc, 0
	.set _ZN7rocprim17ROCPRIM_400000_NS6detail17trampoline_kernelINS0_14default_configENS1_35radix_sort_onesweep_config_selectorIjN6thrust23THRUST_200600_302600_NS5tupleIffNS6_9null_typeES8_S8_S8_S8_S8_S8_S8_EEEEZZNS1_29radix_sort_onesweep_iterationIS3_Lb0ENS6_6detail15normal_iteratorINS6_10device_ptrIjEEEESG_NSD_INSE_IS9_EEEESI_jNS0_19identity_decomposerENS1_16block_id_wrapperIjLb1EEEEE10hipError_tT1_PNSt15iterator_traitsISN_E10value_typeET2_T3_PNSO_IST_E10value_typeET4_T5_PSY_SZ_PNS1_23onesweep_lookback_stateEbbT6_jjT7_P12ihipStream_tbENKUlT_T0_SN_SS_E_clISG_PjSI_PS9_EEDaS16_S17_SN_SS_EUlS16_E_NS1_11comp_targetILNS1_3genE9ELNS1_11target_archE1100ELNS1_3gpuE3ELNS1_3repE0EEENS1_47radix_sort_onesweep_sort_config_static_selectorELNS0_4arch9wavefront6targetE0EEEvSN_.uses_flat_scratch, 0
	.set _ZN7rocprim17ROCPRIM_400000_NS6detail17trampoline_kernelINS0_14default_configENS1_35radix_sort_onesweep_config_selectorIjN6thrust23THRUST_200600_302600_NS5tupleIffNS6_9null_typeES8_S8_S8_S8_S8_S8_S8_EEEEZZNS1_29radix_sort_onesweep_iterationIS3_Lb0ENS6_6detail15normal_iteratorINS6_10device_ptrIjEEEESG_NSD_INSE_IS9_EEEESI_jNS0_19identity_decomposerENS1_16block_id_wrapperIjLb1EEEEE10hipError_tT1_PNSt15iterator_traitsISN_E10value_typeET2_T3_PNSO_IST_E10value_typeET4_T5_PSY_SZ_PNS1_23onesweep_lookback_stateEbbT6_jjT7_P12ihipStream_tbENKUlT_T0_SN_SS_E_clISG_PjSI_PS9_EEDaS16_S17_SN_SS_EUlS16_E_NS1_11comp_targetILNS1_3genE9ELNS1_11target_archE1100ELNS1_3gpuE3ELNS1_3repE0EEENS1_47radix_sort_onesweep_sort_config_static_selectorELNS0_4arch9wavefront6targetE0EEEvSN_.has_dyn_sized_stack, 0
	.set _ZN7rocprim17ROCPRIM_400000_NS6detail17trampoline_kernelINS0_14default_configENS1_35radix_sort_onesweep_config_selectorIjN6thrust23THRUST_200600_302600_NS5tupleIffNS6_9null_typeES8_S8_S8_S8_S8_S8_S8_EEEEZZNS1_29radix_sort_onesweep_iterationIS3_Lb0ENS6_6detail15normal_iteratorINS6_10device_ptrIjEEEESG_NSD_INSE_IS9_EEEESI_jNS0_19identity_decomposerENS1_16block_id_wrapperIjLb1EEEEE10hipError_tT1_PNSt15iterator_traitsISN_E10value_typeET2_T3_PNSO_IST_E10value_typeET4_T5_PSY_SZ_PNS1_23onesweep_lookback_stateEbbT6_jjT7_P12ihipStream_tbENKUlT_T0_SN_SS_E_clISG_PjSI_PS9_EEDaS16_S17_SN_SS_EUlS16_E_NS1_11comp_targetILNS1_3genE9ELNS1_11target_archE1100ELNS1_3gpuE3ELNS1_3repE0EEENS1_47radix_sort_onesweep_sort_config_static_selectorELNS0_4arch9wavefront6targetE0EEEvSN_.has_recursion, 0
	.set _ZN7rocprim17ROCPRIM_400000_NS6detail17trampoline_kernelINS0_14default_configENS1_35radix_sort_onesweep_config_selectorIjN6thrust23THRUST_200600_302600_NS5tupleIffNS6_9null_typeES8_S8_S8_S8_S8_S8_S8_EEEEZZNS1_29radix_sort_onesweep_iterationIS3_Lb0ENS6_6detail15normal_iteratorINS6_10device_ptrIjEEEESG_NSD_INSE_IS9_EEEESI_jNS0_19identity_decomposerENS1_16block_id_wrapperIjLb1EEEEE10hipError_tT1_PNSt15iterator_traitsISN_E10value_typeET2_T3_PNSO_IST_E10value_typeET4_T5_PSY_SZ_PNS1_23onesweep_lookback_stateEbbT6_jjT7_P12ihipStream_tbENKUlT_T0_SN_SS_E_clISG_PjSI_PS9_EEDaS16_S17_SN_SS_EUlS16_E_NS1_11comp_targetILNS1_3genE9ELNS1_11target_archE1100ELNS1_3gpuE3ELNS1_3repE0EEENS1_47radix_sort_onesweep_sort_config_static_selectorELNS0_4arch9wavefront6targetE0EEEvSN_.has_indirect_call, 0
	.section	.AMDGPU.csdata,"",@progbits
; Kernel info:
; codeLenInByte = 0
; TotalNumSgprs: 0
; NumVgprs: 0
; ScratchSize: 0
; MemoryBound: 0
; FloatMode: 240
; IeeeMode: 1
; LDSByteSize: 0 bytes/workgroup (compile time only)
; SGPRBlocks: 0
; VGPRBlocks: 0
; NumSGPRsForWavesPerEU: 1
; NumVGPRsForWavesPerEU: 1
; Occupancy: 16
; WaveLimiterHint : 0
; COMPUTE_PGM_RSRC2:SCRATCH_EN: 0
; COMPUTE_PGM_RSRC2:USER_SGPR: 6
; COMPUTE_PGM_RSRC2:TRAP_HANDLER: 0
; COMPUTE_PGM_RSRC2:TGID_X_EN: 1
; COMPUTE_PGM_RSRC2:TGID_Y_EN: 0
; COMPUTE_PGM_RSRC2:TGID_Z_EN: 0
; COMPUTE_PGM_RSRC2:TIDIG_COMP_CNT: 0
	.section	.text._ZN7rocprim17ROCPRIM_400000_NS6detail17trampoline_kernelINS0_14default_configENS1_35radix_sort_onesweep_config_selectorIjN6thrust23THRUST_200600_302600_NS5tupleIffNS6_9null_typeES8_S8_S8_S8_S8_S8_S8_EEEEZZNS1_29radix_sort_onesweep_iterationIS3_Lb0ENS6_6detail15normal_iteratorINS6_10device_ptrIjEEEESG_NSD_INSE_IS9_EEEESI_jNS0_19identity_decomposerENS1_16block_id_wrapperIjLb1EEEEE10hipError_tT1_PNSt15iterator_traitsISN_E10value_typeET2_T3_PNSO_IST_E10value_typeET4_T5_PSY_SZ_PNS1_23onesweep_lookback_stateEbbT6_jjT7_P12ihipStream_tbENKUlT_T0_SN_SS_E_clISG_PjSI_PS9_EEDaS16_S17_SN_SS_EUlS16_E_NS1_11comp_targetILNS1_3genE8ELNS1_11target_archE1030ELNS1_3gpuE2ELNS1_3repE0EEENS1_47radix_sort_onesweep_sort_config_static_selectorELNS0_4arch9wavefront6targetE0EEEvSN_,"axG",@progbits,_ZN7rocprim17ROCPRIM_400000_NS6detail17trampoline_kernelINS0_14default_configENS1_35radix_sort_onesweep_config_selectorIjN6thrust23THRUST_200600_302600_NS5tupleIffNS6_9null_typeES8_S8_S8_S8_S8_S8_S8_EEEEZZNS1_29radix_sort_onesweep_iterationIS3_Lb0ENS6_6detail15normal_iteratorINS6_10device_ptrIjEEEESG_NSD_INSE_IS9_EEEESI_jNS0_19identity_decomposerENS1_16block_id_wrapperIjLb1EEEEE10hipError_tT1_PNSt15iterator_traitsISN_E10value_typeET2_T3_PNSO_IST_E10value_typeET4_T5_PSY_SZ_PNS1_23onesweep_lookback_stateEbbT6_jjT7_P12ihipStream_tbENKUlT_T0_SN_SS_E_clISG_PjSI_PS9_EEDaS16_S17_SN_SS_EUlS16_E_NS1_11comp_targetILNS1_3genE8ELNS1_11target_archE1030ELNS1_3gpuE2ELNS1_3repE0EEENS1_47radix_sort_onesweep_sort_config_static_selectorELNS0_4arch9wavefront6targetE0EEEvSN_,comdat
	.protected	_ZN7rocprim17ROCPRIM_400000_NS6detail17trampoline_kernelINS0_14default_configENS1_35radix_sort_onesweep_config_selectorIjN6thrust23THRUST_200600_302600_NS5tupleIffNS6_9null_typeES8_S8_S8_S8_S8_S8_S8_EEEEZZNS1_29radix_sort_onesweep_iterationIS3_Lb0ENS6_6detail15normal_iteratorINS6_10device_ptrIjEEEESG_NSD_INSE_IS9_EEEESI_jNS0_19identity_decomposerENS1_16block_id_wrapperIjLb1EEEEE10hipError_tT1_PNSt15iterator_traitsISN_E10value_typeET2_T3_PNSO_IST_E10value_typeET4_T5_PSY_SZ_PNS1_23onesweep_lookback_stateEbbT6_jjT7_P12ihipStream_tbENKUlT_T0_SN_SS_E_clISG_PjSI_PS9_EEDaS16_S17_SN_SS_EUlS16_E_NS1_11comp_targetILNS1_3genE8ELNS1_11target_archE1030ELNS1_3gpuE2ELNS1_3repE0EEENS1_47radix_sort_onesweep_sort_config_static_selectorELNS0_4arch9wavefront6targetE0EEEvSN_ ; -- Begin function _ZN7rocprim17ROCPRIM_400000_NS6detail17trampoline_kernelINS0_14default_configENS1_35radix_sort_onesweep_config_selectorIjN6thrust23THRUST_200600_302600_NS5tupleIffNS6_9null_typeES8_S8_S8_S8_S8_S8_S8_EEEEZZNS1_29radix_sort_onesweep_iterationIS3_Lb0ENS6_6detail15normal_iteratorINS6_10device_ptrIjEEEESG_NSD_INSE_IS9_EEEESI_jNS0_19identity_decomposerENS1_16block_id_wrapperIjLb1EEEEE10hipError_tT1_PNSt15iterator_traitsISN_E10value_typeET2_T3_PNSO_IST_E10value_typeET4_T5_PSY_SZ_PNS1_23onesweep_lookback_stateEbbT6_jjT7_P12ihipStream_tbENKUlT_T0_SN_SS_E_clISG_PjSI_PS9_EEDaS16_S17_SN_SS_EUlS16_E_NS1_11comp_targetILNS1_3genE8ELNS1_11target_archE1030ELNS1_3gpuE2ELNS1_3repE0EEENS1_47radix_sort_onesweep_sort_config_static_selectorELNS0_4arch9wavefront6targetE0EEEvSN_
	.globl	_ZN7rocprim17ROCPRIM_400000_NS6detail17trampoline_kernelINS0_14default_configENS1_35radix_sort_onesweep_config_selectorIjN6thrust23THRUST_200600_302600_NS5tupleIffNS6_9null_typeES8_S8_S8_S8_S8_S8_S8_EEEEZZNS1_29radix_sort_onesweep_iterationIS3_Lb0ENS6_6detail15normal_iteratorINS6_10device_ptrIjEEEESG_NSD_INSE_IS9_EEEESI_jNS0_19identity_decomposerENS1_16block_id_wrapperIjLb1EEEEE10hipError_tT1_PNSt15iterator_traitsISN_E10value_typeET2_T3_PNSO_IST_E10value_typeET4_T5_PSY_SZ_PNS1_23onesweep_lookback_stateEbbT6_jjT7_P12ihipStream_tbENKUlT_T0_SN_SS_E_clISG_PjSI_PS9_EEDaS16_S17_SN_SS_EUlS16_E_NS1_11comp_targetILNS1_3genE8ELNS1_11target_archE1030ELNS1_3gpuE2ELNS1_3repE0EEENS1_47radix_sort_onesweep_sort_config_static_selectorELNS0_4arch9wavefront6targetE0EEEvSN_
	.p2align	8
	.type	_ZN7rocprim17ROCPRIM_400000_NS6detail17trampoline_kernelINS0_14default_configENS1_35radix_sort_onesweep_config_selectorIjN6thrust23THRUST_200600_302600_NS5tupleIffNS6_9null_typeES8_S8_S8_S8_S8_S8_S8_EEEEZZNS1_29radix_sort_onesweep_iterationIS3_Lb0ENS6_6detail15normal_iteratorINS6_10device_ptrIjEEEESG_NSD_INSE_IS9_EEEESI_jNS0_19identity_decomposerENS1_16block_id_wrapperIjLb1EEEEE10hipError_tT1_PNSt15iterator_traitsISN_E10value_typeET2_T3_PNSO_IST_E10value_typeET4_T5_PSY_SZ_PNS1_23onesweep_lookback_stateEbbT6_jjT7_P12ihipStream_tbENKUlT_T0_SN_SS_E_clISG_PjSI_PS9_EEDaS16_S17_SN_SS_EUlS16_E_NS1_11comp_targetILNS1_3genE8ELNS1_11target_archE1030ELNS1_3gpuE2ELNS1_3repE0EEENS1_47radix_sort_onesweep_sort_config_static_selectorELNS0_4arch9wavefront6targetE0EEEvSN_,@function
_ZN7rocprim17ROCPRIM_400000_NS6detail17trampoline_kernelINS0_14default_configENS1_35radix_sort_onesweep_config_selectorIjN6thrust23THRUST_200600_302600_NS5tupleIffNS6_9null_typeES8_S8_S8_S8_S8_S8_S8_EEEEZZNS1_29radix_sort_onesweep_iterationIS3_Lb0ENS6_6detail15normal_iteratorINS6_10device_ptrIjEEEESG_NSD_INSE_IS9_EEEESI_jNS0_19identity_decomposerENS1_16block_id_wrapperIjLb1EEEEE10hipError_tT1_PNSt15iterator_traitsISN_E10value_typeET2_T3_PNSO_IST_E10value_typeET4_T5_PSY_SZ_PNS1_23onesweep_lookback_stateEbbT6_jjT7_P12ihipStream_tbENKUlT_T0_SN_SS_E_clISG_PjSI_PS9_EEDaS16_S17_SN_SS_EUlS16_E_NS1_11comp_targetILNS1_3genE8ELNS1_11target_archE1030ELNS1_3gpuE2ELNS1_3repE0EEENS1_47radix_sort_onesweep_sort_config_static_selectorELNS0_4arch9wavefront6targetE0EEEvSN_: ; @_ZN7rocprim17ROCPRIM_400000_NS6detail17trampoline_kernelINS0_14default_configENS1_35radix_sort_onesweep_config_selectorIjN6thrust23THRUST_200600_302600_NS5tupleIffNS6_9null_typeES8_S8_S8_S8_S8_S8_S8_EEEEZZNS1_29radix_sort_onesweep_iterationIS3_Lb0ENS6_6detail15normal_iteratorINS6_10device_ptrIjEEEESG_NSD_INSE_IS9_EEEESI_jNS0_19identity_decomposerENS1_16block_id_wrapperIjLb1EEEEE10hipError_tT1_PNSt15iterator_traitsISN_E10value_typeET2_T3_PNSO_IST_E10value_typeET4_T5_PSY_SZ_PNS1_23onesweep_lookback_stateEbbT6_jjT7_P12ihipStream_tbENKUlT_T0_SN_SS_E_clISG_PjSI_PS9_EEDaS16_S17_SN_SS_EUlS16_E_NS1_11comp_targetILNS1_3genE8ELNS1_11target_archE1030ELNS1_3gpuE2ELNS1_3repE0EEENS1_47radix_sort_onesweep_sort_config_static_selectorELNS0_4arch9wavefront6targetE0EEEvSN_
; %bb.0:
	s_clause 0x2
	s_load_dwordx4 s[24:27], s[4:5], 0x28
	s_load_dwordx2 s[14:15], s[4:5], 0x38
	s_load_dwordx4 s[28:31], s[4:5], 0x44
	v_cmp_eq_u32_e64 s0, 0, v0
	s_and_saveexec_b32 s1, s0
	s_cbranch_execz .LBB192_4
; %bb.1:
	s_mov_b32 s3, exec_lo
	s_mov_b32 s2, exec_lo
	v_mbcnt_lo_u32_b32 v3, s3, 0
                                        ; implicit-def: $vgpr4
	v_cmpx_eq_u32_e32 0, v3
	s_cbranch_execz .LBB192_3
; %bb.2:
	s_load_dwordx2 s[8:9], s[4:5], 0x50
	s_bcnt1_i32_b32 s3, s3
	v_mov_b32_e32 v4, 0
	v_mov_b32_e32 v5, s3
	s_waitcnt lgkmcnt(0)
	global_atomic_add v4, v4, v5, s[8:9] glc
.LBB192_3:
	s_or_b32 exec_lo, exec_lo, s2
	s_waitcnt vmcnt(0)
	v_readfirstlane_b32 s2, v4
	v_mov_b32_e32 v4, 0
	v_add_nc_u32_e32 v3, s2, v3
	ds_write_b32 v4, v3 offset:36992
.LBB192_4:
	s_or_b32 exec_lo, exec_lo, s1
	v_mov_b32_e32 v3, 0
	s_clause 0x1
	s_load_dwordx8 s[16:23], s[4:5], 0x0
	s_load_dword s1, s[4:5], 0x20
	s_waitcnt lgkmcnt(0)
	s_barrier
	buffer_gl0_inv
	ds_read_b32 v3, v3 offset:36992
	v_mbcnt_lo_u32_b32 v18, -1, 0
	v_lshlrev_b32_e32 v17, 2, v0
	s_mov_b32 s2, -1
	s_waitcnt lgkmcnt(0)
	s_barrier
	buffer_gl0_inv
	v_cmp_le_u32_e32 vcc_lo, s30, v3
	v_readfirstlane_b32 s33, v3
	s_cbranch_vccz .LBB192_68
; %bb.5:
	s_lshl_b32 s2, s30, 12
	s_lshl_b32 s30, s33, 12
	s_mov_b32 s31, 0
	v_and_b32_e32 v11, 0xf80, v17
	v_lshlrev_b32_e32 v3, 2, v18
	s_sub_i32 s35, s1, s2
	s_lshl_b64 s[2:3], s[30:31], 2
	v_mov_b32_e32 v12, -1
	s_add_u32 s1, s16, s2
	s_addc_u32 s2, s17, s3
	v_lshlrev_b32_e32 v4, 2, v11
	v_add_co_u32 v3, s1, s1, v3
	v_add_co_ci_u32_e64 v6, null, s2, 0, s1
	v_or_b32_e32 v5, v18, v11
	v_add_co_u32 v3, vcc_lo, v3, v4
	v_add_co_ci_u32_e64 v4, null, 0, v6, vcc_lo
	v_cmp_gt_u32_e64 s3, s35, v5
	v_mov_b32_e32 v13, -1
	s_and_saveexec_b32 s1, s3
	s_cbranch_execz .LBB192_7
; %bb.6:
	global_load_dword v13, v[3:4], off
.LBB192_7:
	s_or_b32 exec_lo, exec_lo, s1
	v_or_b32_e32 v6, 32, v5
	v_cmp_gt_u32_e64 s2, s35, v6
	s_and_saveexec_b32 s1, s2
	s_cbranch_execz .LBB192_9
; %bb.8:
	global_load_dword v12, v[3:4], off offset:128
.LBB192_9:
	s_or_b32 exec_lo, exec_lo, s1
	v_or_b32_e32 v6, 64, v5
	v_mov_b32_e32 v14, -1
	v_mov_b32_e32 v15, -1
	v_cmp_gt_u32_e64 s1, s35, v6
	s_and_saveexec_b32 s7, s1
	s_cbranch_execz .LBB192_11
; %bb.10:
	global_load_dword v15, v[3:4], off offset:256
.LBB192_11:
	s_or_b32 exec_lo, exec_lo, s7
	v_or_b32_e32 v5, 0x60, v5
	v_cmp_gt_u32_e32 vcc_lo, s35, v5
	s_and_saveexec_b32 s7, vcc_lo
	s_cbranch_execz .LBB192_13
; %bb.12:
	global_load_dword v14, v[3:4], off offset:384
.LBB192_13:
	s_or_b32 exec_lo, exec_lo, s7
	s_clause 0x1
	s_load_dword s7, s[4:5], 0x64
	s_load_dword s34, s[4:5], 0x58
	s_add_u32 s8, s4, 0x58
	s_addc_u32 s9, s5, 0
	v_mov_b32_e32 v5, 0
	s_waitcnt vmcnt(0)
	v_lshrrev_b32_e32 v4, s28, v13
	s_waitcnt lgkmcnt(0)
	s_lshr_b32 s10, s7, 16
	s_cmp_lt_u32 s6, s34
	s_cselect_b32 s7, 12, 18
	s_add_u32 s8, s8, s7
	s_addc_u32 s9, s9, 0
	s_lshl_b32 s7, -1, s29
	global_load_ushort v3, v5, s[8:9]
	s_not_b32 s36, s7
	v_and_b32_e32 v6, s36, v4
	v_and_b32_e32 v4, 1, v6
	v_lshlrev_b32_e32 v7, 30, v6
	v_lshlrev_b32_e32 v8, 29, v6
	;; [unrolled: 1-line block ×4, first 2 shown]
	v_add_co_u32 v4, s7, v4, -1
	v_cndmask_b32_e64 v9, 0, 1, s7
	v_not_b32_e32 v20, v7
	v_cmp_gt_i32_e64 s8, 0, v7
	v_not_b32_e32 v7, v8
	v_lshlrev_b32_e32 v19, 26, v6
	v_cmp_ne_u32_e64 s7, 0, v9
	v_ashrrev_i32_e32 v20, 31, v20
	v_lshlrev_b32_e32 v9, 25, v6
	v_ashrrev_i32_e32 v7, 31, v7
	v_xor_b32_e32 v4, s7, v4
	v_cmp_gt_i32_e64 s7, 0, v8
	v_not_b32_e32 v8, v10
	v_xor_b32_e32 v20, s8, v20
	v_cmp_gt_i32_e64 s8, 0, v10
	v_and_b32_e32 v4, exec_lo, v4
	v_not_b32_e32 v10, v16
	v_ashrrev_i32_e32 v8, 31, v8
	v_xor_b32_e32 v7, s7, v7
	v_cmp_gt_i32_e64 s7, 0, v16
	v_and_b32_e32 v4, v4, v20
	v_not_b32_e32 v16, v19
	v_ashrrev_i32_e32 v10, 31, v10
	v_xor_b32_e32 v8, s8, v8
	v_cmp_gt_i32_e64 s8, 0, v19
	v_and_b32_e32 v4, v4, v7
	;; [unrolled: 5-line block ×3, first 2 shown]
	v_lshlrev_b32_e32 v8, 24, v6
	v_ashrrev_i32_e32 v7, 31, v7
	v_xor_b32_e32 v9, s8, v16
	v_mul_lo_u32 v6, 0x84, v6
	v_and_b32_e32 v4, v4, v10
	v_not_b32_e32 v10, v8
	v_xor_b32_e32 v7, s7, v7
	v_cmp_gt_i32_e64 s7, 0, v8
	v_mul_u32_u24_e32 v19, 36, v0
	v_and_b32_e32 v4, v4, v9
	v_mad_u32_u24 v9, v2, s10, v1
	v_ashrrev_i32_e32 v8, 31, v10
	ds_write2_b32 v19, v5, v5 offset0:32 offset1:33
	v_and_b32_e32 v7, v4, v7
	ds_write2_b32 v19, v5, v5 offset0:34 offset1:35
	ds_write2_b32 v19, v5, v5 offset0:36 offset1:37
	;; [unrolled: 1-line block ×3, first 2 shown]
	ds_write_b32 v19, v5 offset:160
	s_waitcnt vmcnt(0) lgkmcnt(0)
	s_barrier
	buffer_gl0_inv
	; wave barrier
	v_mad_u64_u32 v[3:4], null, v9, v3, v[0:1]
	v_xor_b32_e32 v4, s7, v8
	v_and_b32_e32 v4, v7, v4
	v_lshrrev_b32_e32 v3, 3, v3
	v_mbcnt_lo_u32_b32 v16, v4, 0
	v_and_b32_e32 v3, 0x1ffffffc, v3
	v_cmp_ne_u32_e64 s8, 0, v4
	v_cmp_eq_u32_e64 s7, 0, v16
	v_add_nc_u32_e32 v20, v3, v6
	s_and_b32 s8, s8, s7
	s_and_saveexec_b32 s7, s8
; %bb.14:
	v_bcnt_u32_b32 v4, v4, 0
	ds_write_b32 v20, v4 offset:128
; %bb.15:
	s_or_b32 exec_lo, exec_lo, s7
	v_lshrrev_b32_e32 v4, s28, v12
	; wave barrier
	v_and_b32_e32 v4, s36, v4
	v_and_b32_e32 v6, 1, v4
	v_lshlrev_b32_e32 v7, 30, v4
	v_lshlrev_b32_e32 v8, 29, v4
	;; [unrolled: 1-line block ×4, first 2 shown]
	v_add_co_u32 v6, s7, v6, -1
	v_cndmask_b32_e64 v10, 0, 1, s7
	v_not_b32_e32 v24, v7
	v_cmp_gt_i32_e64 s8, 0, v7
	v_not_b32_e32 v7, v8
	v_lshlrev_b32_e32 v22, 26, v4
	v_cmp_ne_u32_e64 s7, 0, v10
	v_ashrrev_i32_e32 v10, 31, v24
	v_lshlrev_b32_e32 v23, 25, v4
	v_ashrrev_i32_e32 v7, 31, v7
	v_mul_lo_u32 v5, 0x84, v4
	v_xor_b32_e32 v6, s7, v6
	v_cmp_gt_i32_e64 s7, 0, v8
	v_not_b32_e32 v8, v9
	v_xor_b32_e32 v10, s8, v10
	v_cmp_gt_i32_e64 s8, 0, v9
	v_and_b32_e32 v6, exec_lo, v6
	v_not_b32_e32 v9, v21
	v_ashrrev_i32_e32 v8, 31, v8
	v_xor_b32_e32 v7, s7, v7
	v_cmp_gt_i32_e64 s7, 0, v21
	v_and_b32_e32 v6, v6, v10
	v_not_b32_e32 v10, v22
	v_ashrrev_i32_e32 v9, 31, v9
	v_xor_b32_e32 v8, s8, v8
	v_lshlrev_b32_e32 v4, 24, v4
	v_and_b32_e32 v6, v6, v7
	v_cmp_gt_i32_e64 s8, 0, v22
	v_not_b32_e32 v7, v23
	v_ashrrev_i32_e32 v10, 31, v10
	v_xor_b32_e32 v9, s7, v9
	v_and_b32_e32 v6, v6, v8
	v_cmp_gt_i32_e64 s7, 0, v23
	v_not_b32_e32 v8, v4
	v_ashrrev_i32_e32 v7, 31, v7
	v_xor_b32_e32 v10, s8, v10
	v_and_b32_e32 v6, v6, v9
	v_cmp_gt_i32_e64 s8, 0, v4
	v_ashrrev_i32_e32 v4, 31, v8
	v_xor_b32_e32 v7, s7, v7
	v_add_nc_u32_e32 v23, v3, v5
	v_and_b32_e32 v6, v6, v10
	v_xor_b32_e32 v4, s8, v4
	ds_read_b32 v21, v23 offset:128
	v_and_b32_e32 v5, v6, v7
	; wave barrier
	v_and_b32_e32 v4, v5, v4
	v_mbcnt_lo_u32_b32 v22, v4, 0
	v_cmp_ne_u32_e64 s8, 0, v4
	v_cmp_eq_u32_e64 s7, 0, v22
	s_and_b32 s8, s8, s7
	s_and_saveexec_b32 s7, s8
	s_cbranch_execz .LBB192_17
; %bb.16:
	s_waitcnt lgkmcnt(0)
	v_bcnt_u32_b32 v4, v4, v21
	ds_write_b32 v23, v4 offset:128
.LBB192_17:
	s_or_b32 exec_lo, exec_lo, s7
	v_lshrrev_b32_e32 v4, s28, v15
	; wave barrier
	v_and_b32_e32 v4, s36, v4
	v_and_b32_e32 v6, 1, v4
	v_lshlrev_b32_e32 v7, 30, v4
	v_lshlrev_b32_e32 v8, 29, v4
	;; [unrolled: 1-line block ×4, first 2 shown]
	v_add_co_u32 v6, s7, v6, -1
	v_cndmask_b32_e64 v10, 0, 1, s7
	v_not_b32_e32 v27, v7
	v_cmp_gt_i32_e64 s8, 0, v7
	v_not_b32_e32 v7, v8
	v_lshlrev_b32_e32 v25, 26, v4
	v_cmp_ne_u32_e64 s7, 0, v10
	v_ashrrev_i32_e32 v10, 31, v27
	v_lshlrev_b32_e32 v26, 25, v4
	v_ashrrev_i32_e32 v7, 31, v7
	v_mul_lo_u32 v5, 0x84, v4
	v_xor_b32_e32 v6, s7, v6
	v_cmp_gt_i32_e64 s7, 0, v8
	v_not_b32_e32 v8, v9
	v_xor_b32_e32 v10, s8, v10
	v_cmp_gt_i32_e64 s8, 0, v9
	v_and_b32_e32 v6, exec_lo, v6
	v_not_b32_e32 v9, v24
	v_ashrrev_i32_e32 v8, 31, v8
	v_xor_b32_e32 v7, s7, v7
	v_cmp_gt_i32_e64 s7, 0, v24
	v_and_b32_e32 v6, v6, v10
	v_not_b32_e32 v10, v25
	v_ashrrev_i32_e32 v9, 31, v9
	v_xor_b32_e32 v8, s8, v8
	v_lshlrev_b32_e32 v4, 24, v4
	v_and_b32_e32 v6, v6, v7
	v_cmp_gt_i32_e64 s8, 0, v25
	v_not_b32_e32 v7, v26
	v_ashrrev_i32_e32 v10, 31, v10
	v_xor_b32_e32 v9, s7, v9
	v_and_b32_e32 v6, v6, v8
	v_cmp_gt_i32_e64 s7, 0, v26
	v_not_b32_e32 v8, v4
	v_ashrrev_i32_e32 v7, 31, v7
	v_xor_b32_e32 v10, s8, v10
	v_and_b32_e32 v6, v6, v9
	v_cmp_gt_i32_e64 s8, 0, v4
	v_ashrrev_i32_e32 v4, 31, v8
	v_xor_b32_e32 v7, s7, v7
	v_add_nc_u32_e32 v24, v3, v5
	v_and_b32_e32 v6, v6, v10
	v_xor_b32_e32 v4, s8, v4
	ds_read_b32 v25, v24 offset:128
	v_and_b32_e32 v5, v6, v7
	; wave barrier
	v_and_b32_e32 v4, v5, v4
	v_mbcnt_lo_u32_b32 v26, v4, 0
	v_cmp_ne_u32_e64 s8, 0, v4
	v_cmp_eq_u32_e64 s7, 0, v26
	s_and_b32 s8, s8, s7
	s_and_saveexec_b32 s7, s8
	s_cbranch_execz .LBB192_19
; %bb.18:
	s_waitcnt lgkmcnt(0)
	v_bcnt_u32_b32 v4, v4, v25
	ds_write_b32 v24, v4 offset:128
.LBB192_19:
	s_or_b32 exec_lo, exec_lo, s7
	v_lshrrev_b32_e32 v4, s28, v14
	; wave barrier
	v_and_b32_e32 v4, s36, v4
	v_and_b32_e32 v6, 1, v4
	v_lshlrev_b32_e32 v7, 30, v4
	v_lshlrev_b32_e32 v8, 29, v4
	v_lshlrev_b32_e32 v9, 28, v4
	v_lshlrev_b32_e32 v27, 27, v4
	v_add_co_u32 v6, s7, v6, -1
	v_cndmask_b32_e64 v10, 0, 1, s7
	v_not_b32_e32 v30, v7
	v_cmp_gt_i32_e64 s8, 0, v7
	v_not_b32_e32 v7, v8
	v_lshlrev_b32_e32 v28, 26, v4
	v_cmp_ne_u32_e64 s7, 0, v10
	v_ashrrev_i32_e32 v10, 31, v30
	v_lshlrev_b32_e32 v29, 25, v4
	v_ashrrev_i32_e32 v7, 31, v7
	v_mul_lo_u32 v5, 0x84, v4
	v_xor_b32_e32 v6, s7, v6
	v_cmp_gt_i32_e64 s7, 0, v8
	v_not_b32_e32 v8, v9
	v_xor_b32_e32 v10, s8, v10
	v_cmp_gt_i32_e64 s8, 0, v9
	v_and_b32_e32 v6, exec_lo, v6
	v_not_b32_e32 v9, v27
	v_ashrrev_i32_e32 v8, 31, v8
	v_xor_b32_e32 v7, s7, v7
	v_cmp_gt_i32_e64 s7, 0, v27
	v_and_b32_e32 v6, v6, v10
	v_not_b32_e32 v10, v28
	v_ashrrev_i32_e32 v9, 31, v9
	v_xor_b32_e32 v8, s8, v8
	v_lshlrev_b32_e32 v4, 24, v4
	v_and_b32_e32 v6, v6, v7
	v_cmp_gt_i32_e64 s8, 0, v28
	v_not_b32_e32 v7, v29
	v_ashrrev_i32_e32 v10, 31, v10
	v_xor_b32_e32 v9, s7, v9
	v_and_b32_e32 v6, v6, v8
	v_cmp_gt_i32_e64 s7, 0, v29
	v_not_b32_e32 v8, v4
	v_ashrrev_i32_e32 v7, 31, v7
	v_xor_b32_e32 v10, s8, v10
	v_and_b32_e32 v6, v6, v9
	v_cmp_gt_i32_e64 s8, 0, v4
	v_ashrrev_i32_e32 v4, 31, v8
	v_xor_b32_e32 v7, s7, v7
	v_add_nc_u32_e32 v29, v3, v5
	v_and_b32_e32 v6, v6, v10
	v_xor_b32_e32 v3, s8, v4
	ds_read_b32 v27, v29 offset:128
	v_and_b32_e32 v4, v6, v7
	; wave barrier
	v_and_b32_e32 v3, v4, v3
	v_mbcnt_lo_u32_b32 v28, v3, 0
	v_cmp_ne_u32_e64 s8, 0, v3
	v_cmp_eq_u32_e64 s7, 0, v28
	s_and_b32 s8, s8, s7
	s_and_saveexec_b32 s7, s8
	s_cbranch_execz .LBB192_21
; %bb.20:
	s_waitcnt lgkmcnt(0)
	v_bcnt_u32_b32 v3, v3, v27
	ds_write_b32 v29, v3 offset:128
.LBB192_21:
	s_or_b32 exec_lo, exec_lo, s7
	; wave barrier
	s_waitcnt lgkmcnt(0)
	s_barrier
	buffer_gl0_inv
	ds_read2_b32 v[9:10], v19 offset0:32 offset1:33
	ds_read2_b32 v[7:8], v19 offset0:34 offset1:35
	;; [unrolled: 1-line block ×4, first 2 shown]
	ds_read_b32 v30, v19 offset:160
	v_and_b32_e32 v33, 16, v18
	v_and_b32_e32 v34, 31, v0
	s_mov_b32 s13, exec_lo
	v_cmp_eq_u32_e64 s11, 0, v33
	s_waitcnt lgkmcnt(3)
	v_add3_u32 v31, v10, v9, v7
	s_waitcnt lgkmcnt(2)
	v_add3_u32 v31, v31, v8, v5
	;; [unrolled: 2-line block ×4, first 2 shown]
	v_and_b32_e32 v31, 15, v18
	v_mov_b32_dpp v32, v30 row_shr:1 row_mask:0xf bank_mask:0xf
	v_cmp_eq_u32_e64 s7, 0, v31
	v_cmp_lt_u32_e64 s8, 1, v31
	v_cmp_lt_u32_e64 s9, 3, v31
	v_cmp_lt_u32_e64 s10, 7, v31
	v_cndmask_b32_e64 v32, v32, 0, s7
	v_add_nc_u32_e32 v30, v32, v30
	v_mov_b32_dpp v32, v30 row_shr:2 row_mask:0xf bank_mask:0xf
	v_cndmask_b32_e64 v32, 0, v32, s8
	v_add_nc_u32_e32 v30, v30, v32
	v_mov_b32_dpp v32, v30 row_shr:4 row_mask:0xf bank_mask:0xf
	;; [unrolled: 3-line block ×3, first 2 shown]
	v_cndmask_b32_e64 v31, 0, v32, s10
	v_bfe_i32 v32, v18, 4, 1
	v_add_nc_u32_e32 v30, v30, v31
	ds_swizzle_b32 v31, v30 offset:swizzle(BROADCAST,32,15)
	s_waitcnt lgkmcnt(0)
	v_and_b32_e32 v32, v32, v31
	v_lshrrev_b32_e32 v31, 5, v0
	v_add_nc_u32_e32 v30, v30, v32
	v_cmpx_eq_u32_e32 31, v34
; %bb.22:
	v_lshlrev_b32_e32 v32, 2, v31
	ds_write_b32 v32, v30
; %bb.23:
	s_or_b32 exec_lo, exec_lo, s13
	v_cmp_lt_u32_e64 s12, 31, v0
	s_mov_b32 s37, exec_lo
	s_waitcnt lgkmcnt(0)
	s_barrier
	buffer_gl0_inv
	v_cmpx_gt_u32_e32 32, v0
	s_cbranch_execz .LBB192_25
; %bb.24:
	ds_read_b32 v32, v17
	s_waitcnt lgkmcnt(0)
	v_mov_b32_dpp v33, v32 row_shr:1 row_mask:0xf bank_mask:0xf
	v_cndmask_b32_e64 v33, v33, 0, s7
	v_add_nc_u32_e32 v32, v33, v32
	v_mov_b32_dpp v33, v32 row_shr:2 row_mask:0xf bank_mask:0xf
	v_cndmask_b32_e64 v33, 0, v33, s8
	v_add_nc_u32_e32 v32, v32, v33
	;; [unrolled: 3-line block ×4, first 2 shown]
	ds_swizzle_b32 v33, v32 offset:swizzle(BROADCAST,32,15)
	s_waitcnt lgkmcnt(0)
	v_cndmask_b32_e64 v33, v33, 0, s11
	v_add_nc_u32_e32 v32, v32, v33
	ds_write_b32 v17, v32
.LBB192_25:
	s_or_b32 exec_lo, exec_lo, s37
	v_mov_b32_e32 v32, 0
	s_waitcnt lgkmcnt(0)
	s_barrier
	buffer_gl0_inv
	s_and_saveexec_b32 s7, s12
; %bb.26:
	v_lshl_add_u32 v31, v31, 2, -4
	ds_read_b32 v32, v31
; %bb.27:
	s_or_b32 exec_lo, exec_lo, s7
	v_sub_co_u32 v31, s7, v18, 1
	s_waitcnt lgkmcnt(0)
	v_add_nc_u32_e32 v30, v32, v30
	v_cmp_gt_i32_e64 s8, 0, v31
	v_cndmask_b32_e64 v31, v31, v18, s8
	v_cmp_gt_u32_e64 s8, 0x100, v0
	v_lshlrev_b32_e32 v31, 2, v31
	ds_bpermute_b32 v30, v31, v30
	s_waitcnt lgkmcnt(0)
	v_cndmask_b32_e64 v30, v30, v32, s7
	v_cmp_lt_u32_e64 s7, 0xff, v0
	v_cndmask_b32_e64 v30, v30, 0, s0
	v_add_nc_u32_e32 v9, v30, v9
	v_add_nc_u32_e32 v10, v9, v10
	;; [unrolled: 1-line block ×8, first 2 shown]
	ds_write2_b32 v19, v30, v9 offset0:32 offset1:33
	ds_write2_b32 v19, v10, v7 offset0:34 offset1:35
	;; [unrolled: 1-line block ×4, first 2 shown]
	ds_write_b32 v19, v4 offset:160
	s_waitcnt lgkmcnt(0)
	s_barrier
	buffer_gl0_inv
	ds_read_b32 v3, v20 offset:128
	ds_read_b32 v4, v23 offset:128
	;; [unrolled: 1-line block ×4, first 2 shown]
                                        ; implicit-def: $vgpr19
                                        ; implicit-def: $vgpr20
	s_and_saveexec_b32 s10, s8
	s_cbranch_execz .LBB192_31
; %bb.28:
	v_mul_u32_u24_e32 v7, 0x84, v0
	v_add_nc_u32_e32 v8, 1, v0
	s_mov_b32 s11, exec_lo
	ds_read_b32 v19, v7 offset:128
	v_mov_b32_e32 v7, 0x1000
	v_cmpx_ne_u32_e32 0x100, v8
; %bb.29:
	v_mul_u32_u24_e32 v7, 0x84, v8
	ds_read_b32 v7, v7 offset:128
; %bb.30:
	s_or_b32 exec_lo, exec_lo, s11
	s_waitcnt lgkmcnt(0)
	v_sub_nc_u32_e32 v20, v7, v19
.LBB192_31:
	s_or_b32 exec_lo, exec_lo, s10
	s_waitcnt lgkmcnt(3)
	v_add_nc_u32_e32 v24, v3, v16
	s_waitcnt lgkmcnt(2)
	v_add3_u32 v23, v22, v21, v4
	s_waitcnt lgkmcnt(1)
	v_add3_u32 v22, v26, v25, v5
	;; [unrolled: 2-line block ×3, first 2 shown]
	v_mov_b32_e32 v4, 0
	v_lshlrev_b32_e32 v3, 2, v24
	v_lshlrev_b32_e32 v5, 2, v23
	;; [unrolled: 1-line block ×4, first 2 shown]
	s_barrier
	buffer_gl0_inv
	ds_write_b32 v3, v13 offset:1024
	ds_write_b32 v5, v12 offset:1024
	;; [unrolled: 1-line block ×4, first 2 shown]
	s_and_saveexec_b32 s9, s8
	s_cbranch_execz .LBB192_41
; %bb.32:
	v_lshl_add_u32 v3, s33, 8, v0
	v_mov_b32_e32 v9, 0
	s_mov_b32 s10, 0
	s_mov_b32 s11, s33
	v_lshlrev_b64 v[5:6], 2, v[3:4]
	v_or_b32_e32 v3, 2.0, v20
	v_add_co_u32 v5, s8, s14, v5
	v_add_co_ci_u32_e64 v6, null, s15, v6, s8
                                        ; implicit-def: $sgpr8
	global_store_dword v[5:6], v3, off
	s_branch .LBB192_35
	.p2align	6
.LBB192_33:                             ;   in Loop: Header=BB192_35 Depth=1
	s_or_b32 exec_lo, exec_lo, s13
.LBB192_34:                             ;   in Loop: Header=BB192_35 Depth=1
	s_or_b32 exec_lo, exec_lo, s12
	v_and_b32_e32 v7, 0x3fffffff, v3
	v_cmp_gt_i32_e64 s8, -2.0, v3
	v_add_nc_u32_e32 v9, v7, v9
	s_and_b32 s12, exec_lo, s8
	s_or_b32 s10, s12, s10
	s_andn2_b32 exec_lo, exec_lo, s10
	s_cbranch_execz .LBB192_40
.LBB192_35:                             ; =>This Loop Header: Depth=1
                                        ;     Child Loop BB192_38 Depth 2
	s_or_b32 s8, s8, exec_lo
	s_cmp_eq_u32 s11, 0
	s_cbranch_scc1 .LBB192_39
; %bb.36:                               ;   in Loop: Header=BB192_35 Depth=1
	s_add_i32 s11, s11, -1
	s_mov_b32 s12, exec_lo
	v_lshl_or_b32 v3, s11, 8, v0
	v_lshlrev_b64 v[7:8], 2, v[3:4]
	v_add_co_u32 v7, s8, s14, v7
	v_add_co_ci_u32_e64 v8, null, s15, v8, s8
	global_load_dword v3, v[7:8], off glc dlc
	s_waitcnt vmcnt(0)
	v_cmpx_gt_u32_e32 2.0, v3
	s_cbranch_execz .LBB192_34
; %bb.37:                               ;   in Loop: Header=BB192_35 Depth=1
	s_mov_b32 s13, 0
.LBB192_38:                             ;   Parent Loop BB192_35 Depth=1
                                        ; =>  This Inner Loop Header: Depth=2
	global_load_dword v3, v[7:8], off glc dlc
	s_waitcnt vmcnt(0)
	v_cmp_lt_u32_e64 s8, 0x3fffffff, v3
	s_or_b32 s13, s8, s13
	s_andn2_b32 exec_lo, exec_lo, s13
	s_cbranch_execnz .LBB192_38
	s_branch .LBB192_33
.LBB192_39:                             ;   in Loop: Header=BB192_35 Depth=1
                                        ; implicit-def: $sgpr11
	s_and_b32 s12, exec_lo, s8
	s_or_b32 s10, s12, s10
	s_andn2_b32 exec_lo, exec_lo, s10
	s_cbranch_execnz .LBB192_35
.LBB192_40:
	s_or_b32 exec_lo, exec_lo, s10
	v_add_nc_u32_e32 v3, v9, v20
	v_sub_nc_u32_e32 v4, v9, v19
	v_or_b32_e32 v3, 0x80000000, v3
	global_store_dword v[5:6], v3, off
	global_load_dword v3, v17, s[24:25]
	s_waitcnt vmcnt(0)
	v_add_nc_u32_e32 v3, v4, v3
	ds_write_b32 v17, v3
.LBB192_41:
	s_or_b32 exec_lo, exec_lo, s9
	v_mov_b32_e32 v3, 0
	v_cmp_gt_u32_e64 s8, s35, v0
	s_waitcnt lgkmcnt(0)
	s_waitcnt_vscnt null, 0x0
	s_barrier
	buffer_gl0_inv
	v_mov_b32_e32 v4, v3
	v_mov_b32_e32 v5, v3
	;; [unrolled: 1-line block ×3, first 2 shown]
	s_and_saveexec_b32 s10, s8
	s_cbranch_execz .LBB192_43
; %bb.42:
	ds_read_b32 v10, v17 offset:1024
	v_mov_b32_e32 v6, v3
	v_mov_b32_e32 v7, v3
	s_waitcnt lgkmcnt(0)
	v_lshrrev_b32_e32 v4, s28, v10
	v_and_b32_e32 v4, s36, v4
	v_lshlrev_b32_e32 v5, 2, v4
	ds_read_b32 v5, v5
	s_waitcnt lgkmcnt(0)
	v_add_nc_u32_e32 v5, v5, v0
	v_lshlrev_b64 v[8:9], 2, v[5:6]
	v_mov_b32_e32 v5, v3
	v_mov_b32_e32 v3, v4
	;; [unrolled: 1-line block ×5, first 2 shown]
	v_add_co_u32 v8, s9, s18, v8
	v_add_co_ci_u32_e64 v9, null, s19, v9, s9
	global_store_dword v[8:9], v10, off
.LBB192_43:
	s_or_b32 exec_lo, exec_lo, s10
	v_or_b32_e32 v25, 0x400, v0
	v_cmp_gt_u32_e64 s9, s35, v25
	s_and_saveexec_b32 s11, s9
	s_cbranch_execz .LBB192_45
; %bb.44:
	ds_read_b32 v9, v17 offset:5120
	v_mov_b32_e32 v8, 0
	s_waitcnt lgkmcnt(0)
	v_lshrrev_b32_e32 v4, s28, v9
	v_and_b32_e32 v4, s36, v4
	v_lshlrev_b32_e32 v7, 2, v4
	ds_read_b32 v7, v7
	s_waitcnt lgkmcnt(0)
	v_add_nc_u32_e32 v7, v7, v25
	v_lshlrev_b64 v[7:8], 2, v[7:8]
	v_add_co_u32 v7, s10, s18, v7
	v_add_co_ci_u32_e64 v8, null, s19, v8, s10
	global_store_dword v[7:8], v9, off
.LBB192_45:
	s_or_b32 exec_lo, exec_lo, s11
	v_or_b32_e32 v26, 0x800, v0
	v_cmp_gt_u32_e64 s10, s35, v26
	s_and_saveexec_b32 s12, s10
	s_cbranch_execz .LBB192_47
; %bb.46:
	ds_read_b32 v9, v17 offset:9216
	v_mov_b32_e32 v8, 0
	s_waitcnt lgkmcnt(0)
	v_lshrrev_b32_e32 v5, s28, v9
	v_and_b32_e32 v5, s36, v5
	v_lshlrev_b32_e32 v7, 2, v5
	ds_read_b32 v7, v7
	s_waitcnt lgkmcnt(0)
	v_add_nc_u32_e32 v7, v7, v26
	v_lshlrev_b64 v[7:8], 2, v[7:8]
	v_add_co_u32 v7, s11, s18, v7
	v_add_co_ci_u32_e64 v8, null, s19, v8, s11
	global_store_dword v[7:8], v9, off
.LBB192_47:
	;; [unrolled: 20-line block ×3, first 2 shown]
	s_or_b32 exec_lo, exec_lo, s13
	v_lshlrev_b32_e32 v7, 3, v18
	s_lshl_b64 s[12:13], s[30:31], 3
	v_lshlrev_b32_e32 v9, 3, v11
	s_add_u32 s12, s20, s12
	s_addc_u32 s13, s21, s13
	v_add_co_u32 v7, s12, s12, v7
	v_add_co_ci_u32_e64 v10, null, s13, 0, s12
	v_mov_b32_e32 v8, 0
	v_add_co_u32 v13, s12, v7, v9
	v_add_co_ci_u32_e64 v14, null, 0, v10, s12
	v_mov_b32_e32 v10, 0
	v_mov_b32_e32 v9, 0
	s_and_saveexec_b32 s12, s3
	s_cbranch_execz .LBB192_51
; %bb.50:
	global_load_dwordx2 v[9:10], v[13:14], off
.LBB192_51:
	s_or_b32 exec_lo, exec_lo, s12
	v_mov_b32_e32 v7, 0
	s_and_saveexec_b32 s3, s2
	s_cbranch_execz .LBB192_53
; %bb.52:
	global_load_dwordx2 v[7:8], v[13:14], off offset:256
.LBB192_53:
	s_or_b32 exec_lo, exec_lo, s3
	v_mov_b32_e32 v12, 0
	v_mov_b32_e32 v16, 0
	;; [unrolled: 1-line block ×3, first 2 shown]
	s_and_saveexec_b32 s2, s1
	s_cbranch_execz .LBB192_55
; %bb.54:
	global_load_dwordx2 v[15:16], v[13:14], off offset:512
.LBB192_55:
	s_or_b32 exec_lo, exec_lo, s2
	v_mov_b32_e32 v11, 0
	s_and_saveexec_b32 s1, vcc_lo
	s_cbranch_execz .LBB192_57
; %bb.56:
	global_load_dwordx2 v[11:12], v[13:14], off offset:768
.LBB192_57:
	s_or_b32 exec_lo, exec_lo, s1
	v_min_u32_e32 v13, 0x1000, v24
	v_min_u32_e32 v14, 0x1000, v23
	;; [unrolled: 1-line block ×4, first 2 shown]
	s_waitcnt vmcnt(0)
	s_waitcnt_vscnt null, 0x0
	v_lshlrev_b32_e32 v13, 3, v13
	v_lshlrev_b32_e32 v14, 3, v14
	;; [unrolled: 1-line block ×3, first 2 shown]
	s_barrier
	buffer_gl0_inv
	v_lshlrev_b32_e32 v21, 3, v21
	ds_write_b64 v13, v[9:10] offset:1024
	ds_write_b64 v14, v[7:8] offset:1024
	;; [unrolled: 1-line block ×3, first 2 shown]
	v_lshlrev_b32_e32 v7, 3, v0
	ds_write_b64 v21, v[11:12] offset:1024
	s_waitcnt lgkmcnt(0)
	s_barrier
	buffer_gl0_inv
	s_and_saveexec_b32 s1, s8
	s_cbranch_execz .LBB192_61
; %bb.58:
	v_lshlrev_b32_e32 v3, 2, v3
	v_mov_b32_e32 v11, 0
	ds_read_b32 v3, v3
	ds_read_b64 v[8:9], v7 offset:1024
	s_waitcnt lgkmcnt(1)
	v_add_nc_u32_e32 v10, v3, v0
	v_lshlrev_b64 v[10:11], 3, v[10:11]
	v_add_co_u32 v10, vcc_lo, s22, v10
	v_add_co_ci_u32_e64 v11, null, s23, v11, vcc_lo
	s_waitcnt lgkmcnt(0)
	global_store_dwordx2 v[10:11], v[8:9], off
	s_or_b32 exec_lo, exec_lo, s1
	s_and_saveexec_b32 s1, s9
	s_cbranch_execnz .LBB192_62
.LBB192_59:
	s_or_b32 exec_lo, exec_lo, s1
	s_and_saveexec_b32 s1, s10
	s_cbranch_execz .LBB192_63
.LBB192_60:
	v_lshlrev_b32_e32 v3, 2, v5
	v_mov_b32_e32 v9, 0
	ds_read_b32 v5, v3
	ds_read_b64 v[3:4], v7 offset:17408
	s_waitcnt lgkmcnt(1)
	v_add_nc_u32_e32 v8, v5, v26
	v_lshlrev_b64 v[8:9], 3, v[8:9]
	v_add_co_u32 v8, vcc_lo, s22, v8
	v_add_co_ci_u32_e64 v9, null, s23, v9, vcc_lo
	s_waitcnt lgkmcnt(0)
	global_store_dwordx2 v[8:9], v[3:4], off
	s_or_b32 exec_lo, exec_lo, s1
	s_and_saveexec_b32 s1, s11
	s_cbranch_execnz .LBB192_64
	s_branch .LBB192_65
.LBB192_61:
	s_or_b32 exec_lo, exec_lo, s1
	s_and_saveexec_b32 s1, s9
	s_cbranch_execz .LBB192_59
.LBB192_62:
	v_lshlrev_b32_e32 v3, 2, v4
	v_mov_b32_e32 v9, 0
	ds_read_b32 v8, v3
	ds_read_b64 v[3:4], v7 offset:9216
	s_waitcnt lgkmcnt(1)
	v_add_nc_u32_e32 v8, v8, v25
	v_lshlrev_b64 v[8:9], 3, v[8:9]
	v_add_co_u32 v8, vcc_lo, s22, v8
	v_add_co_ci_u32_e64 v9, null, s23, v9, vcc_lo
	s_waitcnt lgkmcnt(0)
	global_store_dwordx2 v[8:9], v[3:4], off
	s_or_b32 exec_lo, exec_lo, s1
	s_and_saveexec_b32 s1, s10
	s_cbranch_execnz .LBB192_60
.LBB192_63:
	s_or_b32 exec_lo, exec_lo, s1
	s_and_saveexec_b32 s1, s11
	s_cbranch_execz .LBB192_65
.LBB192_64:
	v_lshlrev_b32_e32 v3, 2, v6
	v_mov_b32_e32 v6, 0
	ds_read_b32 v5, v3
	ds_read_b64 v[3:4], v7 offset:25600
	s_waitcnt lgkmcnt(1)
	v_add_nc_u32_e32 v5, v5, v27
	v_lshlrev_b64 v[5:6], 3, v[5:6]
	v_add_co_u32 v5, vcc_lo, s22, v5
	v_add_co_ci_u32_e64 v6, null, s23, v6, vcc_lo
	s_waitcnt lgkmcnt(0)
	global_store_dwordx2 v[5:6], v[3:4], off
.LBB192_65:
	s_or_b32 exec_lo, exec_lo, s1
	s_add_i32 s34, s34, -1
	s_cmp_eq_u32 s33, s34
	s_cselect_b32 s1, -1, 0
	s_xor_b32 s2, s7, -1
	s_and_b32 s2, s2, s1
	s_and_saveexec_b32 s1, s2
	s_cbranch_execz .LBB192_67
; %bb.66:
	ds_read_b32 v3, v17
	s_waitcnt lgkmcnt(0)
	v_add3_u32 v3, v19, v20, v3
	global_store_dword v17, v3, s[26:27]
.LBB192_67:
	s_or_b32 exec_lo, exec_lo, s1
	s_mov_b32 s2, 0
.LBB192_68:
	s_and_b32 vcc_lo, exec_lo, s2
	s_cbranch_vccz .LBB192_99
; %bb.69:
	s_lshl_b32 s8, s33, 12
	s_mov_b32 s9, 0
	v_and_b32_e32 v9, 0xf80, v17
	v_lshlrev_b32_e32 v3, 2, v18
	s_lshl_b64 s[2:3], s[8:9], 2
	s_add_u32 s1, s16, s2
	s_addc_u32 s2, s17, s3
	v_lshlrev_b32_e32 v4, 2, v9
	v_add_co_u32 v3, s1, s1, v3
	v_add_co_ci_u32_e64 v5, null, s2, 0, s1
	s_add_u32 s2, s4, 0x58
	v_add_co_u32 v3, vcc_lo, v3, v4
	v_add_co_ci_u32_e64 v4, null, 0, v5, vcc_lo
	s_addc_u32 s3, s5, 0
	v_mov_b32_e32 v5, 0
	global_load_dword v10, v[3:4], off
	s_clause 0x1
	s_load_dword s1, s[4:5], 0x64
	s_load_dword s7, s[4:5], 0x58
	s_waitcnt lgkmcnt(0)
	s_lshr_b32 s4, s1, 16
	s_cmp_lt_u32 s6, s7
	v_mad_u32_u24 v1, v2, s4, v1
	s_cselect_b32 s1, 12, 18
	s_add_u32 s2, s2, s1
	s_addc_u32 s3, s3, 0
	global_load_ushort v6, v5, s[2:3]
	s_clause 0x2
	global_load_dword v11, v[3:4], off offset:128
	global_load_dword v12, v[3:4], off offset:256
	;; [unrolled: 1-line block ×3, first 2 shown]
	s_lshl_b32 s1, -1, s29
	s_not_b32 s10, s1
	s_waitcnt vmcnt(4)
	v_lshrrev_b32_e32 v3, s28, v10
	v_and_b32_e32 v3, s10, v3
	v_and_b32_e32 v4, 1, v3
	v_lshlrev_b32_e32 v7, 30, v3
	v_lshlrev_b32_e32 v8, 29, v3
	;; [unrolled: 1-line block ×4, first 2 shown]
	v_add_co_u32 v4, s1, v4, -1
	v_cndmask_b32_e64 v15, 0, 1, s1
	v_not_b32_e32 v21, v7
	v_cmp_gt_i32_e64 s1, 0, v7
	v_not_b32_e32 v7, v8
	v_lshlrev_b32_e32 v19, 26, v3
	v_cmp_ne_u32_e32 vcc_lo, 0, v15
	v_ashrrev_i32_e32 v21, 31, v21
	v_lshlrev_b32_e32 v20, 25, v3
	v_ashrrev_i32_e32 v7, 31, v7
	v_lshlrev_b32_e32 v15, 24, v3
	v_xor_b32_e32 v4, vcc_lo, v4
	v_cmp_gt_i32_e32 vcc_lo, 0, v8
	v_not_b32_e32 v8, v14
	v_xor_b32_e32 v21, s1, v21
	v_cmp_gt_i32_e64 s1, 0, v14
	v_and_b32_e32 v4, exec_lo, v4
	v_not_b32_e32 v14, v16
	v_ashrrev_i32_e32 v8, 31, v8
	v_xor_b32_e32 v7, vcc_lo, v7
	v_cmp_gt_i32_e32 vcc_lo, 0, v16
	v_and_b32_e32 v4, v4, v21
	v_not_b32_e32 v16, v19
	v_ashrrev_i32_e32 v14, 31, v14
	v_xor_b32_e32 v8, s1, v8
	v_cmp_gt_i32_e64 s1, 0, v19
	v_and_b32_e32 v4, v4, v7
	v_not_b32_e32 v7, v20
	v_ashrrev_i32_e32 v16, 31, v16
	v_xor_b32_e32 v14, vcc_lo, v14
	v_cmp_gt_i32_e32 vcc_lo, 0, v20
	v_and_b32_e32 v4, v4, v8
	v_not_b32_e32 v8, v15
	v_ashrrev_i32_e32 v7, 31, v7
	v_xor_b32_e32 v16, s1, v16
	v_cmp_gt_i32_e64 s1, 0, v15
	v_and_b32_e32 v4, v4, v14
	v_ashrrev_i32_e32 v8, 31, v8
	v_xor_b32_e32 v7, vcc_lo, v7
	s_waitcnt vmcnt(3)
	v_mad_u64_u32 v[1:2], null, v1, v6, v[0:1]
	v_and_b32_e32 v4, v4, v16
	v_xor_b32_e32 v2, s1, v8
	v_mul_lo_u32 v3, 0x84, v3
	v_mul_u32_u24_e32 v15, 36, v0
	v_and_b32_e32 v4, v4, v7
	v_lshrrev_b32_e32 v1, 3, v1
	ds_write2_b32 v15, v5, v5 offset0:32 offset1:33
	ds_write2_b32 v15, v5, v5 offset0:34 offset1:35
	;; [unrolled: 1-line block ×3, first 2 shown]
	v_and_b32_e32 v2, v4, v2
	v_and_b32_e32 v1, 0x1ffffffc, v1
	ds_write2_b32 v15, v5, v5 offset0:38 offset1:39
	ds_write_b32 v15, v5 offset:160
	s_waitcnt vmcnt(0) lgkmcnt(0)
	s_waitcnt_vscnt null, 0x0
	s_barrier
	v_mbcnt_lo_u32_b32 v14, v2, 0
	v_cmp_ne_u32_e64 s1, 0, v2
	v_add_nc_u32_e32 v16, v1, v3
	buffer_gl0_inv
	v_cmp_eq_u32_e32 vcc_lo, 0, v14
	; wave barrier
	s_and_b32 s2, s1, vcc_lo
	s_and_saveexec_b32 s1, s2
; %bb.70:
	v_bcnt_u32_b32 v2, v2, 0
	ds_write_b32 v16, v2 offset:128
; %bb.71:
	s_or_b32 exec_lo, exec_lo, s1
	v_lshrrev_b32_e32 v2, s28, v11
	; wave barrier
	v_and_b32_e32 v2, s10, v2
	v_and_b32_e32 v4, 1, v2
	v_lshlrev_b32_e32 v5, 30, v2
	v_lshlrev_b32_e32 v6, 29, v2
	;; [unrolled: 1-line block ×4, first 2 shown]
	v_add_co_u32 v4, s1, v4, -1
	v_cndmask_b32_e64 v8, 0, 1, s1
	v_not_b32_e32 v22, v5
	v_cmp_gt_i32_e64 s1, 0, v5
	v_not_b32_e32 v5, v6
	v_lshlrev_b32_e32 v20, 26, v2
	v_cmp_ne_u32_e32 vcc_lo, 0, v8
	v_ashrrev_i32_e32 v8, 31, v22
	v_lshlrev_b32_e32 v21, 25, v2
	v_ashrrev_i32_e32 v5, 31, v5
	v_mul_lo_u32 v3, 0x84, v2
	v_xor_b32_e32 v4, vcc_lo, v4
	v_cmp_gt_i32_e32 vcc_lo, 0, v6
	v_not_b32_e32 v6, v7
	v_xor_b32_e32 v8, s1, v8
	v_cmp_gt_i32_e64 s1, 0, v7
	v_and_b32_e32 v4, exec_lo, v4
	v_not_b32_e32 v7, v19
	v_ashrrev_i32_e32 v6, 31, v6
	v_xor_b32_e32 v5, vcc_lo, v5
	v_cmp_gt_i32_e32 vcc_lo, 0, v19
	v_and_b32_e32 v4, v4, v8
	v_not_b32_e32 v8, v20
	v_ashrrev_i32_e32 v7, 31, v7
	v_xor_b32_e32 v6, s1, v6
	v_lshlrev_b32_e32 v2, 24, v2
	v_and_b32_e32 v4, v4, v5
	v_cmp_gt_i32_e64 s1, 0, v20
	v_not_b32_e32 v5, v21
	v_ashrrev_i32_e32 v8, 31, v8
	v_xor_b32_e32 v7, vcc_lo, v7
	v_and_b32_e32 v4, v4, v6
	v_cmp_gt_i32_e32 vcc_lo, 0, v21
	v_not_b32_e32 v6, v2
	v_ashrrev_i32_e32 v5, 31, v5
	v_xor_b32_e32 v8, s1, v8
	v_and_b32_e32 v4, v4, v7
	v_cmp_gt_i32_e64 s1, 0, v2
	v_ashrrev_i32_e32 v2, 31, v6
	v_xor_b32_e32 v5, vcc_lo, v5
	v_add_nc_u32_e32 v21, v1, v3
	v_and_b32_e32 v4, v4, v8
	v_xor_b32_e32 v2, s1, v2
	ds_read_b32 v19, v21 offset:128
	v_and_b32_e32 v3, v4, v5
	; wave barrier
	v_and_b32_e32 v2, v3, v2
	v_mbcnt_lo_u32_b32 v20, v2, 0
	v_cmp_ne_u32_e64 s1, 0, v2
	v_cmp_eq_u32_e32 vcc_lo, 0, v20
	s_and_b32 s2, s1, vcc_lo
	s_and_saveexec_b32 s1, s2
	s_cbranch_execz .LBB192_73
; %bb.72:
	s_waitcnt lgkmcnt(0)
	v_bcnt_u32_b32 v2, v2, v19
	ds_write_b32 v21, v2 offset:128
.LBB192_73:
	s_or_b32 exec_lo, exec_lo, s1
	v_lshrrev_b32_e32 v2, s28, v12
	; wave barrier
	v_and_b32_e32 v2, s10, v2
	v_and_b32_e32 v4, 1, v2
	v_lshlrev_b32_e32 v5, 30, v2
	v_lshlrev_b32_e32 v6, 29, v2
	;; [unrolled: 1-line block ×4, first 2 shown]
	v_add_co_u32 v4, s1, v4, -1
	v_cndmask_b32_e64 v8, 0, 1, s1
	v_not_b32_e32 v25, v5
	v_cmp_gt_i32_e64 s1, 0, v5
	v_not_b32_e32 v5, v6
	v_lshlrev_b32_e32 v23, 26, v2
	v_cmp_ne_u32_e32 vcc_lo, 0, v8
	v_ashrrev_i32_e32 v8, 31, v25
	v_lshlrev_b32_e32 v24, 25, v2
	v_ashrrev_i32_e32 v5, 31, v5
	v_mul_lo_u32 v3, 0x84, v2
	v_xor_b32_e32 v4, vcc_lo, v4
	v_cmp_gt_i32_e32 vcc_lo, 0, v6
	v_not_b32_e32 v6, v7
	v_xor_b32_e32 v8, s1, v8
	v_cmp_gt_i32_e64 s1, 0, v7
	v_and_b32_e32 v4, exec_lo, v4
	v_not_b32_e32 v7, v22
	v_ashrrev_i32_e32 v6, 31, v6
	v_xor_b32_e32 v5, vcc_lo, v5
	v_cmp_gt_i32_e32 vcc_lo, 0, v22
	v_and_b32_e32 v4, v4, v8
	v_not_b32_e32 v8, v23
	v_ashrrev_i32_e32 v7, 31, v7
	v_xor_b32_e32 v6, s1, v6
	v_lshlrev_b32_e32 v2, 24, v2
	v_and_b32_e32 v4, v4, v5
	v_cmp_gt_i32_e64 s1, 0, v23
	v_not_b32_e32 v5, v24
	v_ashrrev_i32_e32 v8, 31, v8
	v_xor_b32_e32 v7, vcc_lo, v7
	v_and_b32_e32 v4, v4, v6
	v_cmp_gt_i32_e32 vcc_lo, 0, v24
	v_not_b32_e32 v6, v2
	v_ashrrev_i32_e32 v5, 31, v5
	v_xor_b32_e32 v8, s1, v8
	v_and_b32_e32 v4, v4, v7
	v_cmp_gt_i32_e64 s1, 0, v2
	v_ashrrev_i32_e32 v2, 31, v6
	v_xor_b32_e32 v5, vcc_lo, v5
	v_add_nc_u32_e32 v24, v1, v3
	v_and_b32_e32 v4, v4, v8
	v_xor_b32_e32 v2, s1, v2
	ds_read_b32 v22, v24 offset:128
	v_and_b32_e32 v3, v4, v5
	; wave barrier
	v_and_b32_e32 v2, v3, v2
	v_mbcnt_lo_u32_b32 v23, v2, 0
	v_cmp_ne_u32_e64 s1, 0, v2
	v_cmp_eq_u32_e32 vcc_lo, 0, v23
	s_and_b32 s2, s1, vcc_lo
	s_and_saveexec_b32 s1, s2
	s_cbranch_execz .LBB192_75
; %bb.74:
	s_waitcnt lgkmcnt(0)
	v_bcnt_u32_b32 v2, v2, v22
	ds_write_b32 v24, v2 offset:128
.LBB192_75:
	s_or_b32 exec_lo, exec_lo, s1
	v_lshrrev_b32_e32 v2, s28, v13
	; wave barrier
	v_and_b32_e32 v2, s10, v2
	v_and_b32_e32 v4, 1, v2
	v_lshlrev_b32_e32 v5, 30, v2
	v_lshlrev_b32_e32 v6, 29, v2
	;; [unrolled: 1-line block ×4, first 2 shown]
	v_add_co_u32 v4, s1, v4, -1
	v_cndmask_b32_e64 v8, 0, 1, s1
	v_not_b32_e32 v28, v5
	v_cmp_gt_i32_e64 s1, 0, v5
	v_not_b32_e32 v5, v6
	v_lshlrev_b32_e32 v26, 26, v2
	v_cmp_ne_u32_e32 vcc_lo, 0, v8
	v_ashrrev_i32_e32 v8, 31, v28
	v_lshlrev_b32_e32 v27, 25, v2
	v_ashrrev_i32_e32 v5, 31, v5
	v_mul_lo_u32 v3, 0x84, v2
	v_xor_b32_e32 v4, vcc_lo, v4
	v_cmp_gt_i32_e32 vcc_lo, 0, v6
	v_not_b32_e32 v6, v7
	v_xor_b32_e32 v8, s1, v8
	v_cmp_gt_i32_e64 s1, 0, v7
	v_and_b32_e32 v4, exec_lo, v4
	v_not_b32_e32 v7, v25
	v_ashrrev_i32_e32 v6, 31, v6
	v_xor_b32_e32 v5, vcc_lo, v5
	v_cmp_gt_i32_e32 vcc_lo, 0, v25
	v_and_b32_e32 v4, v4, v8
	v_not_b32_e32 v8, v26
	v_ashrrev_i32_e32 v7, 31, v7
	v_xor_b32_e32 v6, s1, v6
	v_lshlrev_b32_e32 v2, 24, v2
	v_and_b32_e32 v4, v4, v5
	v_cmp_gt_i32_e64 s1, 0, v26
	v_not_b32_e32 v5, v27
	v_ashrrev_i32_e32 v8, 31, v8
	v_xor_b32_e32 v7, vcc_lo, v7
	v_and_b32_e32 v4, v4, v6
	v_cmp_gt_i32_e32 vcc_lo, 0, v27
	v_not_b32_e32 v6, v2
	v_ashrrev_i32_e32 v5, 31, v5
	v_xor_b32_e32 v8, s1, v8
	v_and_b32_e32 v4, v4, v7
	v_cmp_gt_i32_e64 s1, 0, v2
	v_ashrrev_i32_e32 v2, 31, v6
	v_xor_b32_e32 v5, vcc_lo, v5
	v_add_nc_u32_e32 v27, v1, v3
	v_and_b32_e32 v4, v4, v8
	v_xor_b32_e32 v1, s1, v2
	ds_read_b32 v25, v27 offset:128
	v_and_b32_e32 v2, v4, v5
	; wave barrier
	v_and_b32_e32 v1, v2, v1
	v_mbcnt_lo_u32_b32 v26, v1, 0
	v_cmp_ne_u32_e64 s1, 0, v1
	v_cmp_eq_u32_e32 vcc_lo, 0, v26
	s_and_b32 s2, s1, vcc_lo
	s_and_saveexec_b32 s1, s2
	s_cbranch_execz .LBB192_77
; %bb.76:
	s_waitcnt lgkmcnt(0)
	v_bcnt_u32_b32 v1, v1, v25
	ds_write_b32 v27, v1 offset:128
.LBB192_77:
	s_or_b32 exec_lo, exec_lo, s1
	; wave barrier
	s_waitcnt lgkmcnt(0)
	s_barrier
	buffer_gl0_inv
	ds_read2_b32 v[7:8], v15 offset0:32 offset1:33
	ds_read2_b32 v[5:6], v15 offset0:34 offset1:35
	;; [unrolled: 1-line block ×4, first 2 shown]
	ds_read_b32 v28, v15 offset:160
	v_and_b32_e32 v31, 16, v18
	v_and_b32_e32 v32, 31, v0
	s_mov_b32 s6, exec_lo
	v_cmp_eq_u32_e64 s4, 0, v31
	s_waitcnt lgkmcnt(3)
	v_add3_u32 v29, v8, v7, v5
	s_waitcnt lgkmcnt(2)
	v_add3_u32 v29, v29, v6, v3
	;; [unrolled: 2-line block ×4, first 2 shown]
	v_and_b32_e32 v29, 15, v18
	v_mov_b32_dpp v30, v28 row_shr:1 row_mask:0xf bank_mask:0xf
	v_cmp_eq_u32_e32 vcc_lo, 0, v29
	v_cmp_lt_u32_e64 s1, 1, v29
	v_cmp_lt_u32_e64 s2, 3, v29
	v_cmp_lt_u32_e64 s3, 7, v29
	v_cndmask_b32_e64 v30, v30, 0, vcc_lo
	v_add_nc_u32_e32 v28, v30, v28
	v_mov_b32_dpp v30, v28 row_shr:2 row_mask:0xf bank_mask:0xf
	v_cndmask_b32_e64 v30, 0, v30, s1
	v_add_nc_u32_e32 v28, v28, v30
	v_mov_b32_dpp v30, v28 row_shr:4 row_mask:0xf bank_mask:0xf
	v_cndmask_b32_e64 v30, 0, v30, s2
	;; [unrolled: 3-line block ×3, first 2 shown]
	v_bfe_i32 v30, v18, 4, 1
	v_add_nc_u32_e32 v28, v28, v29
	ds_swizzle_b32 v29, v28 offset:swizzle(BROADCAST,32,15)
	s_waitcnt lgkmcnt(0)
	v_and_b32_e32 v30, v30, v29
	v_lshrrev_b32_e32 v29, 5, v0
	v_add_nc_u32_e32 v28, v28, v30
	v_cmpx_eq_u32_e32 31, v32
; %bb.78:
	v_lshlrev_b32_e32 v30, 2, v29
	ds_write_b32 v30, v28
; %bb.79:
	s_or_b32 exec_lo, exec_lo, s6
	v_cmp_lt_u32_e64 s5, 31, v0
	s_mov_b32 s11, exec_lo
	s_waitcnt lgkmcnt(0)
	s_barrier
	buffer_gl0_inv
	v_cmpx_gt_u32_e32 32, v0
	s_cbranch_execz .LBB192_81
; %bb.80:
	ds_read_b32 v30, v17
	s_waitcnt lgkmcnt(0)
	v_mov_b32_dpp v31, v30 row_shr:1 row_mask:0xf bank_mask:0xf
	v_cndmask_b32_e64 v31, v31, 0, vcc_lo
	v_add_nc_u32_e32 v30, v31, v30
	v_mov_b32_dpp v31, v30 row_shr:2 row_mask:0xf bank_mask:0xf
	v_cndmask_b32_e64 v31, 0, v31, s1
	v_add_nc_u32_e32 v30, v30, v31
	v_mov_b32_dpp v31, v30 row_shr:4 row_mask:0xf bank_mask:0xf
	v_cndmask_b32_e64 v31, 0, v31, s2
	;; [unrolled: 3-line block ×3, first 2 shown]
	v_add_nc_u32_e32 v30, v30, v31
	ds_swizzle_b32 v31, v30 offset:swizzle(BROADCAST,32,15)
	s_waitcnt lgkmcnt(0)
	v_cndmask_b32_e64 v31, v31, 0, s4
	v_add_nc_u32_e32 v30, v30, v31
	ds_write_b32 v17, v30
.LBB192_81:
	s_or_b32 exec_lo, exec_lo, s11
	v_mov_b32_e32 v30, 0
	s_waitcnt lgkmcnt(0)
	s_barrier
	buffer_gl0_inv
	s_and_saveexec_b32 s1, s5
; %bb.82:
	v_lshl_add_u32 v29, v29, 2, -4
	ds_read_b32 v30, v29
; %bb.83:
	s_or_b32 exec_lo, exec_lo, s1
	v_sub_co_u32 v29, vcc_lo, v18, 1
	s_waitcnt lgkmcnt(0)
	v_add_nc_u32_e32 v28, v30, v28
	v_cmp_gt_i32_e64 s1, 0, v29
	v_cndmask_b32_e64 v29, v29, v18, s1
	v_lshlrev_b32_e32 v29, 2, v29
	ds_bpermute_b32 v28, v29, v28
	s_waitcnt lgkmcnt(0)
	v_cndmask_b32_e32 v28, v28, v30, vcc_lo
	v_cmp_lt_u32_e32 vcc_lo, 0xff, v0
	v_cndmask_b32_e64 v28, v28, 0, s0
	v_cmp_gt_u32_e64 s0, 0x100, v0
	v_add_nc_u32_e32 v7, v28, v7
	v_add_nc_u32_e32 v8, v7, v8
	;; [unrolled: 1-line block ×8, first 2 shown]
	ds_write2_b32 v15, v28, v7 offset0:32 offset1:33
	ds_write2_b32 v15, v8, v5 offset0:34 offset1:35
	;; [unrolled: 1-line block ×4, first 2 shown]
	ds_write_b32 v15, v2 offset:160
	s_waitcnt lgkmcnt(0)
	s_barrier
	buffer_gl0_inv
	ds_read_b32 v1, v16 offset:128
	ds_read_b32 v2, v21 offset:128
	;; [unrolled: 1-line block ×4, first 2 shown]
                                        ; implicit-def: $vgpr7
                                        ; implicit-def: $vgpr8
	s_and_saveexec_b32 s2, s0
	s_cbranch_execz .LBB192_87
; %bb.84:
	v_mul_u32_u24_e32 v5, 0x84, v0
	v_add_nc_u32_e32 v6, 1, v0
	s_mov_b32 s3, exec_lo
	ds_read_b32 v7, v5 offset:128
	v_mov_b32_e32 v5, 0x1000
	v_cmpx_ne_u32_e32 0x100, v6
; %bb.85:
	v_mul_u32_u24_e32 v5, 0x84, v6
	ds_read_b32 v5, v5 offset:128
; %bb.86:
	s_or_b32 exec_lo, exec_lo, s3
	s_waitcnt lgkmcnt(0)
	v_sub_nc_u32_e32 v8, v5, v7
.LBB192_87:
	s_or_b32 exec_lo, exec_lo, s2
	s_waitcnt lgkmcnt(3)
	v_add_nc_u32_e32 v21, v1, v14
	s_waitcnt lgkmcnt(2)
	v_add3_u32 v16, v20, v19, v2
	s_waitcnt lgkmcnt(1)
	v_add3_u32 v15, v23, v22, v3
	;; [unrolled: 2-line block ×3, first 2 shown]
	v_mov_b32_e32 v2, 0
	v_lshlrev_b32_e32 v1, 2, v21
	v_lshlrev_b32_e32 v3, 2, v16
	;; [unrolled: 1-line block ×4, first 2 shown]
	s_barrier
	buffer_gl0_inv
	ds_write_b32 v1, v10 offset:1024
	ds_write_b32 v3, v11 offset:1024
	;; [unrolled: 1-line block ×4, first 2 shown]
	s_and_saveexec_b32 s1, s0
	s_cbranch_execz .LBB192_97
; %bb.88:
	v_lshl_add_u32 v1, s33, 8, v0
	v_mov_b32_e32 v10, 0
	s_mov_b32 s2, 0
	s_mov_b32 s3, s33
	v_lshlrev_b64 v[3:4], 2, v[1:2]
	v_or_b32_e32 v1, 2.0, v8
	v_add_co_u32 v3, s0, s14, v3
	v_add_co_ci_u32_e64 v4, null, s15, v4, s0
                                        ; implicit-def: $sgpr0
	global_store_dword v[3:4], v1, off
	s_branch .LBB192_91
	.p2align	6
.LBB192_89:                             ;   in Loop: Header=BB192_91 Depth=1
	s_or_b32 exec_lo, exec_lo, s5
.LBB192_90:                             ;   in Loop: Header=BB192_91 Depth=1
	s_or_b32 exec_lo, exec_lo, s4
	v_and_b32_e32 v5, 0x3fffffff, v1
	v_cmp_gt_i32_e64 s0, -2.0, v1
	v_add_nc_u32_e32 v10, v5, v10
	s_and_b32 s4, exec_lo, s0
	s_or_b32 s2, s4, s2
	s_andn2_b32 exec_lo, exec_lo, s2
	s_cbranch_execz .LBB192_96
.LBB192_91:                             ; =>This Loop Header: Depth=1
                                        ;     Child Loop BB192_94 Depth 2
	s_or_b32 s0, s0, exec_lo
	s_cmp_eq_u32 s3, 0
	s_cbranch_scc1 .LBB192_95
; %bb.92:                               ;   in Loop: Header=BB192_91 Depth=1
	s_add_i32 s3, s3, -1
	s_mov_b32 s4, exec_lo
	v_lshl_or_b32 v1, s3, 8, v0
	v_lshlrev_b64 v[5:6], 2, v[1:2]
	v_add_co_u32 v5, s0, s14, v5
	v_add_co_ci_u32_e64 v6, null, s15, v6, s0
	global_load_dword v1, v[5:6], off glc dlc
	s_waitcnt vmcnt(0)
	v_cmpx_gt_u32_e32 2.0, v1
	s_cbranch_execz .LBB192_90
; %bb.93:                               ;   in Loop: Header=BB192_91 Depth=1
	s_mov_b32 s5, 0
.LBB192_94:                             ;   Parent Loop BB192_91 Depth=1
                                        ; =>  This Inner Loop Header: Depth=2
	global_load_dword v1, v[5:6], off glc dlc
	s_waitcnt vmcnt(0)
	v_cmp_lt_u32_e64 s0, 0x3fffffff, v1
	s_or_b32 s5, s0, s5
	s_andn2_b32 exec_lo, exec_lo, s5
	s_cbranch_execnz .LBB192_94
	s_branch .LBB192_89
.LBB192_95:                             ;   in Loop: Header=BB192_91 Depth=1
                                        ; implicit-def: $sgpr3
	s_and_b32 s4, exec_lo, s0
	s_or_b32 s2, s4, s2
	s_andn2_b32 exec_lo, exec_lo, s2
	s_cbranch_execnz .LBB192_91
.LBB192_96:
	s_or_b32 exec_lo, exec_lo, s2
	v_add_nc_u32_e32 v1, v10, v8
	v_sub_nc_u32_e32 v2, v10, v7
	v_or_b32_e32 v1, 0x80000000, v1
	global_store_dword v[3:4], v1, off
	global_load_dword v1, v17, s[24:25]
	s_waitcnt vmcnt(0)
	v_add_nc_u32_e32 v1, v2, v1
	ds_write_b32 v17, v1
.LBB192_97:
	s_or_b32 exec_lo, exec_lo, s1
	s_waitcnt lgkmcnt(0)
	s_waitcnt_vscnt null, 0x0
	s_barrier
	buffer_gl0_inv
	ds_read2st64_b32 v[1:2], v17 offset0:4 offset1:20
	ds_read2st64_b32 v[3:4], v17 offset0:36 offset1:52
	v_or_b32_e32 v28, 0x400, v0
	v_or_b32_e32 v29, 0x800, v0
	v_lshlrev_b32_e32 v12, 3, v18
	v_lshlrev_b32_e32 v24, 3, v9
	s_lshl_b64 s[0:1], s[8:9], 3
	v_or_b32_e32 v30, 0xc00, v0
	s_add_u32 s0, s20, s0
	s_addc_u32 s1, s21, s1
	v_add_co_u32 v25, s0, s0, v12
	v_add_co_ci_u32_e64 v31, null, s1, 0, s0
	v_min_u32_e32 v16, 0x1000, v16
	v_min_u32_e32 v15, 0x1000, v15
	;; [unrolled: 1-line block ×3, first 2 shown]
	s_add_i32 s7, s7, -1
	v_lshlrev_b32_e32 v16, 3, v16
	s_waitcnt lgkmcnt(1)
	v_lshrrev_b32_e32 v5, s28, v1
	v_lshrrev_b32_e32 v6, s28, v2
	v_lshlrev_b32_e32 v15, 3, v15
	v_lshlrev_b32_e32 v14, 3, v14
	s_cmp_eq_u32 s33, s7
	v_and_b32_e32 v5, s10, v5
	v_lshlrev_b32_e32 v13, 2, v5
	v_and_b32_e32 v5, s10, v6
	s_waitcnt lgkmcnt(0)
	v_lshrrev_b32_e32 v6, s28, v3
	ds_read_b32 v10, v13
	v_lshlrev_b32_e32 v20, 2, v5
	v_and_b32_e32 v5, s10, v6
	v_lshrrev_b32_e32 v6, s28, v4
	ds_read_b32 v11, v20
	v_lshlrev_b32_e32 v26, 2, v5
	v_and_b32_e32 v5, s10, v6
	v_mov_b32_e32 v6, 0
	ds_read_b32 v19, v26
	v_lshlrev_b32_e32 v27, 2, v5
	ds_read_b32 v22, v27
	s_waitcnt lgkmcnt(3)
	v_add_nc_u32_e32 v5, v10, v0
	v_lshlrev_b64 v[9:10], 2, v[5:6]
	s_waitcnt lgkmcnt(2)
	v_add_nc_u32_e32 v5, v11, v28
	v_lshlrev_b64 v[11:12], 2, v[5:6]
	s_waitcnt lgkmcnt(1)
	v_add_nc_u32_e32 v5, v19, v29
	v_add_co_u32 v9, s0, s18, v9
	v_add_co_ci_u32_e64 v10, null, s19, v10, s0
	v_lshlrev_b64 v[18:19], 2, v[5:6]
	s_waitcnt lgkmcnt(0)
	v_add_nc_u32_e32 v5, v22, v30
	v_add_co_u32 v11, s0, s18, v11
	v_add_co_ci_u32_e64 v12, null, s19, v12, s0
	v_lshlrev_b64 v[22:23], 2, v[5:6]
	v_add_co_u32 v18, s0, s18, v18
	v_add_co_ci_u32_e64 v19, null, s19, v19, s0
	v_min_u32_e32 v5, 0x1000, v21
	v_add_co_u32 v22, s0, s18, v22
	v_add_co_ci_u32_e64 v23, null, s19, v23, s0
	v_add_co_u32 v24, s0, v25, v24
	v_add_co_ci_u32_e64 v25, null, 0, v31, s0
	global_store_dword v[9:10], v1, off
	global_store_dword v[11:12], v2, off
	;; [unrolled: 1-line block ×4, first 2 shown]
	s_clause 0x3
	global_load_dwordx2 v[1:2], v[24:25], off
	global_load_dwordx2 v[3:4], v[24:25], off offset:256
	global_load_dwordx2 v[9:10], v[24:25], off offset:512
	;; [unrolled: 1-line block ×3, first 2 shown]
	v_lshlrev_b32_e32 v5, 3, v5
	s_waitcnt vmcnt(0)
	s_waitcnt_vscnt null, 0x0
	s_barrier
	buffer_gl0_inv
	ds_write_b64 v5, v[1:2] offset:1024
	ds_write_b64 v16, v[3:4] offset:1024
	;; [unrolled: 1-line block ×4, first 2 shown]
	s_waitcnt lgkmcnt(0)
	s_barrier
	buffer_gl0_inv
	ds_read_b32 v1, v13
	ds_read_b32 v4, v20
	;; [unrolled: 1-line block ×4, first 2 shown]
	v_add_nc_u32_e32 v9, v17, v17
	s_waitcnt lgkmcnt(3)
	v_add_nc_u32_e32 v5, v1, v0
	ds_read2st64_b64 v[0:3], v9 offset0:2 offset1:18
	ds_read2st64_b64 v[9:12], v9 offset0:34 offset1:50
	v_lshlrev_b64 v[13:14], 3, v[5:6]
	s_waitcnt lgkmcnt(4)
	v_add_nc_u32_e32 v5, v4, v28
	v_lshlrev_b64 v[15:16], 3, v[5:6]
	s_waitcnt lgkmcnt(3)
	v_add_nc_u32_e32 v5, v18, v29
	v_add_co_u32 v13, s0, s22, v13
	v_add_co_ci_u32_e64 v14, null, s23, v14, s0
	v_lshlrev_b64 v[18:19], 3, v[5:6]
	s_waitcnt lgkmcnt(2)
	v_add_nc_u32_e32 v5, v20, v30
	v_add_co_u32 v15, s0, s22, v15
	v_add_co_ci_u32_e64 v16, null, s23, v16, s0
	s_waitcnt lgkmcnt(1)
	global_store_dwordx2 v[13:14], v[0:1], off
	v_lshlrev_b64 v[0:1], 3, v[5:6]
	global_store_dwordx2 v[15:16], v[2:3], off
	v_add_co_u32 v2, s0, s22, v18
	v_add_co_ci_u32_e64 v3, null, s23, v19, s0
	v_add_co_u32 v0, s0, s22, v0
	v_add_co_ci_u32_e64 v1, null, s23, v1, s0
	s_cselect_b32 s0, -1, 0
	s_xor_b32 s1, vcc_lo, -1
	s_waitcnt lgkmcnt(0)
	global_store_dwordx2 v[2:3], v[9:10], off
	s_and_b32 s0, s1, s0
	global_store_dwordx2 v[0:1], v[11:12], off
	s_and_saveexec_b32 s1, s0
	s_cbranch_execz .LBB192_99
; %bb.98:
	ds_read_b32 v0, v17
	s_waitcnt lgkmcnt(0)
	v_add3_u32 v0, v7, v8, v0
	global_store_dword v17, v0, s[26:27]
.LBB192_99:
	s_endpgm
	.section	.rodata,"a",@progbits
	.p2align	6, 0x0
	.amdhsa_kernel _ZN7rocprim17ROCPRIM_400000_NS6detail17trampoline_kernelINS0_14default_configENS1_35radix_sort_onesweep_config_selectorIjN6thrust23THRUST_200600_302600_NS5tupleIffNS6_9null_typeES8_S8_S8_S8_S8_S8_S8_EEEEZZNS1_29radix_sort_onesweep_iterationIS3_Lb0ENS6_6detail15normal_iteratorINS6_10device_ptrIjEEEESG_NSD_INSE_IS9_EEEESI_jNS0_19identity_decomposerENS1_16block_id_wrapperIjLb1EEEEE10hipError_tT1_PNSt15iterator_traitsISN_E10value_typeET2_T3_PNSO_IST_E10value_typeET4_T5_PSY_SZ_PNS1_23onesweep_lookback_stateEbbT6_jjT7_P12ihipStream_tbENKUlT_T0_SN_SS_E_clISG_PjSI_PS9_EEDaS16_S17_SN_SS_EUlS16_E_NS1_11comp_targetILNS1_3genE8ELNS1_11target_archE1030ELNS1_3gpuE2ELNS1_3repE0EEENS1_47radix_sort_onesweep_sort_config_static_selectorELNS0_4arch9wavefront6targetE0EEEvSN_
		.amdhsa_group_segment_fixed_size 37000
		.amdhsa_private_segment_fixed_size 0
		.amdhsa_kernarg_size 344
		.amdhsa_user_sgpr_count 6
		.amdhsa_user_sgpr_private_segment_buffer 1
		.amdhsa_user_sgpr_dispatch_ptr 0
		.amdhsa_user_sgpr_queue_ptr 0
		.amdhsa_user_sgpr_kernarg_segment_ptr 1
		.amdhsa_user_sgpr_dispatch_id 0
		.amdhsa_user_sgpr_flat_scratch_init 0
		.amdhsa_user_sgpr_private_segment_size 0
		.amdhsa_wavefront_size32 1
		.amdhsa_uses_dynamic_stack 0
		.amdhsa_system_sgpr_private_segment_wavefront_offset 0
		.amdhsa_system_sgpr_workgroup_id_x 1
		.amdhsa_system_sgpr_workgroup_id_y 0
		.amdhsa_system_sgpr_workgroup_id_z 0
		.amdhsa_system_sgpr_workgroup_info 0
		.amdhsa_system_vgpr_workitem_id 2
		.amdhsa_next_free_vgpr 35
		.amdhsa_next_free_sgpr 38
		.amdhsa_reserve_vcc 1
		.amdhsa_reserve_flat_scratch 0
		.amdhsa_float_round_mode_32 0
		.amdhsa_float_round_mode_16_64 0
		.amdhsa_float_denorm_mode_32 3
		.amdhsa_float_denorm_mode_16_64 3
		.amdhsa_dx10_clamp 1
		.amdhsa_ieee_mode 1
		.amdhsa_fp16_overflow 0
		.amdhsa_workgroup_processor_mode 1
		.amdhsa_memory_ordered 1
		.amdhsa_forward_progress 1
		.amdhsa_shared_vgpr_count 0
		.amdhsa_exception_fp_ieee_invalid_op 0
		.amdhsa_exception_fp_denorm_src 0
		.amdhsa_exception_fp_ieee_div_zero 0
		.amdhsa_exception_fp_ieee_overflow 0
		.amdhsa_exception_fp_ieee_underflow 0
		.amdhsa_exception_fp_ieee_inexact 0
		.amdhsa_exception_int_div_zero 0
	.end_amdhsa_kernel
	.section	.text._ZN7rocprim17ROCPRIM_400000_NS6detail17trampoline_kernelINS0_14default_configENS1_35radix_sort_onesweep_config_selectorIjN6thrust23THRUST_200600_302600_NS5tupleIffNS6_9null_typeES8_S8_S8_S8_S8_S8_S8_EEEEZZNS1_29radix_sort_onesweep_iterationIS3_Lb0ENS6_6detail15normal_iteratorINS6_10device_ptrIjEEEESG_NSD_INSE_IS9_EEEESI_jNS0_19identity_decomposerENS1_16block_id_wrapperIjLb1EEEEE10hipError_tT1_PNSt15iterator_traitsISN_E10value_typeET2_T3_PNSO_IST_E10value_typeET4_T5_PSY_SZ_PNS1_23onesweep_lookback_stateEbbT6_jjT7_P12ihipStream_tbENKUlT_T0_SN_SS_E_clISG_PjSI_PS9_EEDaS16_S17_SN_SS_EUlS16_E_NS1_11comp_targetILNS1_3genE8ELNS1_11target_archE1030ELNS1_3gpuE2ELNS1_3repE0EEENS1_47radix_sort_onesweep_sort_config_static_selectorELNS0_4arch9wavefront6targetE0EEEvSN_,"axG",@progbits,_ZN7rocprim17ROCPRIM_400000_NS6detail17trampoline_kernelINS0_14default_configENS1_35radix_sort_onesweep_config_selectorIjN6thrust23THRUST_200600_302600_NS5tupleIffNS6_9null_typeES8_S8_S8_S8_S8_S8_S8_EEEEZZNS1_29radix_sort_onesweep_iterationIS3_Lb0ENS6_6detail15normal_iteratorINS6_10device_ptrIjEEEESG_NSD_INSE_IS9_EEEESI_jNS0_19identity_decomposerENS1_16block_id_wrapperIjLb1EEEEE10hipError_tT1_PNSt15iterator_traitsISN_E10value_typeET2_T3_PNSO_IST_E10value_typeET4_T5_PSY_SZ_PNS1_23onesweep_lookback_stateEbbT6_jjT7_P12ihipStream_tbENKUlT_T0_SN_SS_E_clISG_PjSI_PS9_EEDaS16_S17_SN_SS_EUlS16_E_NS1_11comp_targetILNS1_3genE8ELNS1_11target_archE1030ELNS1_3gpuE2ELNS1_3repE0EEENS1_47radix_sort_onesweep_sort_config_static_selectorELNS0_4arch9wavefront6targetE0EEEvSN_,comdat
.Lfunc_end192:
	.size	_ZN7rocprim17ROCPRIM_400000_NS6detail17trampoline_kernelINS0_14default_configENS1_35radix_sort_onesweep_config_selectorIjN6thrust23THRUST_200600_302600_NS5tupleIffNS6_9null_typeES8_S8_S8_S8_S8_S8_S8_EEEEZZNS1_29radix_sort_onesweep_iterationIS3_Lb0ENS6_6detail15normal_iteratorINS6_10device_ptrIjEEEESG_NSD_INSE_IS9_EEEESI_jNS0_19identity_decomposerENS1_16block_id_wrapperIjLb1EEEEE10hipError_tT1_PNSt15iterator_traitsISN_E10value_typeET2_T3_PNSO_IST_E10value_typeET4_T5_PSY_SZ_PNS1_23onesweep_lookback_stateEbbT6_jjT7_P12ihipStream_tbENKUlT_T0_SN_SS_E_clISG_PjSI_PS9_EEDaS16_S17_SN_SS_EUlS16_E_NS1_11comp_targetILNS1_3genE8ELNS1_11target_archE1030ELNS1_3gpuE2ELNS1_3repE0EEENS1_47radix_sort_onesweep_sort_config_static_selectorELNS0_4arch9wavefront6targetE0EEEvSN_, .Lfunc_end192-_ZN7rocprim17ROCPRIM_400000_NS6detail17trampoline_kernelINS0_14default_configENS1_35radix_sort_onesweep_config_selectorIjN6thrust23THRUST_200600_302600_NS5tupleIffNS6_9null_typeES8_S8_S8_S8_S8_S8_S8_EEEEZZNS1_29radix_sort_onesweep_iterationIS3_Lb0ENS6_6detail15normal_iteratorINS6_10device_ptrIjEEEESG_NSD_INSE_IS9_EEEESI_jNS0_19identity_decomposerENS1_16block_id_wrapperIjLb1EEEEE10hipError_tT1_PNSt15iterator_traitsISN_E10value_typeET2_T3_PNSO_IST_E10value_typeET4_T5_PSY_SZ_PNS1_23onesweep_lookback_stateEbbT6_jjT7_P12ihipStream_tbENKUlT_T0_SN_SS_E_clISG_PjSI_PS9_EEDaS16_S17_SN_SS_EUlS16_E_NS1_11comp_targetILNS1_3genE8ELNS1_11target_archE1030ELNS1_3gpuE2ELNS1_3repE0EEENS1_47radix_sort_onesweep_sort_config_static_selectorELNS0_4arch9wavefront6targetE0EEEvSN_
                                        ; -- End function
	.set _ZN7rocprim17ROCPRIM_400000_NS6detail17trampoline_kernelINS0_14default_configENS1_35radix_sort_onesweep_config_selectorIjN6thrust23THRUST_200600_302600_NS5tupleIffNS6_9null_typeES8_S8_S8_S8_S8_S8_S8_EEEEZZNS1_29radix_sort_onesweep_iterationIS3_Lb0ENS6_6detail15normal_iteratorINS6_10device_ptrIjEEEESG_NSD_INSE_IS9_EEEESI_jNS0_19identity_decomposerENS1_16block_id_wrapperIjLb1EEEEE10hipError_tT1_PNSt15iterator_traitsISN_E10value_typeET2_T3_PNSO_IST_E10value_typeET4_T5_PSY_SZ_PNS1_23onesweep_lookback_stateEbbT6_jjT7_P12ihipStream_tbENKUlT_T0_SN_SS_E_clISG_PjSI_PS9_EEDaS16_S17_SN_SS_EUlS16_E_NS1_11comp_targetILNS1_3genE8ELNS1_11target_archE1030ELNS1_3gpuE2ELNS1_3repE0EEENS1_47radix_sort_onesweep_sort_config_static_selectorELNS0_4arch9wavefront6targetE0EEEvSN_.num_vgpr, 35
	.set _ZN7rocprim17ROCPRIM_400000_NS6detail17trampoline_kernelINS0_14default_configENS1_35radix_sort_onesweep_config_selectorIjN6thrust23THRUST_200600_302600_NS5tupleIffNS6_9null_typeES8_S8_S8_S8_S8_S8_S8_EEEEZZNS1_29radix_sort_onesweep_iterationIS3_Lb0ENS6_6detail15normal_iteratorINS6_10device_ptrIjEEEESG_NSD_INSE_IS9_EEEESI_jNS0_19identity_decomposerENS1_16block_id_wrapperIjLb1EEEEE10hipError_tT1_PNSt15iterator_traitsISN_E10value_typeET2_T3_PNSO_IST_E10value_typeET4_T5_PSY_SZ_PNS1_23onesweep_lookback_stateEbbT6_jjT7_P12ihipStream_tbENKUlT_T0_SN_SS_E_clISG_PjSI_PS9_EEDaS16_S17_SN_SS_EUlS16_E_NS1_11comp_targetILNS1_3genE8ELNS1_11target_archE1030ELNS1_3gpuE2ELNS1_3repE0EEENS1_47radix_sort_onesweep_sort_config_static_selectorELNS0_4arch9wavefront6targetE0EEEvSN_.num_agpr, 0
	.set _ZN7rocprim17ROCPRIM_400000_NS6detail17trampoline_kernelINS0_14default_configENS1_35radix_sort_onesweep_config_selectorIjN6thrust23THRUST_200600_302600_NS5tupleIffNS6_9null_typeES8_S8_S8_S8_S8_S8_S8_EEEEZZNS1_29radix_sort_onesweep_iterationIS3_Lb0ENS6_6detail15normal_iteratorINS6_10device_ptrIjEEEESG_NSD_INSE_IS9_EEEESI_jNS0_19identity_decomposerENS1_16block_id_wrapperIjLb1EEEEE10hipError_tT1_PNSt15iterator_traitsISN_E10value_typeET2_T3_PNSO_IST_E10value_typeET4_T5_PSY_SZ_PNS1_23onesweep_lookback_stateEbbT6_jjT7_P12ihipStream_tbENKUlT_T0_SN_SS_E_clISG_PjSI_PS9_EEDaS16_S17_SN_SS_EUlS16_E_NS1_11comp_targetILNS1_3genE8ELNS1_11target_archE1030ELNS1_3gpuE2ELNS1_3repE0EEENS1_47radix_sort_onesweep_sort_config_static_selectorELNS0_4arch9wavefront6targetE0EEEvSN_.numbered_sgpr, 38
	.set _ZN7rocprim17ROCPRIM_400000_NS6detail17trampoline_kernelINS0_14default_configENS1_35radix_sort_onesweep_config_selectorIjN6thrust23THRUST_200600_302600_NS5tupleIffNS6_9null_typeES8_S8_S8_S8_S8_S8_S8_EEEEZZNS1_29radix_sort_onesweep_iterationIS3_Lb0ENS6_6detail15normal_iteratorINS6_10device_ptrIjEEEESG_NSD_INSE_IS9_EEEESI_jNS0_19identity_decomposerENS1_16block_id_wrapperIjLb1EEEEE10hipError_tT1_PNSt15iterator_traitsISN_E10value_typeET2_T3_PNSO_IST_E10value_typeET4_T5_PSY_SZ_PNS1_23onesweep_lookback_stateEbbT6_jjT7_P12ihipStream_tbENKUlT_T0_SN_SS_E_clISG_PjSI_PS9_EEDaS16_S17_SN_SS_EUlS16_E_NS1_11comp_targetILNS1_3genE8ELNS1_11target_archE1030ELNS1_3gpuE2ELNS1_3repE0EEENS1_47radix_sort_onesweep_sort_config_static_selectorELNS0_4arch9wavefront6targetE0EEEvSN_.num_named_barrier, 0
	.set _ZN7rocprim17ROCPRIM_400000_NS6detail17trampoline_kernelINS0_14default_configENS1_35radix_sort_onesweep_config_selectorIjN6thrust23THRUST_200600_302600_NS5tupleIffNS6_9null_typeES8_S8_S8_S8_S8_S8_S8_EEEEZZNS1_29radix_sort_onesweep_iterationIS3_Lb0ENS6_6detail15normal_iteratorINS6_10device_ptrIjEEEESG_NSD_INSE_IS9_EEEESI_jNS0_19identity_decomposerENS1_16block_id_wrapperIjLb1EEEEE10hipError_tT1_PNSt15iterator_traitsISN_E10value_typeET2_T3_PNSO_IST_E10value_typeET4_T5_PSY_SZ_PNS1_23onesweep_lookback_stateEbbT6_jjT7_P12ihipStream_tbENKUlT_T0_SN_SS_E_clISG_PjSI_PS9_EEDaS16_S17_SN_SS_EUlS16_E_NS1_11comp_targetILNS1_3genE8ELNS1_11target_archE1030ELNS1_3gpuE2ELNS1_3repE0EEENS1_47radix_sort_onesweep_sort_config_static_selectorELNS0_4arch9wavefront6targetE0EEEvSN_.private_seg_size, 0
	.set _ZN7rocprim17ROCPRIM_400000_NS6detail17trampoline_kernelINS0_14default_configENS1_35radix_sort_onesweep_config_selectorIjN6thrust23THRUST_200600_302600_NS5tupleIffNS6_9null_typeES8_S8_S8_S8_S8_S8_S8_EEEEZZNS1_29radix_sort_onesweep_iterationIS3_Lb0ENS6_6detail15normal_iteratorINS6_10device_ptrIjEEEESG_NSD_INSE_IS9_EEEESI_jNS0_19identity_decomposerENS1_16block_id_wrapperIjLb1EEEEE10hipError_tT1_PNSt15iterator_traitsISN_E10value_typeET2_T3_PNSO_IST_E10value_typeET4_T5_PSY_SZ_PNS1_23onesweep_lookback_stateEbbT6_jjT7_P12ihipStream_tbENKUlT_T0_SN_SS_E_clISG_PjSI_PS9_EEDaS16_S17_SN_SS_EUlS16_E_NS1_11comp_targetILNS1_3genE8ELNS1_11target_archE1030ELNS1_3gpuE2ELNS1_3repE0EEENS1_47radix_sort_onesweep_sort_config_static_selectorELNS0_4arch9wavefront6targetE0EEEvSN_.uses_vcc, 1
	.set _ZN7rocprim17ROCPRIM_400000_NS6detail17trampoline_kernelINS0_14default_configENS1_35radix_sort_onesweep_config_selectorIjN6thrust23THRUST_200600_302600_NS5tupleIffNS6_9null_typeES8_S8_S8_S8_S8_S8_S8_EEEEZZNS1_29radix_sort_onesweep_iterationIS3_Lb0ENS6_6detail15normal_iteratorINS6_10device_ptrIjEEEESG_NSD_INSE_IS9_EEEESI_jNS0_19identity_decomposerENS1_16block_id_wrapperIjLb1EEEEE10hipError_tT1_PNSt15iterator_traitsISN_E10value_typeET2_T3_PNSO_IST_E10value_typeET4_T5_PSY_SZ_PNS1_23onesweep_lookback_stateEbbT6_jjT7_P12ihipStream_tbENKUlT_T0_SN_SS_E_clISG_PjSI_PS9_EEDaS16_S17_SN_SS_EUlS16_E_NS1_11comp_targetILNS1_3genE8ELNS1_11target_archE1030ELNS1_3gpuE2ELNS1_3repE0EEENS1_47radix_sort_onesweep_sort_config_static_selectorELNS0_4arch9wavefront6targetE0EEEvSN_.uses_flat_scratch, 0
	.set _ZN7rocprim17ROCPRIM_400000_NS6detail17trampoline_kernelINS0_14default_configENS1_35radix_sort_onesweep_config_selectorIjN6thrust23THRUST_200600_302600_NS5tupleIffNS6_9null_typeES8_S8_S8_S8_S8_S8_S8_EEEEZZNS1_29radix_sort_onesweep_iterationIS3_Lb0ENS6_6detail15normal_iteratorINS6_10device_ptrIjEEEESG_NSD_INSE_IS9_EEEESI_jNS0_19identity_decomposerENS1_16block_id_wrapperIjLb1EEEEE10hipError_tT1_PNSt15iterator_traitsISN_E10value_typeET2_T3_PNSO_IST_E10value_typeET4_T5_PSY_SZ_PNS1_23onesweep_lookback_stateEbbT6_jjT7_P12ihipStream_tbENKUlT_T0_SN_SS_E_clISG_PjSI_PS9_EEDaS16_S17_SN_SS_EUlS16_E_NS1_11comp_targetILNS1_3genE8ELNS1_11target_archE1030ELNS1_3gpuE2ELNS1_3repE0EEENS1_47radix_sort_onesweep_sort_config_static_selectorELNS0_4arch9wavefront6targetE0EEEvSN_.has_dyn_sized_stack, 0
	.set _ZN7rocprim17ROCPRIM_400000_NS6detail17trampoline_kernelINS0_14default_configENS1_35radix_sort_onesweep_config_selectorIjN6thrust23THRUST_200600_302600_NS5tupleIffNS6_9null_typeES8_S8_S8_S8_S8_S8_S8_EEEEZZNS1_29radix_sort_onesweep_iterationIS3_Lb0ENS6_6detail15normal_iteratorINS6_10device_ptrIjEEEESG_NSD_INSE_IS9_EEEESI_jNS0_19identity_decomposerENS1_16block_id_wrapperIjLb1EEEEE10hipError_tT1_PNSt15iterator_traitsISN_E10value_typeET2_T3_PNSO_IST_E10value_typeET4_T5_PSY_SZ_PNS1_23onesweep_lookback_stateEbbT6_jjT7_P12ihipStream_tbENKUlT_T0_SN_SS_E_clISG_PjSI_PS9_EEDaS16_S17_SN_SS_EUlS16_E_NS1_11comp_targetILNS1_3genE8ELNS1_11target_archE1030ELNS1_3gpuE2ELNS1_3repE0EEENS1_47radix_sort_onesweep_sort_config_static_selectorELNS0_4arch9wavefront6targetE0EEEvSN_.has_recursion, 0
	.set _ZN7rocprim17ROCPRIM_400000_NS6detail17trampoline_kernelINS0_14default_configENS1_35radix_sort_onesweep_config_selectorIjN6thrust23THRUST_200600_302600_NS5tupleIffNS6_9null_typeES8_S8_S8_S8_S8_S8_S8_EEEEZZNS1_29radix_sort_onesweep_iterationIS3_Lb0ENS6_6detail15normal_iteratorINS6_10device_ptrIjEEEESG_NSD_INSE_IS9_EEEESI_jNS0_19identity_decomposerENS1_16block_id_wrapperIjLb1EEEEE10hipError_tT1_PNSt15iterator_traitsISN_E10value_typeET2_T3_PNSO_IST_E10value_typeET4_T5_PSY_SZ_PNS1_23onesweep_lookback_stateEbbT6_jjT7_P12ihipStream_tbENKUlT_T0_SN_SS_E_clISG_PjSI_PS9_EEDaS16_S17_SN_SS_EUlS16_E_NS1_11comp_targetILNS1_3genE8ELNS1_11target_archE1030ELNS1_3gpuE2ELNS1_3repE0EEENS1_47radix_sort_onesweep_sort_config_static_selectorELNS0_4arch9wavefront6targetE0EEEvSN_.has_indirect_call, 0
	.section	.AMDGPU.csdata,"",@progbits
; Kernel info:
; codeLenInByte = 7812
; TotalNumSgprs: 40
; NumVgprs: 35
; ScratchSize: 0
; MemoryBound: 0
; FloatMode: 240
; IeeeMode: 1
; LDSByteSize: 37000 bytes/workgroup (compile time only)
; SGPRBlocks: 0
; VGPRBlocks: 4
; NumSGPRsForWavesPerEU: 40
; NumVGPRsForWavesPerEU: 35
; Occupancy: 16
; WaveLimiterHint : 1
; COMPUTE_PGM_RSRC2:SCRATCH_EN: 0
; COMPUTE_PGM_RSRC2:USER_SGPR: 6
; COMPUTE_PGM_RSRC2:TRAP_HANDLER: 0
; COMPUTE_PGM_RSRC2:TGID_X_EN: 1
; COMPUTE_PGM_RSRC2:TGID_Y_EN: 0
; COMPUTE_PGM_RSRC2:TGID_Z_EN: 0
; COMPUTE_PGM_RSRC2:TIDIG_COMP_CNT: 2
	.section	.text._ZN7rocprim17ROCPRIM_400000_NS6detail17trampoline_kernelINS0_14default_configENS1_35radix_sort_onesweep_config_selectorIjN6thrust23THRUST_200600_302600_NS5tupleIffNS6_9null_typeES8_S8_S8_S8_S8_S8_S8_EEEEZZNS1_29radix_sort_onesweep_iterationIS3_Lb0ENS6_6detail15normal_iteratorINS6_10device_ptrIjEEEESG_NSD_INSE_IS9_EEEESI_jNS0_19identity_decomposerENS1_16block_id_wrapperIjLb1EEEEE10hipError_tT1_PNSt15iterator_traitsISN_E10value_typeET2_T3_PNSO_IST_E10value_typeET4_T5_PSY_SZ_PNS1_23onesweep_lookback_stateEbbT6_jjT7_P12ihipStream_tbENKUlT_T0_SN_SS_E_clIPjSG_PS9_SI_EEDaS16_S17_SN_SS_EUlS16_E_NS1_11comp_targetILNS1_3genE0ELNS1_11target_archE4294967295ELNS1_3gpuE0ELNS1_3repE0EEENS1_47radix_sort_onesweep_sort_config_static_selectorELNS0_4arch9wavefront6targetE0EEEvSN_,"axG",@progbits,_ZN7rocprim17ROCPRIM_400000_NS6detail17trampoline_kernelINS0_14default_configENS1_35radix_sort_onesweep_config_selectorIjN6thrust23THRUST_200600_302600_NS5tupleIffNS6_9null_typeES8_S8_S8_S8_S8_S8_S8_EEEEZZNS1_29radix_sort_onesweep_iterationIS3_Lb0ENS6_6detail15normal_iteratorINS6_10device_ptrIjEEEESG_NSD_INSE_IS9_EEEESI_jNS0_19identity_decomposerENS1_16block_id_wrapperIjLb1EEEEE10hipError_tT1_PNSt15iterator_traitsISN_E10value_typeET2_T3_PNSO_IST_E10value_typeET4_T5_PSY_SZ_PNS1_23onesweep_lookback_stateEbbT6_jjT7_P12ihipStream_tbENKUlT_T0_SN_SS_E_clIPjSG_PS9_SI_EEDaS16_S17_SN_SS_EUlS16_E_NS1_11comp_targetILNS1_3genE0ELNS1_11target_archE4294967295ELNS1_3gpuE0ELNS1_3repE0EEENS1_47radix_sort_onesweep_sort_config_static_selectorELNS0_4arch9wavefront6targetE0EEEvSN_,comdat
	.protected	_ZN7rocprim17ROCPRIM_400000_NS6detail17trampoline_kernelINS0_14default_configENS1_35radix_sort_onesweep_config_selectorIjN6thrust23THRUST_200600_302600_NS5tupleIffNS6_9null_typeES8_S8_S8_S8_S8_S8_S8_EEEEZZNS1_29radix_sort_onesweep_iterationIS3_Lb0ENS6_6detail15normal_iteratorINS6_10device_ptrIjEEEESG_NSD_INSE_IS9_EEEESI_jNS0_19identity_decomposerENS1_16block_id_wrapperIjLb1EEEEE10hipError_tT1_PNSt15iterator_traitsISN_E10value_typeET2_T3_PNSO_IST_E10value_typeET4_T5_PSY_SZ_PNS1_23onesweep_lookback_stateEbbT6_jjT7_P12ihipStream_tbENKUlT_T0_SN_SS_E_clIPjSG_PS9_SI_EEDaS16_S17_SN_SS_EUlS16_E_NS1_11comp_targetILNS1_3genE0ELNS1_11target_archE4294967295ELNS1_3gpuE0ELNS1_3repE0EEENS1_47radix_sort_onesweep_sort_config_static_selectorELNS0_4arch9wavefront6targetE0EEEvSN_ ; -- Begin function _ZN7rocprim17ROCPRIM_400000_NS6detail17trampoline_kernelINS0_14default_configENS1_35radix_sort_onesweep_config_selectorIjN6thrust23THRUST_200600_302600_NS5tupleIffNS6_9null_typeES8_S8_S8_S8_S8_S8_S8_EEEEZZNS1_29radix_sort_onesweep_iterationIS3_Lb0ENS6_6detail15normal_iteratorINS6_10device_ptrIjEEEESG_NSD_INSE_IS9_EEEESI_jNS0_19identity_decomposerENS1_16block_id_wrapperIjLb1EEEEE10hipError_tT1_PNSt15iterator_traitsISN_E10value_typeET2_T3_PNSO_IST_E10value_typeET4_T5_PSY_SZ_PNS1_23onesweep_lookback_stateEbbT6_jjT7_P12ihipStream_tbENKUlT_T0_SN_SS_E_clIPjSG_PS9_SI_EEDaS16_S17_SN_SS_EUlS16_E_NS1_11comp_targetILNS1_3genE0ELNS1_11target_archE4294967295ELNS1_3gpuE0ELNS1_3repE0EEENS1_47radix_sort_onesweep_sort_config_static_selectorELNS0_4arch9wavefront6targetE0EEEvSN_
	.globl	_ZN7rocprim17ROCPRIM_400000_NS6detail17trampoline_kernelINS0_14default_configENS1_35radix_sort_onesweep_config_selectorIjN6thrust23THRUST_200600_302600_NS5tupleIffNS6_9null_typeES8_S8_S8_S8_S8_S8_S8_EEEEZZNS1_29radix_sort_onesweep_iterationIS3_Lb0ENS6_6detail15normal_iteratorINS6_10device_ptrIjEEEESG_NSD_INSE_IS9_EEEESI_jNS0_19identity_decomposerENS1_16block_id_wrapperIjLb1EEEEE10hipError_tT1_PNSt15iterator_traitsISN_E10value_typeET2_T3_PNSO_IST_E10value_typeET4_T5_PSY_SZ_PNS1_23onesweep_lookback_stateEbbT6_jjT7_P12ihipStream_tbENKUlT_T0_SN_SS_E_clIPjSG_PS9_SI_EEDaS16_S17_SN_SS_EUlS16_E_NS1_11comp_targetILNS1_3genE0ELNS1_11target_archE4294967295ELNS1_3gpuE0ELNS1_3repE0EEENS1_47radix_sort_onesweep_sort_config_static_selectorELNS0_4arch9wavefront6targetE0EEEvSN_
	.p2align	8
	.type	_ZN7rocprim17ROCPRIM_400000_NS6detail17trampoline_kernelINS0_14default_configENS1_35radix_sort_onesweep_config_selectorIjN6thrust23THRUST_200600_302600_NS5tupleIffNS6_9null_typeES8_S8_S8_S8_S8_S8_S8_EEEEZZNS1_29radix_sort_onesweep_iterationIS3_Lb0ENS6_6detail15normal_iteratorINS6_10device_ptrIjEEEESG_NSD_INSE_IS9_EEEESI_jNS0_19identity_decomposerENS1_16block_id_wrapperIjLb1EEEEE10hipError_tT1_PNSt15iterator_traitsISN_E10value_typeET2_T3_PNSO_IST_E10value_typeET4_T5_PSY_SZ_PNS1_23onesweep_lookback_stateEbbT6_jjT7_P12ihipStream_tbENKUlT_T0_SN_SS_E_clIPjSG_PS9_SI_EEDaS16_S17_SN_SS_EUlS16_E_NS1_11comp_targetILNS1_3genE0ELNS1_11target_archE4294967295ELNS1_3gpuE0ELNS1_3repE0EEENS1_47radix_sort_onesweep_sort_config_static_selectorELNS0_4arch9wavefront6targetE0EEEvSN_,@function
_ZN7rocprim17ROCPRIM_400000_NS6detail17trampoline_kernelINS0_14default_configENS1_35radix_sort_onesweep_config_selectorIjN6thrust23THRUST_200600_302600_NS5tupleIffNS6_9null_typeES8_S8_S8_S8_S8_S8_S8_EEEEZZNS1_29radix_sort_onesweep_iterationIS3_Lb0ENS6_6detail15normal_iteratorINS6_10device_ptrIjEEEESG_NSD_INSE_IS9_EEEESI_jNS0_19identity_decomposerENS1_16block_id_wrapperIjLb1EEEEE10hipError_tT1_PNSt15iterator_traitsISN_E10value_typeET2_T3_PNSO_IST_E10value_typeET4_T5_PSY_SZ_PNS1_23onesweep_lookback_stateEbbT6_jjT7_P12ihipStream_tbENKUlT_T0_SN_SS_E_clIPjSG_PS9_SI_EEDaS16_S17_SN_SS_EUlS16_E_NS1_11comp_targetILNS1_3genE0ELNS1_11target_archE4294967295ELNS1_3gpuE0ELNS1_3repE0EEENS1_47radix_sort_onesweep_sort_config_static_selectorELNS0_4arch9wavefront6targetE0EEEvSN_: ; @_ZN7rocprim17ROCPRIM_400000_NS6detail17trampoline_kernelINS0_14default_configENS1_35radix_sort_onesweep_config_selectorIjN6thrust23THRUST_200600_302600_NS5tupleIffNS6_9null_typeES8_S8_S8_S8_S8_S8_S8_EEEEZZNS1_29radix_sort_onesweep_iterationIS3_Lb0ENS6_6detail15normal_iteratorINS6_10device_ptrIjEEEESG_NSD_INSE_IS9_EEEESI_jNS0_19identity_decomposerENS1_16block_id_wrapperIjLb1EEEEE10hipError_tT1_PNSt15iterator_traitsISN_E10value_typeET2_T3_PNSO_IST_E10value_typeET4_T5_PSY_SZ_PNS1_23onesweep_lookback_stateEbbT6_jjT7_P12ihipStream_tbENKUlT_T0_SN_SS_E_clIPjSG_PS9_SI_EEDaS16_S17_SN_SS_EUlS16_E_NS1_11comp_targetILNS1_3genE0ELNS1_11target_archE4294967295ELNS1_3gpuE0ELNS1_3repE0EEENS1_47radix_sort_onesweep_sort_config_static_selectorELNS0_4arch9wavefront6targetE0EEEvSN_
; %bb.0:
	.section	.rodata,"a",@progbits
	.p2align	6, 0x0
	.amdhsa_kernel _ZN7rocprim17ROCPRIM_400000_NS6detail17trampoline_kernelINS0_14default_configENS1_35radix_sort_onesweep_config_selectorIjN6thrust23THRUST_200600_302600_NS5tupleIffNS6_9null_typeES8_S8_S8_S8_S8_S8_S8_EEEEZZNS1_29radix_sort_onesweep_iterationIS3_Lb0ENS6_6detail15normal_iteratorINS6_10device_ptrIjEEEESG_NSD_INSE_IS9_EEEESI_jNS0_19identity_decomposerENS1_16block_id_wrapperIjLb1EEEEE10hipError_tT1_PNSt15iterator_traitsISN_E10value_typeET2_T3_PNSO_IST_E10value_typeET4_T5_PSY_SZ_PNS1_23onesweep_lookback_stateEbbT6_jjT7_P12ihipStream_tbENKUlT_T0_SN_SS_E_clIPjSG_PS9_SI_EEDaS16_S17_SN_SS_EUlS16_E_NS1_11comp_targetILNS1_3genE0ELNS1_11target_archE4294967295ELNS1_3gpuE0ELNS1_3repE0EEENS1_47radix_sort_onesweep_sort_config_static_selectorELNS0_4arch9wavefront6targetE0EEEvSN_
		.amdhsa_group_segment_fixed_size 0
		.amdhsa_private_segment_fixed_size 0
		.amdhsa_kernarg_size 88
		.amdhsa_user_sgpr_count 6
		.amdhsa_user_sgpr_private_segment_buffer 1
		.amdhsa_user_sgpr_dispatch_ptr 0
		.amdhsa_user_sgpr_queue_ptr 0
		.amdhsa_user_sgpr_kernarg_segment_ptr 1
		.amdhsa_user_sgpr_dispatch_id 0
		.amdhsa_user_sgpr_flat_scratch_init 0
		.amdhsa_user_sgpr_private_segment_size 0
		.amdhsa_wavefront_size32 1
		.amdhsa_uses_dynamic_stack 0
		.amdhsa_system_sgpr_private_segment_wavefront_offset 0
		.amdhsa_system_sgpr_workgroup_id_x 1
		.amdhsa_system_sgpr_workgroup_id_y 0
		.amdhsa_system_sgpr_workgroup_id_z 0
		.amdhsa_system_sgpr_workgroup_info 0
		.amdhsa_system_vgpr_workitem_id 0
		.amdhsa_next_free_vgpr 1
		.amdhsa_next_free_sgpr 1
		.amdhsa_reserve_vcc 0
		.amdhsa_reserve_flat_scratch 0
		.amdhsa_float_round_mode_32 0
		.amdhsa_float_round_mode_16_64 0
		.amdhsa_float_denorm_mode_32 3
		.amdhsa_float_denorm_mode_16_64 3
		.amdhsa_dx10_clamp 1
		.amdhsa_ieee_mode 1
		.amdhsa_fp16_overflow 0
		.amdhsa_workgroup_processor_mode 1
		.amdhsa_memory_ordered 1
		.amdhsa_forward_progress 1
		.amdhsa_shared_vgpr_count 0
		.amdhsa_exception_fp_ieee_invalid_op 0
		.amdhsa_exception_fp_denorm_src 0
		.amdhsa_exception_fp_ieee_div_zero 0
		.amdhsa_exception_fp_ieee_overflow 0
		.amdhsa_exception_fp_ieee_underflow 0
		.amdhsa_exception_fp_ieee_inexact 0
		.amdhsa_exception_int_div_zero 0
	.end_amdhsa_kernel
	.section	.text._ZN7rocprim17ROCPRIM_400000_NS6detail17trampoline_kernelINS0_14default_configENS1_35radix_sort_onesweep_config_selectorIjN6thrust23THRUST_200600_302600_NS5tupleIffNS6_9null_typeES8_S8_S8_S8_S8_S8_S8_EEEEZZNS1_29radix_sort_onesweep_iterationIS3_Lb0ENS6_6detail15normal_iteratorINS6_10device_ptrIjEEEESG_NSD_INSE_IS9_EEEESI_jNS0_19identity_decomposerENS1_16block_id_wrapperIjLb1EEEEE10hipError_tT1_PNSt15iterator_traitsISN_E10value_typeET2_T3_PNSO_IST_E10value_typeET4_T5_PSY_SZ_PNS1_23onesweep_lookback_stateEbbT6_jjT7_P12ihipStream_tbENKUlT_T0_SN_SS_E_clIPjSG_PS9_SI_EEDaS16_S17_SN_SS_EUlS16_E_NS1_11comp_targetILNS1_3genE0ELNS1_11target_archE4294967295ELNS1_3gpuE0ELNS1_3repE0EEENS1_47radix_sort_onesweep_sort_config_static_selectorELNS0_4arch9wavefront6targetE0EEEvSN_,"axG",@progbits,_ZN7rocprim17ROCPRIM_400000_NS6detail17trampoline_kernelINS0_14default_configENS1_35radix_sort_onesweep_config_selectorIjN6thrust23THRUST_200600_302600_NS5tupleIffNS6_9null_typeES8_S8_S8_S8_S8_S8_S8_EEEEZZNS1_29radix_sort_onesweep_iterationIS3_Lb0ENS6_6detail15normal_iteratorINS6_10device_ptrIjEEEESG_NSD_INSE_IS9_EEEESI_jNS0_19identity_decomposerENS1_16block_id_wrapperIjLb1EEEEE10hipError_tT1_PNSt15iterator_traitsISN_E10value_typeET2_T3_PNSO_IST_E10value_typeET4_T5_PSY_SZ_PNS1_23onesweep_lookback_stateEbbT6_jjT7_P12ihipStream_tbENKUlT_T0_SN_SS_E_clIPjSG_PS9_SI_EEDaS16_S17_SN_SS_EUlS16_E_NS1_11comp_targetILNS1_3genE0ELNS1_11target_archE4294967295ELNS1_3gpuE0ELNS1_3repE0EEENS1_47radix_sort_onesweep_sort_config_static_selectorELNS0_4arch9wavefront6targetE0EEEvSN_,comdat
.Lfunc_end193:
	.size	_ZN7rocprim17ROCPRIM_400000_NS6detail17trampoline_kernelINS0_14default_configENS1_35radix_sort_onesweep_config_selectorIjN6thrust23THRUST_200600_302600_NS5tupleIffNS6_9null_typeES8_S8_S8_S8_S8_S8_S8_EEEEZZNS1_29radix_sort_onesweep_iterationIS3_Lb0ENS6_6detail15normal_iteratorINS6_10device_ptrIjEEEESG_NSD_INSE_IS9_EEEESI_jNS0_19identity_decomposerENS1_16block_id_wrapperIjLb1EEEEE10hipError_tT1_PNSt15iterator_traitsISN_E10value_typeET2_T3_PNSO_IST_E10value_typeET4_T5_PSY_SZ_PNS1_23onesweep_lookback_stateEbbT6_jjT7_P12ihipStream_tbENKUlT_T0_SN_SS_E_clIPjSG_PS9_SI_EEDaS16_S17_SN_SS_EUlS16_E_NS1_11comp_targetILNS1_3genE0ELNS1_11target_archE4294967295ELNS1_3gpuE0ELNS1_3repE0EEENS1_47radix_sort_onesweep_sort_config_static_selectorELNS0_4arch9wavefront6targetE0EEEvSN_, .Lfunc_end193-_ZN7rocprim17ROCPRIM_400000_NS6detail17trampoline_kernelINS0_14default_configENS1_35radix_sort_onesweep_config_selectorIjN6thrust23THRUST_200600_302600_NS5tupleIffNS6_9null_typeES8_S8_S8_S8_S8_S8_S8_EEEEZZNS1_29radix_sort_onesweep_iterationIS3_Lb0ENS6_6detail15normal_iteratorINS6_10device_ptrIjEEEESG_NSD_INSE_IS9_EEEESI_jNS0_19identity_decomposerENS1_16block_id_wrapperIjLb1EEEEE10hipError_tT1_PNSt15iterator_traitsISN_E10value_typeET2_T3_PNSO_IST_E10value_typeET4_T5_PSY_SZ_PNS1_23onesweep_lookback_stateEbbT6_jjT7_P12ihipStream_tbENKUlT_T0_SN_SS_E_clIPjSG_PS9_SI_EEDaS16_S17_SN_SS_EUlS16_E_NS1_11comp_targetILNS1_3genE0ELNS1_11target_archE4294967295ELNS1_3gpuE0ELNS1_3repE0EEENS1_47radix_sort_onesweep_sort_config_static_selectorELNS0_4arch9wavefront6targetE0EEEvSN_
                                        ; -- End function
	.set _ZN7rocprim17ROCPRIM_400000_NS6detail17trampoline_kernelINS0_14default_configENS1_35radix_sort_onesweep_config_selectorIjN6thrust23THRUST_200600_302600_NS5tupleIffNS6_9null_typeES8_S8_S8_S8_S8_S8_S8_EEEEZZNS1_29radix_sort_onesweep_iterationIS3_Lb0ENS6_6detail15normal_iteratorINS6_10device_ptrIjEEEESG_NSD_INSE_IS9_EEEESI_jNS0_19identity_decomposerENS1_16block_id_wrapperIjLb1EEEEE10hipError_tT1_PNSt15iterator_traitsISN_E10value_typeET2_T3_PNSO_IST_E10value_typeET4_T5_PSY_SZ_PNS1_23onesweep_lookback_stateEbbT6_jjT7_P12ihipStream_tbENKUlT_T0_SN_SS_E_clIPjSG_PS9_SI_EEDaS16_S17_SN_SS_EUlS16_E_NS1_11comp_targetILNS1_3genE0ELNS1_11target_archE4294967295ELNS1_3gpuE0ELNS1_3repE0EEENS1_47radix_sort_onesweep_sort_config_static_selectorELNS0_4arch9wavefront6targetE0EEEvSN_.num_vgpr, 0
	.set _ZN7rocprim17ROCPRIM_400000_NS6detail17trampoline_kernelINS0_14default_configENS1_35radix_sort_onesweep_config_selectorIjN6thrust23THRUST_200600_302600_NS5tupleIffNS6_9null_typeES8_S8_S8_S8_S8_S8_S8_EEEEZZNS1_29radix_sort_onesweep_iterationIS3_Lb0ENS6_6detail15normal_iteratorINS6_10device_ptrIjEEEESG_NSD_INSE_IS9_EEEESI_jNS0_19identity_decomposerENS1_16block_id_wrapperIjLb1EEEEE10hipError_tT1_PNSt15iterator_traitsISN_E10value_typeET2_T3_PNSO_IST_E10value_typeET4_T5_PSY_SZ_PNS1_23onesweep_lookback_stateEbbT6_jjT7_P12ihipStream_tbENKUlT_T0_SN_SS_E_clIPjSG_PS9_SI_EEDaS16_S17_SN_SS_EUlS16_E_NS1_11comp_targetILNS1_3genE0ELNS1_11target_archE4294967295ELNS1_3gpuE0ELNS1_3repE0EEENS1_47radix_sort_onesweep_sort_config_static_selectorELNS0_4arch9wavefront6targetE0EEEvSN_.num_agpr, 0
	.set _ZN7rocprim17ROCPRIM_400000_NS6detail17trampoline_kernelINS0_14default_configENS1_35radix_sort_onesweep_config_selectorIjN6thrust23THRUST_200600_302600_NS5tupleIffNS6_9null_typeES8_S8_S8_S8_S8_S8_S8_EEEEZZNS1_29radix_sort_onesweep_iterationIS3_Lb0ENS6_6detail15normal_iteratorINS6_10device_ptrIjEEEESG_NSD_INSE_IS9_EEEESI_jNS0_19identity_decomposerENS1_16block_id_wrapperIjLb1EEEEE10hipError_tT1_PNSt15iterator_traitsISN_E10value_typeET2_T3_PNSO_IST_E10value_typeET4_T5_PSY_SZ_PNS1_23onesweep_lookback_stateEbbT6_jjT7_P12ihipStream_tbENKUlT_T0_SN_SS_E_clIPjSG_PS9_SI_EEDaS16_S17_SN_SS_EUlS16_E_NS1_11comp_targetILNS1_3genE0ELNS1_11target_archE4294967295ELNS1_3gpuE0ELNS1_3repE0EEENS1_47radix_sort_onesweep_sort_config_static_selectorELNS0_4arch9wavefront6targetE0EEEvSN_.numbered_sgpr, 0
	.set _ZN7rocprim17ROCPRIM_400000_NS6detail17trampoline_kernelINS0_14default_configENS1_35radix_sort_onesweep_config_selectorIjN6thrust23THRUST_200600_302600_NS5tupleIffNS6_9null_typeES8_S8_S8_S8_S8_S8_S8_EEEEZZNS1_29radix_sort_onesweep_iterationIS3_Lb0ENS6_6detail15normal_iteratorINS6_10device_ptrIjEEEESG_NSD_INSE_IS9_EEEESI_jNS0_19identity_decomposerENS1_16block_id_wrapperIjLb1EEEEE10hipError_tT1_PNSt15iterator_traitsISN_E10value_typeET2_T3_PNSO_IST_E10value_typeET4_T5_PSY_SZ_PNS1_23onesweep_lookback_stateEbbT6_jjT7_P12ihipStream_tbENKUlT_T0_SN_SS_E_clIPjSG_PS9_SI_EEDaS16_S17_SN_SS_EUlS16_E_NS1_11comp_targetILNS1_3genE0ELNS1_11target_archE4294967295ELNS1_3gpuE0ELNS1_3repE0EEENS1_47radix_sort_onesweep_sort_config_static_selectorELNS0_4arch9wavefront6targetE0EEEvSN_.num_named_barrier, 0
	.set _ZN7rocprim17ROCPRIM_400000_NS6detail17trampoline_kernelINS0_14default_configENS1_35radix_sort_onesweep_config_selectorIjN6thrust23THRUST_200600_302600_NS5tupleIffNS6_9null_typeES8_S8_S8_S8_S8_S8_S8_EEEEZZNS1_29radix_sort_onesweep_iterationIS3_Lb0ENS6_6detail15normal_iteratorINS6_10device_ptrIjEEEESG_NSD_INSE_IS9_EEEESI_jNS0_19identity_decomposerENS1_16block_id_wrapperIjLb1EEEEE10hipError_tT1_PNSt15iterator_traitsISN_E10value_typeET2_T3_PNSO_IST_E10value_typeET4_T5_PSY_SZ_PNS1_23onesweep_lookback_stateEbbT6_jjT7_P12ihipStream_tbENKUlT_T0_SN_SS_E_clIPjSG_PS9_SI_EEDaS16_S17_SN_SS_EUlS16_E_NS1_11comp_targetILNS1_3genE0ELNS1_11target_archE4294967295ELNS1_3gpuE0ELNS1_3repE0EEENS1_47radix_sort_onesweep_sort_config_static_selectorELNS0_4arch9wavefront6targetE0EEEvSN_.private_seg_size, 0
	.set _ZN7rocprim17ROCPRIM_400000_NS6detail17trampoline_kernelINS0_14default_configENS1_35radix_sort_onesweep_config_selectorIjN6thrust23THRUST_200600_302600_NS5tupleIffNS6_9null_typeES8_S8_S8_S8_S8_S8_S8_EEEEZZNS1_29radix_sort_onesweep_iterationIS3_Lb0ENS6_6detail15normal_iteratorINS6_10device_ptrIjEEEESG_NSD_INSE_IS9_EEEESI_jNS0_19identity_decomposerENS1_16block_id_wrapperIjLb1EEEEE10hipError_tT1_PNSt15iterator_traitsISN_E10value_typeET2_T3_PNSO_IST_E10value_typeET4_T5_PSY_SZ_PNS1_23onesweep_lookback_stateEbbT6_jjT7_P12ihipStream_tbENKUlT_T0_SN_SS_E_clIPjSG_PS9_SI_EEDaS16_S17_SN_SS_EUlS16_E_NS1_11comp_targetILNS1_3genE0ELNS1_11target_archE4294967295ELNS1_3gpuE0ELNS1_3repE0EEENS1_47radix_sort_onesweep_sort_config_static_selectorELNS0_4arch9wavefront6targetE0EEEvSN_.uses_vcc, 0
	.set _ZN7rocprim17ROCPRIM_400000_NS6detail17trampoline_kernelINS0_14default_configENS1_35radix_sort_onesweep_config_selectorIjN6thrust23THRUST_200600_302600_NS5tupleIffNS6_9null_typeES8_S8_S8_S8_S8_S8_S8_EEEEZZNS1_29radix_sort_onesweep_iterationIS3_Lb0ENS6_6detail15normal_iteratorINS6_10device_ptrIjEEEESG_NSD_INSE_IS9_EEEESI_jNS0_19identity_decomposerENS1_16block_id_wrapperIjLb1EEEEE10hipError_tT1_PNSt15iterator_traitsISN_E10value_typeET2_T3_PNSO_IST_E10value_typeET4_T5_PSY_SZ_PNS1_23onesweep_lookback_stateEbbT6_jjT7_P12ihipStream_tbENKUlT_T0_SN_SS_E_clIPjSG_PS9_SI_EEDaS16_S17_SN_SS_EUlS16_E_NS1_11comp_targetILNS1_3genE0ELNS1_11target_archE4294967295ELNS1_3gpuE0ELNS1_3repE0EEENS1_47radix_sort_onesweep_sort_config_static_selectorELNS0_4arch9wavefront6targetE0EEEvSN_.uses_flat_scratch, 0
	.set _ZN7rocprim17ROCPRIM_400000_NS6detail17trampoline_kernelINS0_14default_configENS1_35radix_sort_onesweep_config_selectorIjN6thrust23THRUST_200600_302600_NS5tupleIffNS6_9null_typeES8_S8_S8_S8_S8_S8_S8_EEEEZZNS1_29radix_sort_onesweep_iterationIS3_Lb0ENS6_6detail15normal_iteratorINS6_10device_ptrIjEEEESG_NSD_INSE_IS9_EEEESI_jNS0_19identity_decomposerENS1_16block_id_wrapperIjLb1EEEEE10hipError_tT1_PNSt15iterator_traitsISN_E10value_typeET2_T3_PNSO_IST_E10value_typeET4_T5_PSY_SZ_PNS1_23onesweep_lookback_stateEbbT6_jjT7_P12ihipStream_tbENKUlT_T0_SN_SS_E_clIPjSG_PS9_SI_EEDaS16_S17_SN_SS_EUlS16_E_NS1_11comp_targetILNS1_3genE0ELNS1_11target_archE4294967295ELNS1_3gpuE0ELNS1_3repE0EEENS1_47radix_sort_onesweep_sort_config_static_selectorELNS0_4arch9wavefront6targetE0EEEvSN_.has_dyn_sized_stack, 0
	.set _ZN7rocprim17ROCPRIM_400000_NS6detail17trampoline_kernelINS0_14default_configENS1_35radix_sort_onesweep_config_selectorIjN6thrust23THRUST_200600_302600_NS5tupleIffNS6_9null_typeES8_S8_S8_S8_S8_S8_S8_EEEEZZNS1_29radix_sort_onesweep_iterationIS3_Lb0ENS6_6detail15normal_iteratorINS6_10device_ptrIjEEEESG_NSD_INSE_IS9_EEEESI_jNS0_19identity_decomposerENS1_16block_id_wrapperIjLb1EEEEE10hipError_tT1_PNSt15iterator_traitsISN_E10value_typeET2_T3_PNSO_IST_E10value_typeET4_T5_PSY_SZ_PNS1_23onesweep_lookback_stateEbbT6_jjT7_P12ihipStream_tbENKUlT_T0_SN_SS_E_clIPjSG_PS9_SI_EEDaS16_S17_SN_SS_EUlS16_E_NS1_11comp_targetILNS1_3genE0ELNS1_11target_archE4294967295ELNS1_3gpuE0ELNS1_3repE0EEENS1_47radix_sort_onesweep_sort_config_static_selectorELNS0_4arch9wavefront6targetE0EEEvSN_.has_recursion, 0
	.set _ZN7rocprim17ROCPRIM_400000_NS6detail17trampoline_kernelINS0_14default_configENS1_35radix_sort_onesweep_config_selectorIjN6thrust23THRUST_200600_302600_NS5tupleIffNS6_9null_typeES8_S8_S8_S8_S8_S8_S8_EEEEZZNS1_29radix_sort_onesweep_iterationIS3_Lb0ENS6_6detail15normal_iteratorINS6_10device_ptrIjEEEESG_NSD_INSE_IS9_EEEESI_jNS0_19identity_decomposerENS1_16block_id_wrapperIjLb1EEEEE10hipError_tT1_PNSt15iterator_traitsISN_E10value_typeET2_T3_PNSO_IST_E10value_typeET4_T5_PSY_SZ_PNS1_23onesweep_lookback_stateEbbT6_jjT7_P12ihipStream_tbENKUlT_T0_SN_SS_E_clIPjSG_PS9_SI_EEDaS16_S17_SN_SS_EUlS16_E_NS1_11comp_targetILNS1_3genE0ELNS1_11target_archE4294967295ELNS1_3gpuE0ELNS1_3repE0EEENS1_47radix_sort_onesweep_sort_config_static_selectorELNS0_4arch9wavefront6targetE0EEEvSN_.has_indirect_call, 0
	.section	.AMDGPU.csdata,"",@progbits
; Kernel info:
; codeLenInByte = 0
; TotalNumSgprs: 0
; NumVgprs: 0
; ScratchSize: 0
; MemoryBound: 0
; FloatMode: 240
; IeeeMode: 1
; LDSByteSize: 0 bytes/workgroup (compile time only)
; SGPRBlocks: 0
; VGPRBlocks: 0
; NumSGPRsForWavesPerEU: 1
; NumVGPRsForWavesPerEU: 1
; Occupancy: 16
; WaveLimiterHint : 0
; COMPUTE_PGM_RSRC2:SCRATCH_EN: 0
; COMPUTE_PGM_RSRC2:USER_SGPR: 6
; COMPUTE_PGM_RSRC2:TRAP_HANDLER: 0
; COMPUTE_PGM_RSRC2:TGID_X_EN: 1
; COMPUTE_PGM_RSRC2:TGID_Y_EN: 0
; COMPUTE_PGM_RSRC2:TGID_Z_EN: 0
; COMPUTE_PGM_RSRC2:TIDIG_COMP_CNT: 0
	.section	.text._ZN7rocprim17ROCPRIM_400000_NS6detail17trampoline_kernelINS0_14default_configENS1_35radix_sort_onesweep_config_selectorIjN6thrust23THRUST_200600_302600_NS5tupleIffNS6_9null_typeES8_S8_S8_S8_S8_S8_S8_EEEEZZNS1_29radix_sort_onesweep_iterationIS3_Lb0ENS6_6detail15normal_iteratorINS6_10device_ptrIjEEEESG_NSD_INSE_IS9_EEEESI_jNS0_19identity_decomposerENS1_16block_id_wrapperIjLb1EEEEE10hipError_tT1_PNSt15iterator_traitsISN_E10value_typeET2_T3_PNSO_IST_E10value_typeET4_T5_PSY_SZ_PNS1_23onesweep_lookback_stateEbbT6_jjT7_P12ihipStream_tbENKUlT_T0_SN_SS_E_clIPjSG_PS9_SI_EEDaS16_S17_SN_SS_EUlS16_E_NS1_11comp_targetILNS1_3genE6ELNS1_11target_archE950ELNS1_3gpuE13ELNS1_3repE0EEENS1_47radix_sort_onesweep_sort_config_static_selectorELNS0_4arch9wavefront6targetE0EEEvSN_,"axG",@progbits,_ZN7rocprim17ROCPRIM_400000_NS6detail17trampoline_kernelINS0_14default_configENS1_35radix_sort_onesweep_config_selectorIjN6thrust23THRUST_200600_302600_NS5tupleIffNS6_9null_typeES8_S8_S8_S8_S8_S8_S8_EEEEZZNS1_29radix_sort_onesweep_iterationIS3_Lb0ENS6_6detail15normal_iteratorINS6_10device_ptrIjEEEESG_NSD_INSE_IS9_EEEESI_jNS0_19identity_decomposerENS1_16block_id_wrapperIjLb1EEEEE10hipError_tT1_PNSt15iterator_traitsISN_E10value_typeET2_T3_PNSO_IST_E10value_typeET4_T5_PSY_SZ_PNS1_23onesweep_lookback_stateEbbT6_jjT7_P12ihipStream_tbENKUlT_T0_SN_SS_E_clIPjSG_PS9_SI_EEDaS16_S17_SN_SS_EUlS16_E_NS1_11comp_targetILNS1_3genE6ELNS1_11target_archE950ELNS1_3gpuE13ELNS1_3repE0EEENS1_47radix_sort_onesweep_sort_config_static_selectorELNS0_4arch9wavefront6targetE0EEEvSN_,comdat
	.protected	_ZN7rocprim17ROCPRIM_400000_NS6detail17trampoline_kernelINS0_14default_configENS1_35radix_sort_onesweep_config_selectorIjN6thrust23THRUST_200600_302600_NS5tupleIffNS6_9null_typeES8_S8_S8_S8_S8_S8_S8_EEEEZZNS1_29radix_sort_onesweep_iterationIS3_Lb0ENS6_6detail15normal_iteratorINS6_10device_ptrIjEEEESG_NSD_INSE_IS9_EEEESI_jNS0_19identity_decomposerENS1_16block_id_wrapperIjLb1EEEEE10hipError_tT1_PNSt15iterator_traitsISN_E10value_typeET2_T3_PNSO_IST_E10value_typeET4_T5_PSY_SZ_PNS1_23onesweep_lookback_stateEbbT6_jjT7_P12ihipStream_tbENKUlT_T0_SN_SS_E_clIPjSG_PS9_SI_EEDaS16_S17_SN_SS_EUlS16_E_NS1_11comp_targetILNS1_3genE6ELNS1_11target_archE950ELNS1_3gpuE13ELNS1_3repE0EEENS1_47radix_sort_onesweep_sort_config_static_selectorELNS0_4arch9wavefront6targetE0EEEvSN_ ; -- Begin function _ZN7rocprim17ROCPRIM_400000_NS6detail17trampoline_kernelINS0_14default_configENS1_35radix_sort_onesweep_config_selectorIjN6thrust23THRUST_200600_302600_NS5tupleIffNS6_9null_typeES8_S8_S8_S8_S8_S8_S8_EEEEZZNS1_29radix_sort_onesweep_iterationIS3_Lb0ENS6_6detail15normal_iteratorINS6_10device_ptrIjEEEESG_NSD_INSE_IS9_EEEESI_jNS0_19identity_decomposerENS1_16block_id_wrapperIjLb1EEEEE10hipError_tT1_PNSt15iterator_traitsISN_E10value_typeET2_T3_PNSO_IST_E10value_typeET4_T5_PSY_SZ_PNS1_23onesweep_lookback_stateEbbT6_jjT7_P12ihipStream_tbENKUlT_T0_SN_SS_E_clIPjSG_PS9_SI_EEDaS16_S17_SN_SS_EUlS16_E_NS1_11comp_targetILNS1_3genE6ELNS1_11target_archE950ELNS1_3gpuE13ELNS1_3repE0EEENS1_47radix_sort_onesweep_sort_config_static_selectorELNS0_4arch9wavefront6targetE0EEEvSN_
	.globl	_ZN7rocprim17ROCPRIM_400000_NS6detail17trampoline_kernelINS0_14default_configENS1_35radix_sort_onesweep_config_selectorIjN6thrust23THRUST_200600_302600_NS5tupleIffNS6_9null_typeES8_S8_S8_S8_S8_S8_S8_EEEEZZNS1_29radix_sort_onesweep_iterationIS3_Lb0ENS6_6detail15normal_iteratorINS6_10device_ptrIjEEEESG_NSD_INSE_IS9_EEEESI_jNS0_19identity_decomposerENS1_16block_id_wrapperIjLb1EEEEE10hipError_tT1_PNSt15iterator_traitsISN_E10value_typeET2_T3_PNSO_IST_E10value_typeET4_T5_PSY_SZ_PNS1_23onesweep_lookback_stateEbbT6_jjT7_P12ihipStream_tbENKUlT_T0_SN_SS_E_clIPjSG_PS9_SI_EEDaS16_S17_SN_SS_EUlS16_E_NS1_11comp_targetILNS1_3genE6ELNS1_11target_archE950ELNS1_3gpuE13ELNS1_3repE0EEENS1_47radix_sort_onesweep_sort_config_static_selectorELNS0_4arch9wavefront6targetE0EEEvSN_
	.p2align	8
	.type	_ZN7rocprim17ROCPRIM_400000_NS6detail17trampoline_kernelINS0_14default_configENS1_35radix_sort_onesweep_config_selectorIjN6thrust23THRUST_200600_302600_NS5tupleIffNS6_9null_typeES8_S8_S8_S8_S8_S8_S8_EEEEZZNS1_29radix_sort_onesweep_iterationIS3_Lb0ENS6_6detail15normal_iteratorINS6_10device_ptrIjEEEESG_NSD_INSE_IS9_EEEESI_jNS0_19identity_decomposerENS1_16block_id_wrapperIjLb1EEEEE10hipError_tT1_PNSt15iterator_traitsISN_E10value_typeET2_T3_PNSO_IST_E10value_typeET4_T5_PSY_SZ_PNS1_23onesweep_lookback_stateEbbT6_jjT7_P12ihipStream_tbENKUlT_T0_SN_SS_E_clIPjSG_PS9_SI_EEDaS16_S17_SN_SS_EUlS16_E_NS1_11comp_targetILNS1_3genE6ELNS1_11target_archE950ELNS1_3gpuE13ELNS1_3repE0EEENS1_47radix_sort_onesweep_sort_config_static_selectorELNS0_4arch9wavefront6targetE0EEEvSN_,@function
_ZN7rocprim17ROCPRIM_400000_NS6detail17trampoline_kernelINS0_14default_configENS1_35radix_sort_onesweep_config_selectorIjN6thrust23THRUST_200600_302600_NS5tupleIffNS6_9null_typeES8_S8_S8_S8_S8_S8_S8_EEEEZZNS1_29radix_sort_onesweep_iterationIS3_Lb0ENS6_6detail15normal_iteratorINS6_10device_ptrIjEEEESG_NSD_INSE_IS9_EEEESI_jNS0_19identity_decomposerENS1_16block_id_wrapperIjLb1EEEEE10hipError_tT1_PNSt15iterator_traitsISN_E10value_typeET2_T3_PNSO_IST_E10value_typeET4_T5_PSY_SZ_PNS1_23onesweep_lookback_stateEbbT6_jjT7_P12ihipStream_tbENKUlT_T0_SN_SS_E_clIPjSG_PS9_SI_EEDaS16_S17_SN_SS_EUlS16_E_NS1_11comp_targetILNS1_3genE6ELNS1_11target_archE950ELNS1_3gpuE13ELNS1_3repE0EEENS1_47radix_sort_onesweep_sort_config_static_selectorELNS0_4arch9wavefront6targetE0EEEvSN_: ; @_ZN7rocprim17ROCPRIM_400000_NS6detail17trampoline_kernelINS0_14default_configENS1_35radix_sort_onesweep_config_selectorIjN6thrust23THRUST_200600_302600_NS5tupleIffNS6_9null_typeES8_S8_S8_S8_S8_S8_S8_EEEEZZNS1_29radix_sort_onesweep_iterationIS3_Lb0ENS6_6detail15normal_iteratorINS6_10device_ptrIjEEEESG_NSD_INSE_IS9_EEEESI_jNS0_19identity_decomposerENS1_16block_id_wrapperIjLb1EEEEE10hipError_tT1_PNSt15iterator_traitsISN_E10value_typeET2_T3_PNSO_IST_E10value_typeET4_T5_PSY_SZ_PNS1_23onesweep_lookback_stateEbbT6_jjT7_P12ihipStream_tbENKUlT_T0_SN_SS_E_clIPjSG_PS9_SI_EEDaS16_S17_SN_SS_EUlS16_E_NS1_11comp_targetILNS1_3genE6ELNS1_11target_archE950ELNS1_3gpuE13ELNS1_3repE0EEENS1_47radix_sort_onesweep_sort_config_static_selectorELNS0_4arch9wavefront6targetE0EEEvSN_
; %bb.0:
	.section	.rodata,"a",@progbits
	.p2align	6, 0x0
	.amdhsa_kernel _ZN7rocprim17ROCPRIM_400000_NS6detail17trampoline_kernelINS0_14default_configENS1_35radix_sort_onesweep_config_selectorIjN6thrust23THRUST_200600_302600_NS5tupleIffNS6_9null_typeES8_S8_S8_S8_S8_S8_S8_EEEEZZNS1_29radix_sort_onesweep_iterationIS3_Lb0ENS6_6detail15normal_iteratorINS6_10device_ptrIjEEEESG_NSD_INSE_IS9_EEEESI_jNS0_19identity_decomposerENS1_16block_id_wrapperIjLb1EEEEE10hipError_tT1_PNSt15iterator_traitsISN_E10value_typeET2_T3_PNSO_IST_E10value_typeET4_T5_PSY_SZ_PNS1_23onesweep_lookback_stateEbbT6_jjT7_P12ihipStream_tbENKUlT_T0_SN_SS_E_clIPjSG_PS9_SI_EEDaS16_S17_SN_SS_EUlS16_E_NS1_11comp_targetILNS1_3genE6ELNS1_11target_archE950ELNS1_3gpuE13ELNS1_3repE0EEENS1_47radix_sort_onesweep_sort_config_static_selectorELNS0_4arch9wavefront6targetE0EEEvSN_
		.amdhsa_group_segment_fixed_size 0
		.amdhsa_private_segment_fixed_size 0
		.amdhsa_kernarg_size 88
		.amdhsa_user_sgpr_count 6
		.amdhsa_user_sgpr_private_segment_buffer 1
		.amdhsa_user_sgpr_dispatch_ptr 0
		.amdhsa_user_sgpr_queue_ptr 0
		.amdhsa_user_sgpr_kernarg_segment_ptr 1
		.amdhsa_user_sgpr_dispatch_id 0
		.amdhsa_user_sgpr_flat_scratch_init 0
		.amdhsa_user_sgpr_private_segment_size 0
		.amdhsa_wavefront_size32 1
		.amdhsa_uses_dynamic_stack 0
		.amdhsa_system_sgpr_private_segment_wavefront_offset 0
		.amdhsa_system_sgpr_workgroup_id_x 1
		.amdhsa_system_sgpr_workgroup_id_y 0
		.amdhsa_system_sgpr_workgroup_id_z 0
		.amdhsa_system_sgpr_workgroup_info 0
		.amdhsa_system_vgpr_workitem_id 0
		.amdhsa_next_free_vgpr 1
		.amdhsa_next_free_sgpr 1
		.amdhsa_reserve_vcc 0
		.amdhsa_reserve_flat_scratch 0
		.amdhsa_float_round_mode_32 0
		.amdhsa_float_round_mode_16_64 0
		.amdhsa_float_denorm_mode_32 3
		.amdhsa_float_denorm_mode_16_64 3
		.amdhsa_dx10_clamp 1
		.amdhsa_ieee_mode 1
		.amdhsa_fp16_overflow 0
		.amdhsa_workgroup_processor_mode 1
		.amdhsa_memory_ordered 1
		.amdhsa_forward_progress 1
		.amdhsa_shared_vgpr_count 0
		.amdhsa_exception_fp_ieee_invalid_op 0
		.amdhsa_exception_fp_denorm_src 0
		.amdhsa_exception_fp_ieee_div_zero 0
		.amdhsa_exception_fp_ieee_overflow 0
		.amdhsa_exception_fp_ieee_underflow 0
		.amdhsa_exception_fp_ieee_inexact 0
		.amdhsa_exception_int_div_zero 0
	.end_amdhsa_kernel
	.section	.text._ZN7rocprim17ROCPRIM_400000_NS6detail17trampoline_kernelINS0_14default_configENS1_35radix_sort_onesweep_config_selectorIjN6thrust23THRUST_200600_302600_NS5tupleIffNS6_9null_typeES8_S8_S8_S8_S8_S8_S8_EEEEZZNS1_29radix_sort_onesweep_iterationIS3_Lb0ENS6_6detail15normal_iteratorINS6_10device_ptrIjEEEESG_NSD_INSE_IS9_EEEESI_jNS0_19identity_decomposerENS1_16block_id_wrapperIjLb1EEEEE10hipError_tT1_PNSt15iterator_traitsISN_E10value_typeET2_T3_PNSO_IST_E10value_typeET4_T5_PSY_SZ_PNS1_23onesweep_lookback_stateEbbT6_jjT7_P12ihipStream_tbENKUlT_T0_SN_SS_E_clIPjSG_PS9_SI_EEDaS16_S17_SN_SS_EUlS16_E_NS1_11comp_targetILNS1_3genE6ELNS1_11target_archE950ELNS1_3gpuE13ELNS1_3repE0EEENS1_47radix_sort_onesweep_sort_config_static_selectorELNS0_4arch9wavefront6targetE0EEEvSN_,"axG",@progbits,_ZN7rocprim17ROCPRIM_400000_NS6detail17trampoline_kernelINS0_14default_configENS1_35radix_sort_onesweep_config_selectorIjN6thrust23THRUST_200600_302600_NS5tupleIffNS6_9null_typeES8_S8_S8_S8_S8_S8_S8_EEEEZZNS1_29radix_sort_onesweep_iterationIS3_Lb0ENS6_6detail15normal_iteratorINS6_10device_ptrIjEEEESG_NSD_INSE_IS9_EEEESI_jNS0_19identity_decomposerENS1_16block_id_wrapperIjLb1EEEEE10hipError_tT1_PNSt15iterator_traitsISN_E10value_typeET2_T3_PNSO_IST_E10value_typeET4_T5_PSY_SZ_PNS1_23onesweep_lookback_stateEbbT6_jjT7_P12ihipStream_tbENKUlT_T0_SN_SS_E_clIPjSG_PS9_SI_EEDaS16_S17_SN_SS_EUlS16_E_NS1_11comp_targetILNS1_3genE6ELNS1_11target_archE950ELNS1_3gpuE13ELNS1_3repE0EEENS1_47radix_sort_onesweep_sort_config_static_selectorELNS0_4arch9wavefront6targetE0EEEvSN_,comdat
.Lfunc_end194:
	.size	_ZN7rocprim17ROCPRIM_400000_NS6detail17trampoline_kernelINS0_14default_configENS1_35radix_sort_onesweep_config_selectorIjN6thrust23THRUST_200600_302600_NS5tupleIffNS6_9null_typeES8_S8_S8_S8_S8_S8_S8_EEEEZZNS1_29radix_sort_onesweep_iterationIS3_Lb0ENS6_6detail15normal_iteratorINS6_10device_ptrIjEEEESG_NSD_INSE_IS9_EEEESI_jNS0_19identity_decomposerENS1_16block_id_wrapperIjLb1EEEEE10hipError_tT1_PNSt15iterator_traitsISN_E10value_typeET2_T3_PNSO_IST_E10value_typeET4_T5_PSY_SZ_PNS1_23onesweep_lookback_stateEbbT6_jjT7_P12ihipStream_tbENKUlT_T0_SN_SS_E_clIPjSG_PS9_SI_EEDaS16_S17_SN_SS_EUlS16_E_NS1_11comp_targetILNS1_3genE6ELNS1_11target_archE950ELNS1_3gpuE13ELNS1_3repE0EEENS1_47radix_sort_onesweep_sort_config_static_selectorELNS0_4arch9wavefront6targetE0EEEvSN_, .Lfunc_end194-_ZN7rocprim17ROCPRIM_400000_NS6detail17trampoline_kernelINS0_14default_configENS1_35radix_sort_onesweep_config_selectorIjN6thrust23THRUST_200600_302600_NS5tupleIffNS6_9null_typeES8_S8_S8_S8_S8_S8_S8_EEEEZZNS1_29radix_sort_onesweep_iterationIS3_Lb0ENS6_6detail15normal_iteratorINS6_10device_ptrIjEEEESG_NSD_INSE_IS9_EEEESI_jNS0_19identity_decomposerENS1_16block_id_wrapperIjLb1EEEEE10hipError_tT1_PNSt15iterator_traitsISN_E10value_typeET2_T3_PNSO_IST_E10value_typeET4_T5_PSY_SZ_PNS1_23onesweep_lookback_stateEbbT6_jjT7_P12ihipStream_tbENKUlT_T0_SN_SS_E_clIPjSG_PS9_SI_EEDaS16_S17_SN_SS_EUlS16_E_NS1_11comp_targetILNS1_3genE6ELNS1_11target_archE950ELNS1_3gpuE13ELNS1_3repE0EEENS1_47radix_sort_onesweep_sort_config_static_selectorELNS0_4arch9wavefront6targetE0EEEvSN_
                                        ; -- End function
	.set _ZN7rocprim17ROCPRIM_400000_NS6detail17trampoline_kernelINS0_14default_configENS1_35radix_sort_onesweep_config_selectorIjN6thrust23THRUST_200600_302600_NS5tupleIffNS6_9null_typeES8_S8_S8_S8_S8_S8_S8_EEEEZZNS1_29radix_sort_onesweep_iterationIS3_Lb0ENS6_6detail15normal_iteratorINS6_10device_ptrIjEEEESG_NSD_INSE_IS9_EEEESI_jNS0_19identity_decomposerENS1_16block_id_wrapperIjLb1EEEEE10hipError_tT1_PNSt15iterator_traitsISN_E10value_typeET2_T3_PNSO_IST_E10value_typeET4_T5_PSY_SZ_PNS1_23onesweep_lookback_stateEbbT6_jjT7_P12ihipStream_tbENKUlT_T0_SN_SS_E_clIPjSG_PS9_SI_EEDaS16_S17_SN_SS_EUlS16_E_NS1_11comp_targetILNS1_3genE6ELNS1_11target_archE950ELNS1_3gpuE13ELNS1_3repE0EEENS1_47radix_sort_onesweep_sort_config_static_selectorELNS0_4arch9wavefront6targetE0EEEvSN_.num_vgpr, 0
	.set _ZN7rocprim17ROCPRIM_400000_NS6detail17trampoline_kernelINS0_14default_configENS1_35radix_sort_onesweep_config_selectorIjN6thrust23THRUST_200600_302600_NS5tupleIffNS6_9null_typeES8_S8_S8_S8_S8_S8_S8_EEEEZZNS1_29radix_sort_onesweep_iterationIS3_Lb0ENS6_6detail15normal_iteratorINS6_10device_ptrIjEEEESG_NSD_INSE_IS9_EEEESI_jNS0_19identity_decomposerENS1_16block_id_wrapperIjLb1EEEEE10hipError_tT1_PNSt15iterator_traitsISN_E10value_typeET2_T3_PNSO_IST_E10value_typeET4_T5_PSY_SZ_PNS1_23onesweep_lookback_stateEbbT6_jjT7_P12ihipStream_tbENKUlT_T0_SN_SS_E_clIPjSG_PS9_SI_EEDaS16_S17_SN_SS_EUlS16_E_NS1_11comp_targetILNS1_3genE6ELNS1_11target_archE950ELNS1_3gpuE13ELNS1_3repE0EEENS1_47radix_sort_onesweep_sort_config_static_selectorELNS0_4arch9wavefront6targetE0EEEvSN_.num_agpr, 0
	.set _ZN7rocprim17ROCPRIM_400000_NS6detail17trampoline_kernelINS0_14default_configENS1_35radix_sort_onesweep_config_selectorIjN6thrust23THRUST_200600_302600_NS5tupleIffNS6_9null_typeES8_S8_S8_S8_S8_S8_S8_EEEEZZNS1_29radix_sort_onesweep_iterationIS3_Lb0ENS6_6detail15normal_iteratorINS6_10device_ptrIjEEEESG_NSD_INSE_IS9_EEEESI_jNS0_19identity_decomposerENS1_16block_id_wrapperIjLb1EEEEE10hipError_tT1_PNSt15iterator_traitsISN_E10value_typeET2_T3_PNSO_IST_E10value_typeET4_T5_PSY_SZ_PNS1_23onesweep_lookback_stateEbbT6_jjT7_P12ihipStream_tbENKUlT_T0_SN_SS_E_clIPjSG_PS9_SI_EEDaS16_S17_SN_SS_EUlS16_E_NS1_11comp_targetILNS1_3genE6ELNS1_11target_archE950ELNS1_3gpuE13ELNS1_3repE0EEENS1_47radix_sort_onesweep_sort_config_static_selectorELNS0_4arch9wavefront6targetE0EEEvSN_.numbered_sgpr, 0
	.set _ZN7rocprim17ROCPRIM_400000_NS6detail17trampoline_kernelINS0_14default_configENS1_35radix_sort_onesweep_config_selectorIjN6thrust23THRUST_200600_302600_NS5tupleIffNS6_9null_typeES8_S8_S8_S8_S8_S8_S8_EEEEZZNS1_29radix_sort_onesweep_iterationIS3_Lb0ENS6_6detail15normal_iteratorINS6_10device_ptrIjEEEESG_NSD_INSE_IS9_EEEESI_jNS0_19identity_decomposerENS1_16block_id_wrapperIjLb1EEEEE10hipError_tT1_PNSt15iterator_traitsISN_E10value_typeET2_T3_PNSO_IST_E10value_typeET4_T5_PSY_SZ_PNS1_23onesweep_lookback_stateEbbT6_jjT7_P12ihipStream_tbENKUlT_T0_SN_SS_E_clIPjSG_PS9_SI_EEDaS16_S17_SN_SS_EUlS16_E_NS1_11comp_targetILNS1_3genE6ELNS1_11target_archE950ELNS1_3gpuE13ELNS1_3repE0EEENS1_47radix_sort_onesweep_sort_config_static_selectorELNS0_4arch9wavefront6targetE0EEEvSN_.num_named_barrier, 0
	.set _ZN7rocprim17ROCPRIM_400000_NS6detail17trampoline_kernelINS0_14default_configENS1_35radix_sort_onesweep_config_selectorIjN6thrust23THRUST_200600_302600_NS5tupleIffNS6_9null_typeES8_S8_S8_S8_S8_S8_S8_EEEEZZNS1_29radix_sort_onesweep_iterationIS3_Lb0ENS6_6detail15normal_iteratorINS6_10device_ptrIjEEEESG_NSD_INSE_IS9_EEEESI_jNS0_19identity_decomposerENS1_16block_id_wrapperIjLb1EEEEE10hipError_tT1_PNSt15iterator_traitsISN_E10value_typeET2_T3_PNSO_IST_E10value_typeET4_T5_PSY_SZ_PNS1_23onesweep_lookback_stateEbbT6_jjT7_P12ihipStream_tbENKUlT_T0_SN_SS_E_clIPjSG_PS9_SI_EEDaS16_S17_SN_SS_EUlS16_E_NS1_11comp_targetILNS1_3genE6ELNS1_11target_archE950ELNS1_3gpuE13ELNS1_3repE0EEENS1_47radix_sort_onesweep_sort_config_static_selectorELNS0_4arch9wavefront6targetE0EEEvSN_.private_seg_size, 0
	.set _ZN7rocprim17ROCPRIM_400000_NS6detail17trampoline_kernelINS0_14default_configENS1_35radix_sort_onesweep_config_selectorIjN6thrust23THRUST_200600_302600_NS5tupleIffNS6_9null_typeES8_S8_S8_S8_S8_S8_S8_EEEEZZNS1_29radix_sort_onesweep_iterationIS3_Lb0ENS6_6detail15normal_iteratorINS6_10device_ptrIjEEEESG_NSD_INSE_IS9_EEEESI_jNS0_19identity_decomposerENS1_16block_id_wrapperIjLb1EEEEE10hipError_tT1_PNSt15iterator_traitsISN_E10value_typeET2_T3_PNSO_IST_E10value_typeET4_T5_PSY_SZ_PNS1_23onesweep_lookback_stateEbbT6_jjT7_P12ihipStream_tbENKUlT_T0_SN_SS_E_clIPjSG_PS9_SI_EEDaS16_S17_SN_SS_EUlS16_E_NS1_11comp_targetILNS1_3genE6ELNS1_11target_archE950ELNS1_3gpuE13ELNS1_3repE0EEENS1_47radix_sort_onesweep_sort_config_static_selectorELNS0_4arch9wavefront6targetE0EEEvSN_.uses_vcc, 0
	.set _ZN7rocprim17ROCPRIM_400000_NS6detail17trampoline_kernelINS0_14default_configENS1_35radix_sort_onesweep_config_selectorIjN6thrust23THRUST_200600_302600_NS5tupleIffNS6_9null_typeES8_S8_S8_S8_S8_S8_S8_EEEEZZNS1_29radix_sort_onesweep_iterationIS3_Lb0ENS6_6detail15normal_iteratorINS6_10device_ptrIjEEEESG_NSD_INSE_IS9_EEEESI_jNS0_19identity_decomposerENS1_16block_id_wrapperIjLb1EEEEE10hipError_tT1_PNSt15iterator_traitsISN_E10value_typeET2_T3_PNSO_IST_E10value_typeET4_T5_PSY_SZ_PNS1_23onesweep_lookback_stateEbbT6_jjT7_P12ihipStream_tbENKUlT_T0_SN_SS_E_clIPjSG_PS9_SI_EEDaS16_S17_SN_SS_EUlS16_E_NS1_11comp_targetILNS1_3genE6ELNS1_11target_archE950ELNS1_3gpuE13ELNS1_3repE0EEENS1_47radix_sort_onesweep_sort_config_static_selectorELNS0_4arch9wavefront6targetE0EEEvSN_.uses_flat_scratch, 0
	.set _ZN7rocprim17ROCPRIM_400000_NS6detail17trampoline_kernelINS0_14default_configENS1_35radix_sort_onesweep_config_selectorIjN6thrust23THRUST_200600_302600_NS5tupleIffNS6_9null_typeES8_S8_S8_S8_S8_S8_S8_EEEEZZNS1_29radix_sort_onesweep_iterationIS3_Lb0ENS6_6detail15normal_iteratorINS6_10device_ptrIjEEEESG_NSD_INSE_IS9_EEEESI_jNS0_19identity_decomposerENS1_16block_id_wrapperIjLb1EEEEE10hipError_tT1_PNSt15iterator_traitsISN_E10value_typeET2_T3_PNSO_IST_E10value_typeET4_T5_PSY_SZ_PNS1_23onesweep_lookback_stateEbbT6_jjT7_P12ihipStream_tbENKUlT_T0_SN_SS_E_clIPjSG_PS9_SI_EEDaS16_S17_SN_SS_EUlS16_E_NS1_11comp_targetILNS1_3genE6ELNS1_11target_archE950ELNS1_3gpuE13ELNS1_3repE0EEENS1_47radix_sort_onesweep_sort_config_static_selectorELNS0_4arch9wavefront6targetE0EEEvSN_.has_dyn_sized_stack, 0
	.set _ZN7rocprim17ROCPRIM_400000_NS6detail17trampoline_kernelINS0_14default_configENS1_35radix_sort_onesweep_config_selectorIjN6thrust23THRUST_200600_302600_NS5tupleIffNS6_9null_typeES8_S8_S8_S8_S8_S8_S8_EEEEZZNS1_29radix_sort_onesweep_iterationIS3_Lb0ENS6_6detail15normal_iteratorINS6_10device_ptrIjEEEESG_NSD_INSE_IS9_EEEESI_jNS0_19identity_decomposerENS1_16block_id_wrapperIjLb1EEEEE10hipError_tT1_PNSt15iterator_traitsISN_E10value_typeET2_T3_PNSO_IST_E10value_typeET4_T5_PSY_SZ_PNS1_23onesweep_lookback_stateEbbT6_jjT7_P12ihipStream_tbENKUlT_T0_SN_SS_E_clIPjSG_PS9_SI_EEDaS16_S17_SN_SS_EUlS16_E_NS1_11comp_targetILNS1_3genE6ELNS1_11target_archE950ELNS1_3gpuE13ELNS1_3repE0EEENS1_47radix_sort_onesweep_sort_config_static_selectorELNS0_4arch9wavefront6targetE0EEEvSN_.has_recursion, 0
	.set _ZN7rocprim17ROCPRIM_400000_NS6detail17trampoline_kernelINS0_14default_configENS1_35radix_sort_onesweep_config_selectorIjN6thrust23THRUST_200600_302600_NS5tupleIffNS6_9null_typeES8_S8_S8_S8_S8_S8_S8_EEEEZZNS1_29radix_sort_onesweep_iterationIS3_Lb0ENS6_6detail15normal_iteratorINS6_10device_ptrIjEEEESG_NSD_INSE_IS9_EEEESI_jNS0_19identity_decomposerENS1_16block_id_wrapperIjLb1EEEEE10hipError_tT1_PNSt15iterator_traitsISN_E10value_typeET2_T3_PNSO_IST_E10value_typeET4_T5_PSY_SZ_PNS1_23onesweep_lookback_stateEbbT6_jjT7_P12ihipStream_tbENKUlT_T0_SN_SS_E_clIPjSG_PS9_SI_EEDaS16_S17_SN_SS_EUlS16_E_NS1_11comp_targetILNS1_3genE6ELNS1_11target_archE950ELNS1_3gpuE13ELNS1_3repE0EEENS1_47radix_sort_onesweep_sort_config_static_selectorELNS0_4arch9wavefront6targetE0EEEvSN_.has_indirect_call, 0
	.section	.AMDGPU.csdata,"",@progbits
; Kernel info:
; codeLenInByte = 0
; TotalNumSgprs: 0
; NumVgprs: 0
; ScratchSize: 0
; MemoryBound: 0
; FloatMode: 240
; IeeeMode: 1
; LDSByteSize: 0 bytes/workgroup (compile time only)
; SGPRBlocks: 0
; VGPRBlocks: 0
; NumSGPRsForWavesPerEU: 1
; NumVGPRsForWavesPerEU: 1
; Occupancy: 16
; WaveLimiterHint : 0
; COMPUTE_PGM_RSRC2:SCRATCH_EN: 0
; COMPUTE_PGM_RSRC2:USER_SGPR: 6
; COMPUTE_PGM_RSRC2:TRAP_HANDLER: 0
; COMPUTE_PGM_RSRC2:TGID_X_EN: 1
; COMPUTE_PGM_RSRC2:TGID_Y_EN: 0
; COMPUTE_PGM_RSRC2:TGID_Z_EN: 0
; COMPUTE_PGM_RSRC2:TIDIG_COMP_CNT: 0
	.section	.text._ZN7rocprim17ROCPRIM_400000_NS6detail17trampoline_kernelINS0_14default_configENS1_35radix_sort_onesweep_config_selectorIjN6thrust23THRUST_200600_302600_NS5tupleIffNS6_9null_typeES8_S8_S8_S8_S8_S8_S8_EEEEZZNS1_29radix_sort_onesweep_iterationIS3_Lb0ENS6_6detail15normal_iteratorINS6_10device_ptrIjEEEESG_NSD_INSE_IS9_EEEESI_jNS0_19identity_decomposerENS1_16block_id_wrapperIjLb1EEEEE10hipError_tT1_PNSt15iterator_traitsISN_E10value_typeET2_T3_PNSO_IST_E10value_typeET4_T5_PSY_SZ_PNS1_23onesweep_lookback_stateEbbT6_jjT7_P12ihipStream_tbENKUlT_T0_SN_SS_E_clIPjSG_PS9_SI_EEDaS16_S17_SN_SS_EUlS16_E_NS1_11comp_targetILNS1_3genE5ELNS1_11target_archE942ELNS1_3gpuE9ELNS1_3repE0EEENS1_47radix_sort_onesweep_sort_config_static_selectorELNS0_4arch9wavefront6targetE0EEEvSN_,"axG",@progbits,_ZN7rocprim17ROCPRIM_400000_NS6detail17trampoline_kernelINS0_14default_configENS1_35radix_sort_onesweep_config_selectorIjN6thrust23THRUST_200600_302600_NS5tupleIffNS6_9null_typeES8_S8_S8_S8_S8_S8_S8_EEEEZZNS1_29radix_sort_onesweep_iterationIS3_Lb0ENS6_6detail15normal_iteratorINS6_10device_ptrIjEEEESG_NSD_INSE_IS9_EEEESI_jNS0_19identity_decomposerENS1_16block_id_wrapperIjLb1EEEEE10hipError_tT1_PNSt15iterator_traitsISN_E10value_typeET2_T3_PNSO_IST_E10value_typeET4_T5_PSY_SZ_PNS1_23onesweep_lookback_stateEbbT6_jjT7_P12ihipStream_tbENKUlT_T0_SN_SS_E_clIPjSG_PS9_SI_EEDaS16_S17_SN_SS_EUlS16_E_NS1_11comp_targetILNS1_3genE5ELNS1_11target_archE942ELNS1_3gpuE9ELNS1_3repE0EEENS1_47radix_sort_onesweep_sort_config_static_selectorELNS0_4arch9wavefront6targetE0EEEvSN_,comdat
	.protected	_ZN7rocprim17ROCPRIM_400000_NS6detail17trampoline_kernelINS0_14default_configENS1_35radix_sort_onesweep_config_selectorIjN6thrust23THRUST_200600_302600_NS5tupleIffNS6_9null_typeES8_S8_S8_S8_S8_S8_S8_EEEEZZNS1_29radix_sort_onesweep_iterationIS3_Lb0ENS6_6detail15normal_iteratorINS6_10device_ptrIjEEEESG_NSD_INSE_IS9_EEEESI_jNS0_19identity_decomposerENS1_16block_id_wrapperIjLb1EEEEE10hipError_tT1_PNSt15iterator_traitsISN_E10value_typeET2_T3_PNSO_IST_E10value_typeET4_T5_PSY_SZ_PNS1_23onesweep_lookback_stateEbbT6_jjT7_P12ihipStream_tbENKUlT_T0_SN_SS_E_clIPjSG_PS9_SI_EEDaS16_S17_SN_SS_EUlS16_E_NS1_11comp_targetILNS1_3genE5ELNS1_11target_archE942ELNS1_3gpuE9ELNS1_3repE0EEENS1_47radix_sort_onesweep_sort_config_static_selectorELNS0_4arch9wavefront6targetE0EEEvSN_ ; -- Begin function _ZN7rocprim17ROCPRIM_400000_NS6detail17trampoline_kernelINS0_14default_configENS1_35radix_sort_onesweep_config_selectorIjN6thrust23THRUST_200600_302600_NS5tupleIffNS6_9null_typeES8_S8_S8_S8_S8_S8_S8_EEEEZZNS1_29radix_sort_onesweep_iterationIS3_Lb0ENS6_6detail15normal_iteratorINS6_10device_ptrIjEEEESG_NSD_INSE_IS9_EEEESI_jNS0_19identity_decomposerENS1_16block_id_wrapperIjLb1EEEEE10hipError_tT1_PNSt15iterator_traitsISN_E10value_typeET2_T3_PNSO_IST_E10value_typeET4_T5_PSY_SZ_PNS1_23onesweep_lookback_stateEbbT6_jjT7_P12ihipStream_tbENKUlT_T0_SN_SS_E_clIPjSG_PS9_SI_EEDaS16_S17_SN_SS_EUlS16_E_NS1_11comp_targetILNS1_3genE5ELNS1_11target_archE942ELNS1_3gpuE9ELNS1_3repE0EEENS1_47radix_sort_onesweep_sort_config_static_selectorELNS0_4arch9wavefront6targetE0EEEvSN_
	.globl	_ZN7rocprim17ROCPRIM_400000_NS6detail17trampoline_kernelINS0_14default_configENS1_35radix_sort_onesweep_config_selectorIjN6thrust23THRUST_200600_302600_NS5tupleIffNS6_9null_typeES8_S8_S8_S8_S8_S8_S8_EEEEZZNS1_29radix_sort_onesweep_iterationIS3_Lb0ENS6_6detail15normal_iteratorINS6_10device_ptrIjEEEESG_NSD_INSE_IS9_EEEESI_jNS0_19identity_decomposerENS1_16block_id_wrapperIjLb1EEEEE10hipError_tT1_PNSt15iterator_traitsISN_E10value_typeET2_T3_PNSO_IST_E10value_typeET4_T5_PSY_SZ_PNS1_23onesweep_lookback_stateEbbT6_jjT7_P12ihipStream_tbENKUlT_T0_SN_SS_E_clIPjSG_PS9_SI_EEDaS16_S17_SN_SS_EUlS16_E_NS1_11comp_targetILNS1_3genE5ELNS1_11target_archE942ELNS1_3gpuE9ELNS1_3repE0EEENS1_47radix_sort_onesweep_sort_config_static_selectorELNS0_4arch9wavefront6targetE0EEEvSN_
	.p2align	8
	.type	_ZN7rocprim17ROCPRIM_400000_NS6detail17trampoline_kernelINS0_14default_configENS1_35radix_sort_onesweep_config_selectorIjN6thrust23THRUST_200600_302600_NS5tupleIffNS6_9null_typeES8_S8_S8_S8_S8_S8_S8_EEEEZZNS1_29radix_sort_onesweep_iterationIS3_Lb0ENS6_6detail15normal_iteratorINS6_10device_ptrIjEEEESG_NSD_INSE_IS9_EEEESI_jNS0_19identity_decomposerENS1_16block_id_wrapperIjLb1EEEEE10hipError_tT1_PNSt15iterator_traitsISN_E10value_typeET2_T3_PNSO_IST_E10value_typeET4_T5_PSY_SZ_PNS1_23onesweep_lookback_stateEbbT6_jjT7_P12ihipStream_tbENKUlT_T0_SN_SS_E_clIPjSG_PS9_SI_EEDaS16_S17_SN_SS_EUlS16_E_NS1_11comp_targetILNS1_3genE5ELNS1_11target_archE942ELNS1_3gpuE9ELNS1_3repE0EEENS1_47radix_sort_onesweep_sort_config_static_selectorELNS0_4arch9wavefront6targetE0EEEvSN_,@function
_ZN7rocprim17ROCPRIM_400000_NS6detail17trampoline_kernelINS0_14default_configENS1_35radix_sort_onesweep_config_selectorIjN6thrust23THRUST_200600_302600_NS5tupleIffNS6_9null_typeES8_S8_S8_S8_S8_S8_S8_EEEEZZNS1_29radix_sort_onesweep_iterationIS3_Lb0ENS6_6detail15normal_iteratorINS6_10device_ptrIjEEEESG_NSD_INSE_IS9_EEEESI_jNS0_19identity_decomposerENS1_16block_id_wrapperIjLb1EEEEE10hipError_tT1_PNSt15iterator_traitsISN_E10value_typeET2_T3_PNSO_IST_E10value_typeET4_T5_PSY_SZ_PNS1_23onesweep_lookback_stateEbbT6_jjT7_P12ihipStream_tbENKUlT_T0_SN_SS_E_clIPjSG_PS9_SI_EEDaS16_S17_SN_SS_EUlS16_E_NS1_11comp_targetILNS1_3genE5ELNS1_11target_archE942ELNS1_3gpuE9ELNS1_3repE0EEENS1_47radix_sort_onesweep_sort_config_static_selectorELNS0_4arch9wavefront6targetE0EEEvSN_: ; @_ZN7rocprim17ROCPRIM_400000_NS6detail17trampoline_kernelINS0_14default_configENS1_35radix_sort_onesweep_config_selectorIjN6thrust23THRUST_200600_302600_NS5tupleIffNS6_9null_typeES8_S8_S8_S8_S8_S8_S8_EEEEZZNS1_29radix_sort_onesweep_iterationIS3_Lb0ENS6_6detail15normal_iteratorINS6_10device_ptrIjEEEESG_NSD_INSE_IS9_EEEESI_jNS0_19identity_decomposerENS1_16block_id_wrapperIjLb1EEEEE10hipError_tT1_PNSt15iterator_traitsISN_E10value_typeET2_T3_PNSO_IST_E10value_typeET4_T5_PSY_SZ_PNS1_23onesweep_lookback_stateEbbT6_jjT7_P12ihipStream_tbENKUlT_T0_SN_SS_E_clIPjSG_PS9_SI_EEDaS16_S17_SN_SS_EUlS16_E_NS1_11comp_targetILNS1_3genE5ELNS1_11target_archE942ELNS1_3gpuE9ELNS1_3repE0EEENS1_47radix_sort_onesweep_sort_config_static_selectorELNS0_4arch9wavefront6targetE0EEEvSN_
; %bb.0:
	.section	.rodata,"a",@progbits
	.p2align	6, 0x0
	.amdhsa_kernel _ZN7rocprim17ROCPRIM_400000_NS6detail17trampoline_kernelINS0_14default_configENS1_35radix_sort_onesweep_config_selectorIjN6thrust23THRUST_200600_302600_NS5tupleIffNS6_9null_typeES8_S8_S8_S8_S8_S8_S8_EEEEZZNS1_29radix_sort_onesweep_iterationIS3_Lb0ENS6_6detail15normal_iteratorINS6_10device_ptrIjEEEESG_NSD_INSE_IS9_EEEESI_jNS0_19identity_decomposerENS1_16block_id_wrapperIjLb1EEEEE10hipError_tT1_PNSt15iterator_traitsISN_E10value_typeET2_T3_PNSO_IST_E10value_typeET4_T5_PSY_SZ_PNS1_23onesweep_lookback_stateEbbT6_jjT7_P12ihipStream_tbENKUlT_T0_SN_SS_E_clIPjSG_PS9_SI_EEDaS16_S17_SN_SS_EUlS16_E_NS1_11comp_targetILNS1_3genE5ELNS1_11target_archE942ELNS1_3gpuE9ELNS1_3repE0EEENS1_47radix_sort_onesweep_sort_config_static_selectorELNS0_4arch9wavefront6targetE0EEEvSN_
		.amdhsa_group_segment_fixed_size 0
		.amdhsa_private_segment_fixed_size 0
		.amdhsa_kernarg_size 88
		.amdhsa_user_sgpr_count 6
		.amdhsa_user_sgpr_private_segment_buffer 1
		.amdhsa_user_sgpr_dispatch_ptr 0
		.amdhsa_user_sgpr_queue_ptr 0
		.amdhsa_user_sgpr_kernarg_segment_ptr 1
		.amdhsa_user_sgpr_dispatch_id 0
		.amdhsa_user_sgpr_flat_scratch_init 0
		.amdhsa_user_sgpr_private_segment_size 0
		.amdhsa_wavefront_size32 1
		.amdhsa_uses_dynamic_stack 0
		.amdhsa_system_sgpr_private_segment_wavefront_offset 0
		.amdhsa_system_sgpr_workgroup_id_x 1
		.amdhsa_system_sgpr_workgroup_id_y 0
		.amdhsa_system_sgpr_workgroup_id_z 0
		.amdhsa_system_sgpr_workgroup_info 0
		.amdhsa_system_vgpr_workitem_id 0
		.amdhsa_next_free_vgpr 1
		.amdhsa_next_free_sgpr 1
		.amdhsa_reserve_vcc 0
		.amdhsa_reserve_flat_scratch 0
		.amdhsa_float_round_mode_32 0
		.amdhsa_float_round_mode_16_64 0
		.amdhsa_float_denorm_mode_32 3
		.amdhsa_float_denorm_mode_16_64 3
		.amdhsa_dx10_clamp 1
		.amdhsa_ieee_mode 1
		.amdhsa_fp16_overflow 0
		.amdhsa_workgroup_processor_mode 1
		.amdhsa_memory_ordered 1
		.amdhsa_forward_progress 1
		.amdhsa_shared_vgpr_count 0
		.amdhsa_exception_fp_ieee_invalid_op 0
		.amdhsa_exception_fp_denorm_src 0
		.amdhsa_exception_fp_ieee_div_zero 0
		.amdhsa_exception_fp_ieee_overflow 0
		.amdhsa_exception_fp_ieee_underflow 0
		.amdhsa_exception_fp_ieee_inexact 0
		.amdhsa_exception_int_div_zero 0
	.end_amdhsa_kernel
	.section	.text._ZN7rocprim17ROCPRIM_400000_NS6detail17trampoline_kernelINS0_14default_configENS1_35radix_sort_onesweep_config_selectorIjN6thrust23THRUST_200600_302600_NS5tupleIffNS6_9null_typeES8_S8_S8_S8_S8_S8_S8_EEEEZZNS1_29radix_sort_onesweep_iterationIS3_Lb0ENS6_6detail15normal_iteratorINS6_10device_ptrIjEEEESG_NSD_INSE_IS9_EEEESI_jNS0_19identity_decomposerENS1_16block_id_wrapperIjLb1EEEEE10hipError_tT1_PNSt15iterator_traitsISN_E10value_typeET2_T3_PNSO_IST_E10value_typeET4_T5_PSY_SZ_PNS1_23onesweep_lookback_stateEbbT6_jjT7_P12ihipStream_tbENKUlT_T0_SN_SS_E_clIPjSG_PS9_SI_EEDaS16_S17_SN_SS_EUlS16_E_NS1_11comp_targetILNS1_3genE5ELNS1_11target_archE942ELNS1_3gpuE9ELNS1_3repE0EEENS1_47radix_sort_onesweep_sort_config_static_selectorELNS0_4arch9wavefront6targetE0EEEvSN_,"axG",@progbits,_ZN7rocprim17ROCPRIM_400000_NS6detail17trampoline_kernelINS0_14default_configENS1_35radix_sort_onesweep_config_selectorIjN6thrust23THRUST_200600_302600_NS5tupleIffNS6_9null_typeES8_S8_S8_S8_S8_S8_S8_EEEEZZNS1_29radix_sort_onesweep_iterationIS3_Lb0ENS6_6detail15normal_iteratorINS6_10device_ptrIjEEEESG_NSD_INSE_IS9_EEEESI_jNS0_19identity_decomposerENS1_16block_id_wrapperIjLb1EEEEE10hipError_tT1_PNSt15iterator_traitsISN_E10value_typeET2_T3_PNSO_IST_E10value_typeET4_T5_PSY_SZ_PNS1_23onesweep_lookback_stateEbbT6_jjT7_P12ihipStream_tbENKUlT_T0_SN_SS_E_clIPjSG_PS9_SI_EEDaS16_S17_SN_SS_EUlS16_E_NS1_11comp_targetILNS1_3genE5ELNS1_11target_archE942ELNS1_3gpuE9ELNS1_3repE0EEENS1_47radix_sort_onesweep_sort_config_static_selectorELNS0_4arch9wavefront6targetE0EEEvSN_,comdat
.Lfunc_end195:
	.size	_ZN7rocprim17ROCPRIM_400000_NS6detail17trampoline_kernelINS0_14default_configENS1_35radix_sort_onesweep_config_selectorIjN6thrust23THRUST_200600_302600_NS5tupleIffNS6_9null_typeES8_S8_S8_S8_S8_S8_S8_EEEEZZNS1_29radix_sort_onesweep_iterationIS3_Lb0ENS6_6detail15normal_iteratorINS6_10device_ptrIjEEEESG_NSD_INSE_IS9_EEEESI_jNS0_19identity_decomposerENS1_16block_id_wrapperIjLb1EEEEE10hipError_tT1_PNSt15iterator_traitsISN_E10value_typeET2_T3_PNSO_IST_E10value_typeET4_T5_PSY_SZ_PNS1_23onesweep_lookback_stateEbbT6_jjT7_P12ihipStream_tbENKUlT_T0_SN_SS_E_clIPjSG_PS9_SI_EEDaS16_S17_SN_SS_EUlS16_E_NS1_11comp_targetILNS1_3genE5ELNS1_11target_archE942ELNS1_3gpuE9ELNS1_3repE0EEENS1_47radix_sort_onesweep_sort_config_static_selectorELNS0_4arch9wavefront6targetE0EEEvSN_, .Lfunc_end195-_ZN7rocprim17ROCPRIM_400000_NS6detail17trampoline_kernelINS0_14default_configENS1_35radix_sort_onesweep_config_selectorIjN6thrust23THRUST_200600_302600_NS5tupleIffNS6_9null_typeES8_S8_S8_S8_S8_S8_S8_EEEEZZNS1_29radix_sort_onesweep_iterationIS3_Lb0ENS6_6detail15normal_iteratorINS6_10device_ptrIjEEEESG_NSD_INSE_IS9_EEEESI_jNS0_19identity_decomposerENS1_16block_id_wrapperIjLb1EEEEE10hipError_tT1_PNSt15iterator_traitsISN_E10value_typeET2_T3_PNSO_IST_E10value_typeET4_T5_PSY_SZ_PNS1_23onesweep_lookback_stateEbbT6_jjT7_P12ihipStream_tbENKUlT_T0_SN_SS_E_clIPjSG_PS9_SI_EEDaS16_S17_SN_SS_EUlS16_E_NS1_11comp_targetILNS1_3genE5ELNS1_11target_archE942ELNS1_3gpuE9ELNS1_3repE0EEENS1_47radix_sort_onesweep_sort_config_static_selectorELNS0_4arch9wavefront6targetE0EEEvSN_
                                        ; -- End function
	.set _ZN7rocprim17ROCPRIM_400000_NS6detail17trampoline_kernelINS0_14default_configENS1_35radix_sort_onesweep_config_selectorIjN6thrust23THRUST_200600_302600_NS5tupleIffNS6_9null_typeES8_S8_S8_S8_S8_S8_S8_EEEEZZNS1_29radix_sort_onesweep_iterationIS3_Lb0ENS6_6detail15normal_iteratorINS6_10device_ptrIjEEEESG_NSD_INSE_IS9_EEEESI_jNS0_19identity_decomposerENS1_16block_id_wrapperIjLb1EEEEE10hipError_tT1_PNSt15iterator_traitsISN_E10value_typeET2_T3_PNSO_IST_E10value_typeET4_T5_PSY_SZ_PNS1_23onesweep_lookback_stateEbbT6_jjT7_P12ihipStream_tbENKUlT_T0_SN_SS_E_clIPjSG_PS9_SI_EEDaS16_S17_SN_SS_EUlS16_E_NS1_11comp_targetILNS1_3genE5ELNS1_11target_archE942ELNS1_3gpuE9ELNS1_3repE0EEENS1_47radix_sort_onesweep_sort_config_static_selectorELNS0_4arch9wavefront6targetE0EEEvSN_.num_vgpr, 0
	.set _ZN7rocprim17ROCPRIM_400000_NS6detail17trampoline_kernelINS0_14default_configENS1_35radix_sort_onesweep_config_selectorIjN6thrust23THRUST_200600_302600_NS5tupleIffNS6_9null_typeES8_S8_S8_S8_S8_S8_S8_EEEEZZNS1_29radix_sort_onesweep_iterationIS3_Lb0ENS6_6detail15normal_iteratorINS6_10device_ptrIjEEEESG_NSD_INSE_IS9_EEEESI_jNS0_19identity_decomposerENS1_16block_id_wrapperIjLb1EEEEE10hipError_tT1_PNSt15iterator_traitsISN_E10value_typeET2_T3_PNSO_IST_E10value_typeET4_T5_PSY_SZ_PNS1_23onesweep_lookback_stateEbbT6_jjT7_P12ihipStream_tbENKUlT_T0_SN_SS_E_clIPjSG_PS9_SI_EEDaS16_S17_SN_SS_EUlS16_E_NS1_11comp_targetILNS1_3genE5ELNS1_11target_archE942ELNS1_3gpuE9ELNS1_3repE0EEENS1_47radix_sort_onesweep_sort_config_static_selectorELNS0_4arch9wavefront6targetE0EEEvSN_.num_agpr, 0
	.set _ZN7rocprim17ROCPRIM_400000_NS6detail17trampoline_kernelINS0_14default_configENS1_35radix_sort_onesweep_config_selectorIjN6thrust23THRUST_200600_302600_NS5tupleIffNS6_9null_typeES8_S8_S8_S8_S8_S8_S8_EEEEZZNS1_29radix_sort_onesweep_iterationIS3_Lb0ENS6_6detail15normal_iteratorINS6_10device_ptrIjEEEESG_NSD_INSE_IS9_EEEESI_jNS0_19identity_decomposerENS1_16block_id_wrapperIjLb1EEEEE10hipError_tT1_PNSt15iterator_traitsISN_E10value_typeET2_T3_PNSO_IST_E10value_typeET4_T5_PSY_SZ_PNS1_23onesweep_lookback_stateEbbT6_jjT7_P12ihipStream_tbENKUlT_T0_SN_SS_E_clIPjSG_PS9_SI_EEDaS16_S17_SN_SS_EUlS16_E_NS1_11comp_targetILNS1_3genE5ELNS1_11target_archE942ELNS1_3gpuE9ELNS1_3repE0EEENS1_47radix_sort_onesweep_sort_config_static_selectorELNS0_4arch9wavefront6targetE0EEEvSN_.numbered_sgpr, 0
	.set _ZN7rocprim17ROCPRIM_400000_NS6detail17trampoline_kernelINS0_14default_configENS1_35radix_sort_onesweep_config_selectorIjN6thrust23THRUST_200600_302600_NS5tupleIffNS6_9null_typeES8_S8_S8_S8_S8_S8_S8_EEEEZZNS1_29radix_sort_onesweep_iterationIS3_Lb0ENS6_6detail15normal_iteratorINS6_10device_ptrIjEEEESG_NSD_INSE_IS9_EEEESI_jNS0_19identity_decomposerENS1_16block_id_wrapperIjLb1EEEEE10hipError_tT1_PNSt15iterator_traitsISN_E10value_typeET2_T3_PNSO_IST_E10value_typeET4_T5_PSY_SZ_PNS1_23onesweep_lookback_stateEbbT6_jjT7_P12ihipStream_tbENKUlT_T0_SN_SS_E_clIPjSG_PS9_SI_EEDaS16_S17_SN_SS_EUlS16_E_NS1_11comp_targetILNS1_3genE5ELNS1_11target_archE942ELNS1_3gpuE9ELNS1_3repE0EEENS1_47radix_sort_onesweep_sort_config_static_selectorELNS0_4arch9wavefront6targetE0EEEvSN_.num_named_barrier, 0
	.set _ZN7rocprim17ROCPRIM_400000_NS6detail17trampoline_kernelINS0_14default_configENS1_35radix_sort_onesweep_config_selectorIjN6thrust23THRUST_200600_302600_NS5tupleIffNS6_9null_typeES8_S8_S8_S8_S8_S8_S8_EEEEZZNS1_29radix_sort_onesweep_iterationIS3_Lb0ENS6_6detail15normal_iteratorINS6_10device_ptrIjEEEESG_NSD_INSE_IS9_EEEESI_jNS0_19identity_decomposerENS1_16block_id_wrapperIjLb1EEEEE10hipError_tT1_PNSt15iterator_traitsISN_E10value_typeET2_T3_PNSO_IST_E10value_typeET4_T5_PSY_SZ_PNS1_23onesweep_lookback_stateEbbT6_jjT7_P12ihipStream_tbENKUlT_T0_SN_SS_E_clIPjSG_PS9_SI_EEDaS16_S17_SN_SS_EUlS16_E_NS1_11comp_targetILNS1_3genE5ELNS1_11target_archE942ELNS1_3gpuE9ELNS1_3repE0EEENS1_47radix_sort_onesweep_sort_config_static_selectorELNS0_4arch9wavefront6targetE0EEEvSN_.private_seg_size, 0
	.set _ZN7rocprim17ROCPRIM_400000_NS6detail17trampoline_kernelINS0_14default_configENS1_35radix_sort_onesweep_config_selectorIjN6thrust23THRUST_200600_302600_NS5tupleIffNS6_9null_typeES8_S8_S8_S8_S8_S8_S8_EEEEZZNS1_29radix_sort_onesweep_iterationIS3_Lb0ENS6_6detail15normal_iteratorINS6_10device_ptrIjEEEESG_NSD_INSE_IS9_EEEESI_jNS0_19identity_decomposerENS1_16block_id_wrapperIjLb1EEEEE10hipError_tT1_PNSt15iterator_traitsISN_E10value_typeET2_T3_PNSO_IST_E10value_typeET4_T5_PSY_SZ_PNS1_23onesweep_lookback_stateEbbT6_jjT7_P12ihipStream_tbENKUlT_T0_SN_SS_E_clIPjSG_PS9_SI_EEDaS16_S17_SN_SS_EUlS16_E_NS1_11comp_targetILNS1_3genE5ELNS1_11target_archE942ELNS1_3gpuE9ELNS1_3repE0EEENS1_47radix_sort_onesweep_sort_config_static_selectorELNS0_4arch9wavefront6targetE0EEEvSN_.uses_vcc, 0
	.set _ZN7rocprim17ROCPRIM_400000_NS6detail17trampoline_kernelINS0_14default_configENS1_35radix_sort_onesweep_config_selectorIjN6thrust23THRUST_200600_302600_NS5tupleIffNS6_9null_typeES8_S8_S8_S8_S8_S8_S8_EEEEZZNS1_29radix_sort_onesweep_iterationIS3_Lb0ENS6_6detail15normal_iteratorINS6_10device_ptrIjEEEESG_NSD_INSE_IS9_EEEESI_jNS0_19identity_decomposerENS1_16block_id_wrapperIjLb1EEEEE10hipError_tT1_PNSt15iterator_traitsISN_E10value_typeET2_T3_PNSO_IST_E10value_typeET4_T5_PSY_SZ_PNS1_23onesweep_lookback_stateEbbT6_jjT7_P12ihipStream_tbENKUlT_T0_SN_SS_E_clIPjSG_PS9_SI_EEDaS16_S17_SN_SS_EUlS16_E_NS1_11comp_targetILNS1_3genE5ELNS1_11target_archE942ELNS1_3gpuE9ELNS1_3repE0EEENS1_47radix_sort_onesweep_sort_config_static_selectorELNS0_4arch9wavefront6targetE0EEEvSN_.uses_flat_scratch, 0
	.set _ZN7rocprim17ROCPRIM_400000_NS6detail17trampoline_kernelINS0_14default_configENS1_35radix_sort_onesweep_config_selectorIjN6thrust23THRUST_200600_302600_NS5tupleIffNS6_9null_typeES8_S8_S8_S8_S8_S8_S8_EEEEZZNS1_29radix_sort_onesweep_iterationIS3_Lb0ENS6_6detail15normal_iteratorINS6_10device_ptrIjEEEESG_NSD_INSE_IS9_EEEESI_jNS0_19identity_decomposerENS1_16block_id_wrapperIjLb1EEEEE10hipError_tT1_PNSt15iterator_traitsISN_E10value_typeET2_T3_PNSO_IST_E10value_typeET4_T5_PSY_SZ_PNS1_23onesweep_lookback_stateEbbT6_jjT7_P12ihipStream_tbENKUlT_T0_SN_SS_E_clIPjSG_PS9_SI_EEDaS16_S17_SN_SS_EUlS16_E_NS1_11comp_targetILNS1_3genE5ELNS1_11target_archE942ELNS1_3gpuE9ELNS1_3repE0EEENS1_47radix_sort_onesweep_sort_config_static_selectorELNS0_4arch9wavefront6targetE0EEEvSN_.has_dyn_sized_stack, 0
	.set _ZN7rocprim17ROCPRIM_400000_NS6detail17trampoline_kernelINS0_14default_configENS1_35radix_sort_onesweep_config_selectorIjN6thrust23THRUST_200600_302600_NS5tupleIffNS6_9null_typeES8_S8_S8_S8_S8_S8_S8_EEEEZZNS1_29radix_sort_onesweep_iterationIS3_Lb0ENS6_6detail15normal_iteratorINS6_10device_ptrIjEEEESG_NSD_INSE_IS9_EEEESI_jNS0_19identity_decomposerENS1_16block_id_wrapperIjLb1EEEEE10hipError_tT1_PNSt15iterator_traitsISN_E10value_typeET2_T3_PNSO_IST_E10value_typeET4_T5_PSY_SZ_PNS1_23onesweep_lookback_stateEbbT6_jjT7_P12ihipStream_tbENKUlT_T0_SN_SS_E_clIPjSG_PS9_SI_EEDaS16_S17_SN_SS_EUlS16_E_NS1_11comp_targetILNS1_3genE5ELNS1_11target_archE942ELNS1_3gpuE9ELNS1_3repE0EEENS1_47radix_sort_onesweep_sort_config_static_selectorELNS0_4arch9wavefront6targetE0EEEvSN_.has_recursion, 0
	.set _ZN7rocprim17ROCPRIM_400000_NS6detail17trampoline_kernelINS0_14default_configENS1_35radix_sort_onesweep_config_selectorIjN6thrust23THRUST_200600_302600_NS5tupleIffNS6_9null_typeES8_S8_S8_S8_S8_S8_S8_EEEEZZNS1_29radix_sort_onesweep_iterationIS3_Lb0ENS6_6detail15normal_iteratorINS6_10device_ptrIjEEEESG_NSD_INSE_IS9_EEEESI_jNS0_19identity_decomposerENS1_16block_id_wrapperIjLb1EEEEE10hipError_tT1_PNSt15iterator_traitsISN_E10value_typeET2_T3_PNSO_IST_E10value_typeET4_T5_PSY_SZ_PNS1_23onesweep_lookback_stateEbbT6_jjT7_P12ihipStream_tbENKUlT_T0_SN_SS_E_clIPjSG_PS9_SI_EEDaS16_S17_SN_SS_EUlS16_E_NS1_11comp_targetILNS1_3genE5ELNS1_11target_archE942ELNS1_3gpuE9ELNS1_3repE0EEENS1_47radix_sort_onesweep_sort_config_static_selectorELNS0_4arch9wavefront6targetE0EEEvSN_.has_indirect_call, 0
	.section	.AMDGPU.csdata,"",@progbits
; Kernel info:
; codeLenInByte = 0
; TotalNumSgprs: 0
; NumVgprs: 0
; ScratchSize: 0
; MemoryBound: 0
; FloatMode: 240
; IeeeMode: 1
; LDSByteSize: 0 bytes/workgroup (compile time only)
; SGPRBlocks: 0
; VGPRBlocks: 0
; NumSGPRsForWavesPerEU: 1
; NumVGPRsForWavesPerEU: 1
; Occupancy: 16
; WaveLimiterHint : 0
; COMPUTE_PGM_RSRC2:SCRATCH_EN: 0
; COMPUTE_PGM_RSRC2:USER_SGPR: 6
; COMPUTE_PGM_RSRC2:TRAP_HANDLER: 0
; COMPUTE_PGM_RSRC2:TGID_X_EN: 1
; COMPUTE_PGM_RSRC2:TGID_Y_EN: 0
; COMPUTE_PGM_RSRC2:TGID_Z_EN: 0
; COMPUTE_PGM_RSRC2:TIDIG_COMP_CNT: 0
	.section	.text._ZN7rocprim17ROCPRIM_400000_NS6detail17trampoline_kernelINS0_14default_configENS1_35radix_sort_onesweep_config_selectorIjN6thrust23THRUST_200600_302600_NS5tupleIffNS6_9null_typeES8_S8_S8_S8_S8_S8_S8_EEEEZZNS1_29radix_sort_onesweep_iterationIS3_Lb0ENS6_6detail15normal_iteratorINS6_10device_ptrIjEEEESG_NSD_INSE_IS9_EEEESI_jNS0_19identity_decomposerENS1_16block_id_wrapperIjLb1EEEEE10hipError_tT1_PNSt15iterator_traitsISN_E10value_typeET2_T3_PNSO_IST_E10value_typeET4_T5_PSY_SZ_PNS1_23onesweep_lookback_stateEbbT6_jjT7_P12ihipStream_tbENKUlT_T0_SN_SS_E_clIPjSG_PS9_SI_EEDaS16_S17_SN_SS_EUlS16_E_NS1_11comp_targetILNS1_3genE2ELNS1_11target_archE906ELNS1_3gpuE6ELNS1_3repE0EEENS1_47radix_sort_onesweep_sort_config_static_selectorELNS0_4arch9wavefront6targetE0EEEvSN_,"axG",@progbits,_ZN7rocprim17ROCPRIM_400000_NS6detail17trampoline_kernelINS0_14default_configENS1_35radix_sort_onesweep_config_selectorIjN6thrust23THRUST_200600_302600_NS5tupleIffNS6_9null_typeES8_S8_S8_S8_S8_S8_S8_EEEEZZNS1_29radix_sort_onesweep_iterationIS3_Lb0ENS6_6detail15normal_iteratorINS6_10device_ptrIjEEEESG_NSD_INSE_IS9_EEEESI_jNS0_19identity_decomposerENS1_16block_id_wrapperIjLb1EEEEE10hipError_tT1_PNSt15iterator_traitsISN_E10value_typeET2_T3_PNSO_IST_E10value_typeET4_T5_PSY_SZ_PNS1_23onesweep_lookback_stateEbbT6_jjT7_P12ihipStream_tbENKUlT_T0_SN_SS_E_clIPjSG_PS9_SI_EEDaS16_S17_SN_SS_EUlS16_E_NS1_11comp_targetILNS1_3genE2ELNS1_11target_archE906ELNS1_3gpuE6ELNS1_3repE0EEENS1_47radix_sort_onesweep_sort_config_static_selectorELNS0_4arch9wavefront6targetE0EEEvSN_,comdat
	.protected	_ZN7rocprim17ROCPRIM_400000_NS6detail17trampoline_kernelINS0_14default_configENS1_35radix_sort_onesweep_config_selectorIjN6thrust23THRUST_200600_302600_NS5tupleIffNS6_9null_typeES8_S8_S8_S8_S8_S8_S8_EEEEZZNS1_29radix_sort_onesweep_iterationIS3_Lb0ENS6_6detail15normal_iteratorINS6_10device_ptrIjEEEESG_NSD_INSE_IS9_EEEESI_jNS0_19identity_decomposerENS1_16block_id_wrapperIjLb1EEEEE10hipError_tT1_PNSt15iterator_traitsISN_E10value_typeET2_T3_PNSO_IST_E10value_typeET4_T5_PSY_SZ_PNS1_23onesweep_lookback_stateEbbT6_jjT7_P12ihipStream_tbENKUlT_T0_SN_SS_E_clIPjSG_PS9_SI_EEDaS16_S17_SN_SS_EUlS16_E_NS1_11comp_targetILNS1_3genE2ELNS1_11target_archE906ELNS1_3gpuE6ELNS1_3repE0EEENS1_47radix_sort_onesweep_sort_config_static_selectorELNS0_4arch9wavefront6targetE0EEEvSN_ ; -- Begin function _ZN7rocprim17ROCPRIM_400000_NS6detail17trampoline_kernelINS0_14default_configENS1_35radix_sort_onesweep_config_selectorIjN6thrust23THRUST_200600_302600_NS5tupleIffNS6_9null_typeES8_S8_S8_S8_S8_S8_S8_EEEEZZNS1_29radix_sort_onesweep_iterationIS3_Lb0ENS6_6detail15normal_iteratorINS6_10device_ptrIjEEEESG_NSD_INSE_IS9_EEEESI_jNS0_19identity_decomposerENS1_16block_id_wrapperIjLb1EEEEE10hipError_tT1_PNSt15iterator_traitsISN_E10value_typeET2_T3_PNSO_IST_E10value_typeET4_T5_PSY_SZ_PNS1_23onesweep_lookback_stateEbbT6_jjT7_P12ihipStream_tbENKUlT_T0_SN_SS_E_clIPjSG_PS9_SI_EEDaS16_S17_SN_SS_EUlS16_E_NS1_11comp_targetILNS1_3genE2ELNS1_11target_archE906ELNS1_3gpuE6ELNS1_3repE0EEENS1_47radix_sort_onesweep_sort_config_static_selectorELNS0_4arch9wavefront6targetE0EEEvSN_
	.globl	_ZN7rocprim17ROCPRIM_400000_NS6detail17trampoline_kernelINS0_14default_configENS1_35radix_sort_onesweep_config_selectorIjN6thrust23THRUST_200600_302600_NS5tupleIffNS6_9null_typeES8_S8_S8_S8_S8_S8_S8_EEEEZZNS1_29radix_sort_onesweep_iterationIS3_Lb0ENS6_6detail15normal_iteratorINS6_10device_ptrIjEEEESG_NSD_INSE_IS9_EEEESI_jNS0_19identity_decomposerENS1_16block_id_wrapperIjLb1EEEEE10hipError_tT1_PNSt15iterator_traitsISN_E10value_typeET2_T3_PNSO_IST_E10value_typeET4_T5_PSY_SZ_PNS1_23onesweep_lookback_stateEbbT6_jjT7_P12ihipStream_tbENKUlT_T0_SN_SS_E_clIPjSG_PS9_SI_EEDaS16_S17_SN_SS_EUlS16_E_NS1_11comp_targetILNS1_3genE2ELNS1_11target_archE906ELNS1_3gpuE6ELNS1_3repE0EEENS1_47radix_sort_onesweep_sort_config_static_selectorELNS0_4arch9wavefront6targetE0EEEvSN_
	.p2align	8
	.type	_ZN7rocprim17ROCPRIM_400000_NS6detail17trampoline_kernelINS0_14default_configENS1_35radix_sort_onesweep_config_selectorIjN6thrust23THRUST_200600_302600_NS5tupleIffNS6_9null_typeES8_S8_S8_S8_S8_S8_S8_EEEEZZNS1_29radix_sort_onesweep_iterationIS3_Lb0ENS6_6detail15normal_iteratorINS6_10device_ptrIjEEEESG_NSD_INSE_IS9_EEEESI_jNS0_19identity_decomposerENS1_16block_id_wrapperIjLb1EEEEE10hipError_tT1_PNSt15iterator_traitsISN_E10value_typeET2_T3_PNSO_IST_E10value_typeET4_T5_PSY_SZ_PNS1_23onesweep_lookback_stateEbbT6_jjT7_P12ihipStream_tbENKUlT_T0_SN_SS_E_clIPjSG_PS9_SI_EEDaS16_S17_SN_SS_EUlS16_E_NS1_11comp_targetILNS1_3genE2ELNS1_11target_archE906ELNS1_3gpuE6ELNS1_3repE0EEENS1_47radix_sort_onesweep_sort_config_static_selectorELNS0_4arch9wavefront6targetE0EEEvSN_,@function
_ZN7rocprim17ROCPRIM_400000_NS6detail17trampoline_kernelINS0_14default_configENS1_35radix_sort_onesweep_config_selectorIjN6thrust23THRUST_200600_302600_NS5tupleIffNS6_9null_typeES8_S8_S8_S8_S8_S8_S8_EEEEZZNS1_29radix_sort_onesweep_iterationIS3_Lb0ENS6_6detail15normal_iteratorINS6_10device_ptrIjEEEESG_NSD_INSE_IS9_EEEESI_jNS0_19identity_decomposerENS1_16block_id_wrapperIjLb1EEEEE10hipError_tT1_PNSt15iterator_traitsISN_E10value_typeET2_T3_PNSO_IST_E10value_typeET4_T5_PSY_SZ_PNS1_23onesweep_lookback_stateEbbT6_jjT7_P12ihipStream_tbENKUlT_T0_SN_SS_E_clIPjSG_PS9_SI_EEDaS16_S17_SN_SS_EUlS16_E_NS1_11comp_targetILNS1_3genE2ELNS1_11target_archE906ELNS1_3gpuE6ELNS1_3repE0EEENS1_47radix_sort_onesweep_sort_config_static_selectorELNS0_4arch9wavefront6targetE0EEEvSN_: ; @_ZN7rocprim17ROCPRIM_400000_NS6detail17trampoline_kernelINS0_14default_configENS1_35radix_sort_onesweep_config_selectorIjN6thrust23THRUST_200600_302600_NS5tupleIffNS6_9null_typeES8_S8_S8_S8_S8_S8_S8_EEEEZZNS1_29radix_sort_onesweep_iterationIS3_Lb0ENS6_6detail15normal_iteratorINS6_10device_ptrIjEEEESG_NSD_INSE_IS9_EEEESI_jNS0_19identity_decomposerENS1_16block_id_wrapperIjLb1EEEEE10hipError_tT1_PNSt15iterator_traitsISN_E10value_typeET2_T3_PNSO_IST_E10value_typeET4_T5_PSY_SZ_PNS1_23onesweep_lookback_stateEbbT6_jjT7_P12ihipStream_tbENKUlT_T0_SN_SS_E_clIPjSG_PS9_SI_EEDaS16_S17_SN_SS_EUlS16_E_NS1_11comp_targetILNS1_3genE2ELNS1_11target_archE906ELNS1_3gpuE6ELNS1_3repE0EEENS1_47radix_sort_onesweep_sort_config_static_selectorELNS0_4arch9wavefront6targetE0EEEvSN_
; %bb.0:
	.section	.rodata,"a",@progbits
	.p2align	6, 0x0
	.amdhsa_kernel _ZN7rocprim17ROCPRIM_400000_NS6detail17trampoline_kernelINS0_14default_configENS1_35radix_sort_onesweep_config_selectorIjN6thrust23THRUST_200600_302600_NS5tupleIffNS6_9null_typeES8_S8_S8_S8_S8_S8_S8_EEEEZZNS1_29radix_sort_onesweep_iterationIS3_Lb0ENS6_6detail15normal_iteratorINS6_10device_ptrIjEEEESG_NSD_INSE_IS9_EEEESI_jNS0_19identity_decomposerENS1_16block_id_wrapperIjLb1EEEEE10hipError_tT1_PNSt15iterator_traitsISN_E10value_typeET2_T3_PNSO_IST_E10value_typeET4_T5_PSY_SZ_PNS1_23onesweep_lookback_stateEbbT6_jjT7_P12ihipStream_tbENKUlT_T0_SN_SS_E_clIPjSG_PS9_SI_EEDaS16_S17_SN_SS_EUlS16_E_NS1_11comp_targetILNS1_3genE2ELNS1_11target_archE906ELNS1_3gpuE6ELNS1_3repE0EEENS1_47radix_sort_onesweep_sort_config_static_selectorELNS0_4arch9wavefront6targetE0EEEvSN_
		.amdhsa_group_segment_fixed_size 0
		.amdhsa_private_segment_fixed_size 0
		.amdhsa_kernarg_size 88
		.amdhsa_user_sgpr_count 6
		.amdhsa_user_sgpr_private_segment_buffer 1
		.amdhsa_user_sgpr_dispatch_ptr 0
		.amdhsa_user_sgpr_queue_ptr 0
		.amdhsa_user_sgpr_kernarg_segment_ptr 1
		.amdhsa_user_sgpr_dispatch_id 0
		.amdhsa_user_sgpr_flat_scratch_init 0
		.amdhsa_user_sgpr_private_segment_size 0
		.amdhsa_wavefront_size32 1
		.amdhsa_uses_dynamic_stack 0
		.amdhsa_system_sgpr_private_segment_wavefront_offset 0
		.amdhsa_system_sgpr_workgroup_id_x 1
		.amdhsa_system_sgpr_workgroup_id_y 0
		.amdhsa_system_sgpr_workgroup_id_z 0
		.amdhsa_system_sgpr_workgroup_info 0
		.amdhsa_system_vgpr_workitem_id 0
		.amdhsa_next_free_vgpr 1
		.amdhsa_next_free_sgpr 1
		.amdhsa_reserve_vcc 0
		.amdhsa_reserve_flat_scratch 0
		.amdhsa_float_round_mode_32 0
		.amdhsa_float_round_mode_16_64 0
		.amdhsa_float_denorm_mode_32 3
		.amdhsa_float_denorm_mode_16_64 3
		.amdhsa_dx10_clamp 1
		.amdhsa_ieee_mode 1
		.amdhsa_fp16_overflow 0
		.amdhsa_workgroup_processor_mode 1
		.amdhsa_memory_ordered 1
		.amdhsa_forward_progress 1
		.amdhsa_shared_vgpr_count 0
		.amdhsa_exception_fp_ieee_invalid_op 0
		.amdhsa_exception_fp_denorm_src 0
		.amdhsa_exception_fp_ieee_div_zero 0
		.amdhsa_exception_fp_ieee_overflow 0
		.amdhsa_exception_fp_ieee_underflow 0
		.amdhsa_exception_fp_ieee_inexact 0
		.amdhsa_exception_int_div_zero 0
	.end_amdhsa_kernel
	.section	.text._ZN7rocprim17ROCPRIM_400000_NS6detail17trampoline_kernelINS0_14default_configENS1_35radix_sort_onesweep_config_selectorIjN6thrust23THRUST_200600_302600_NS5tupleIffNS6_9null_typeES8_S8_S8_S8_S8_S8_S8_EEEEZZNS1_29radix_sort_onesweep_iterationIS3_Lb0ENS6_6detail15normal_iteratorINS6_10device_ptrIjEEEESG_NSD_INSE_IS9_EEEESI_jNS0_19identity_decomposerENS1_16block_id_wrapperIjLb1EEEEE10hipError_tT1_PNSt15iterator_traitsISN_E10value_typeET2_T3_PNSO_IST_E10value_typeET4_T5_PSY_SZ_PNS1_23onesweep_lookback_stateEbbT6_jjT7_P12ihipStream_tbENKUlT_T0_SN_SS_E_clIPjSG_PS9_SI_EEDaS16_S17_SN_SS_EUlS16_E_NS1_11comp_targetILNS1_3genE2ELNS1_11target_archE906ELNS1_3gpuE6ELNS1_3repE0EEENS1_47radix_sort_onesweep_sort_config_static_selectorELNS0_4arch9wavefront6targetE0EEEvSN_,"axG",@progbits,_ZN7rocprim17ROCPRIM_400000_NS6detail17trampoline_kernelINS0_14default_configENS1_35radix_sort_onesweep_config_selectorIjN6thrust23THRUST_200600_302600_NS5tupleIffNS6_9null_typeES8_S8_S8_S8_S8_S8_S8_EEEEZZNS1_29radix_sort_onesweep_iterationIS3_Lb0ENS6_6detail15normal_iteratorINS6_10device_ptrIjEEEESG_NSD_INSE_IS9_EEEESI_jNS0_19identity_decomposerENS1_16block_id_wrapperIjLb1EEEEE10hipError_tT1_PNSt15iterator_traitsISN_E10value_typeET2_T3_PNSO_IST_E10value_typeET4_T5_PSY_SZ_PNS1_23onesweep_lookback_stateEbbT6_jjT7_P12ihipStream_tbENKUlT_T0_SN_SS_E_clIPjSG_PS9_SI_EEDaS16_S17_SN_SS_EUlS16_E_NS1_11comp_targetILNS1_3genE2ELNS1_11target_archE906ELNS1_3gpuE6ELNS1_3repE0EEENS1_47radix_sort_onesweep_sort_config_static_selectorELNS0_4arch9wavefront6targetE0EEEvSN_,comdat
.Lfunc_end196:
	.size	_ZN7rocprim17ROCPRIM_400000_NS6detail17trampoline_kernelINS0_14default_configENS1_35radix_sort_onesweep_config_selectorIjN6thrust23THRUST_200600_302600_NS5tupleIffNS6_9null_typeES8_S8_S8_S8_S8_S8_S8_EEEEZZNS1_29radix_sort_onesweep_iterationIS3_Lb0ENS6_6detail15normal_iteratorINS6_10device_ptrIjEEEESG_NSD_INSE_IS9_EEEESI_jNS0_19identity_decomposerENS1_16block_id_wrapperIjLb1EEEEE10hipError_tT1_PNSt15iterator_traitsISN_E10value_typeET2_T3_PNSO_IST_E10value_typeET4_T5_PSY_SZ_PNS1_23onesweep_lookback_stateEbbT6_jjT7_P12ihipStream_tbENKUlT_T0_SN_SS_E_clIPjSG_PS9_SI_EEDaS16_S17_SN_SS_EUlS16_E_NS1_11comp_targetILNS1_3genE2ELNS1_11target_archE906ELNS1_3gpuE6ELNS1_3repE0EEENS1_47radix_sort_onesweep_sort_config_static_selectorELNS0_4arch9wavefront6targetE0EEEvSN_, .Lfunc_end196-_ZN7rocprim17ROCPRIM_400000_NS6detail17trampoline_kernelINS0_14default_configENS1_35radix_sort_onesweep_config_selectorIjN6thrust23THRUST_200600_302600_NS5tupleIffNS6_9null_typeES8_S8_S8_S8_S8_S8_S8_EEEEZZNS1_29radix_sort_onesweep_iterationIS3_Lb0ENS6_6detail15normal_iteratorINS6_10device_ptrIjEEEESG_NSD_INSE_IS9_EEEESI_jNS0_19identity_decomposerENS1_16block_id_wrapperIjLb1EEEEE10hipError_tT1_PNSt15iterator_traitsISN_E10value_typeET2_T3_PNSO_IST_E10value_typeET4_T5_PSY_SZ_PNS1_23onesweep_lookback_stateEbbT6_jjT7_P12ihipStream_tbENKUlT_T0_SN_SS_E_clIPjSG_PS9_SI_EEDaS16_S17_SN_SS_EUlS16_E_NS1_11comp_targetILNS1_3genE2ELNS1_11target_archE906ELNS1_3gpuE6ELNS1_3repE0EEENS1_47radix_sort_onesweep_sort_config_static_selectorELNS0_4arch9wavefront6targetE0EEEvSN_
                                        ; -- End function
	.set _ZN7rocprim17ROCPRIM_400000_NS6detail17trampoline_kernelINS0_14default_configENS1_35radix_sort_onesweep_config_selectorIjN6thrust23THRUST_200600_302600_NS5tupleIffNS6_9null_typeES8_S8_S8_S8_S8_S8_S8_EEEEZZNS1_29radix_sort_onesweep_iterationIS3_Lb0ENS6_6detail15normal_iteratorINS6_10device_ptrIjEEEESG_NSD_INSE_IS9_EEEESI_jNS0_19identity_decomposerENS1_16block_id_wrapperIjLb1EEEEE10hipError_tT1_PNSt15iterator_traitsISN_E10value_typeET2_T3_PNSO_IST_E10value_typeET4_T5_PSY_SZ_PNS1_23onesweep_lookback_stateEbbT6_jjT7_P12ihipStream_tbENKUlT_T0_SN_SS_E_clIPjSG_PS9_SI_EEDaS16_S17_SN_SS_EUlS16_E_NS1_11comp_targetILNS1_3genE2ELNS1_11target_archE906ELNS1_3gpuE6ELNS1_3repE0EEENS1_47radix_sort_onesweep_sort_config_static_selectorELNS0_4arch9wavefront6targetE0EEEvSN_.num_vgpr, 0
	.set _ZN7rocprim17ROCPRIM_400000_NS6detail17trampoline_kernelINS0_14default_configENS1_35radix_sort_onesweep_config_selectorIjN6thrust23THRUST_200600_302600_NS5tupleIffNS6_9null_typeES8_S8_S8_S8_S8_S8_S8_EEEEZZNS1_29radix_sort_onesweep_iterationIS3_Lb0ENS6_6detail15normal_iteratorINS6_10device_ptrIjEEEESG_NSD_INSE_IS9_EEEESI_jNS0_19identity_decomposerENS1_16block_id_wrapperIjLb1EEEEE10hipError_tT1_PNSt15iterator_traitsISN_E10value_typeET2_T3_PNSO_IST_E10value_typeET4_T5_PSY_SZ_PNS1_23onesweep_lookback_stateEbbT6_jjT7_P12ihipStream_tbENKUlT_T0_SN_SS_E_clIPjSG_PS9_SI_EEDaS16_S17_SN_SS_EUlS16_E_NS1_11comp_targetILNS1_3genE2ELNS1_11target_archE906ELNS1_3gpuE6ELNS1_3repE0EEENS1_47radix_sort_onesweep_sort_config_static_selectorELNS0_4arch9wavefront6targetE0EEEvSN_.num_agpr, 0
	.set _ZN7rocprim17ROCPRIM_400000_NS6detail17trampoline_kernelINS0_14default_configENS1_35radix_sort_onesweep_config_selectorIjN6thrust23THRUST_200600_302600_NS5tupleIffNS6_9null_typeES8_S8_S8_S8_S8_S8_S8_EEEEZZNS1_29radix_sort_onesweep_iterationIS3_Lb0ENS6_6detail15normal_iteratorINS6_10device_ptrIjEEEESG_NSD_INSE_IS9_EEEESI_jNS0_19identity_decomposerENS1_16block_id_wrapperIjLb1EEEEE10hipError_tT1_PNSt15iterator_traitsISN_E10value_typeET2_T3_PNSO_IST_E10value_typeET4_T5_PSY_SZ_PNS1_23onesweep_lookback_stateEbbT6_jjT7_P12ihipStream_tbENKUlT_T0_SN_SS_E_clIPjSG_PS9_SI_EEDaS16_S17_SN_SS_EUlS16_E_NS1_11comp_targetILNS1_3genE2ELNS1_11target_archE906ELNS1_3gpuE6ELNS1_3repE0EEENS1_47radix_sort_onesweep_sort_config_static_selectorELNS0_4arch9wavefront6targetE0EEEvSN_.numbered_sgpr, 0
	.set _ZN7rocprim17ROCPRIM_400000_NS6detail17trampoline_kernelINS0_14default_configENS1_35radix_sort_onesweep_config_selectorIjN6thrust23THRUST_200600_302600_NS5tupleIffNS6_9null_typeES8_S8_S8_S8_S8_S8_S8_EEEEZZNS1_29radix_sort_onesweep_iterationIS3_Lb0ENS6_6detail15normal_iteratorINS6_10device_ptrIjEEEESG_NSD_INSE_IS9_EEEESI_jNS0_19identity_decomposerENS1_16block_id_wrapperIjLb1EEEEE10hipError_tT1_PNSt15iterator_traitsISN_E10value_typeET2_T3_PNSO_IST_E10value_typeET4_T5_PSY_SZ_PNS1_23onesweep_lookback_stateEbbT6_jjT7_P12ihipStream_tbENKUlT_T0_SN_SS_E_clIPjSG_PS9_SI_EEDaS16_S17_SN_SS_EUlS16_E_NS1_11comp_targetILNS1_3genE2ELNS1_11target_archE906ELNS1_3gpuE6ELNS1_3repE0EEENS1_47radix_sort_onesweep_sort_config_static_selectorELNS0_4arch9wavefront6targetE0EEEvSN_.num_named_barrier, 0
	.set _ZN7rocprim17ROCPRIM_400000_NS6detail17trampoline_kernelINS0_14default_configENS1_35radix_sort_onesweep_config_selectorIjN6thrust23THRUST_200600_302600_NS5tupleIffNS6_9null_typeES8_S8_S8_S8_S8_S8_S8_EEEEZZNS1_29radix_sort_onesweep_iterationIS3_Lb0ENS6_6detail15normal_iteratorINS6_10device_ptrIjEEEESG_NSD_INSE_IS9_EEEESI_jNS0_19identity_decomposerENS1_16block_id_wrapperIjLb1EEEEE10hipError_tT1_PNSt15iterator_traitsISN_E10value_typeET2_T3_PNSO_IST_E10value_typeET4_T5_PSY_SZ_PNS1_23onesweep_lookback_stateEbbT6_jjT7_P12ihipStream_tbENKUlT_T0_SN_SS_E_clIPjSG_PS9_SI_EEDaS16_S17_SN_SS_EUlS16_E_NS1_11comp_targetILNS1_3genE2ELNS1_11target_archE906ELNS1_3gpuE6ELNS1_3repE0EEENS1_47radix_sort_onesweep_sort_config_static_selectorELNS0_4arch9wavefront6targetE0EEEvSN_.private_seg_size, 0
	.set _ZN7rocprim17ROCPRIM_400000_NS6detail17trampoline_kernelINS0_14default_configENS1_35radix_sort_onesweep_config_selectorIjN6thrust23THRUST_200600_302600_NS5tupleIffNS6_9null_typeES8_S8_S8_S8_S8_S8_S8_EEEEZZNS1_29radix_sort_onesweep_iterationIS3_Lb0ENS6_6detail15normal_iteratorINS6_10device_ptrIjEEEESG_NSD_INSE_IS9_EEEESI_jNS0_19identity_decomposerENS1_16block_id_wrapperIjLb1EEEEE10hipError_tT1_PNSt15iterator_traitsISN_E10value_typeET2_T3_PNSO_IST_E10value_typeET4_T5_PSY_SZ_PNS1_23onesweep_lookback_stateEbbT6_jjT7_P12ihipStream_tbENKUlT_T0_SN_SS_E_clIPjSG_PS9_SI_EEDaS16_S17_SN_SS_EUlS16_E_NS1_11comp_targetILNS1_3genE2ELNS1_11target_archE906ELNS1_3gpuE6ELNS1_3repE0EEENS1_47radix_sort_onesweep_sort_config_static_selectorELNS0_4arch9wavefront6targetE0EEEvSN_.uses_vcc, 0
	.set _ZN7rocprim17ROCPRIM_400000_NS6detail17trampoline_kernelINS0_14default_configENS1_35radix_sort_onesweep_config_selectorIjN6thrust23THRUST_200600_302600_NS5tupleIffNS6_9null_typeES8_S8_S8_S8_S8_S8_S8_EEEEZZNS1_29radix_sort_onesweep_iterationIS3_Lb0ENS6_6detail15normal_iteratorINS6_10device_ptrIjEEEESG_NSD_INSE_IS9_EEEESI_jNS0_19identity_decomposerENS1_16block_id_wrapperIjLb1EEEEE10hipError_tT1_PNSt15iterator_traitsISN_E10value_typeET2_T3_PNSO_IST_E10value_typeET4_T5_PSY_SZ_PNS1_23onesweep_lookback_stateEbbT6_jjT7_P12ihipStream_tbENKUlT_T0_SN_SS_E_clIPjSG_PS9_SI_EEDaS16_S17_SN_SS_EUlS16_E_NS1_11comp_targetILNS1_3genE2ELNS1_11target_archE906ELNS1_3gpuE6ELNS1_3repE0EEENS1_47radix_sort_onesweep_sort_config_static_selectorELNS0_4arch9wavefront6targetE0EEEvSN_.uses_flat_scratch, 0
	.set _ZN7rocprim17ROCPRIM_400000_NS6detail17trampoline_kernelINS0_14default_configENS1_35radix_sort_onesweep_config_selectorIjN6thrust23THRUST_200600_302600_NS5tupleIffNS6_9null_typeES8_S8_S8_S8_S8_S8_S8_EEEEZZNS1_29radix_sort_onesweep_iterationIS3_Lb0ENS6_6detail15normal_iteratorINS6_10device_ptrIjEEEESG_NSD_INSE_IS9_EEEESI_jNS0_19identity_decomposerENS1_16block_id_wrapperIjLb1EEEEE10hipError_tT1_PNSt15iterator_traitsISN_E10value_typeET2_T3_PNSO_IST_E10value_typeET4_T5_PSY_SZ_PNS1_23onesweep_lookback_stateEbbT6_jjT7_P12ihipStream_tbENKUlT_T0_SN_SS_E_clIPjSG_PS9_SI_EEDaS16_S17_SN_SS_EUlS16_E_NS1_11comp_targetILNS1_3genE2ELNS1_11target_archE906ELNS1_3gpuE6ELNS1_3repE0EEENS1_47radix_sort_onesweep_sort_config_static_selectorELNS0_4arch9wavefront6targetE0EEEvSN_.has_dyn_sized_stack, 0
	.set _ZN7rocprim17ROCPRIM_400000_NS6detail17trampoline_kernelINS0_14default_configENS1_35radix_sort_onesweep_config_selectorIjN6thrust23THRUST_200600_302600_NS5tupleIffNS6_9null_typeES8_S8_S8_S8_S8_S8_S8_EEEEZZNS1_29radix_sort_onesweep_iterationIS3_Lb0ENS6_6detail15normal_iteratorINS6_10device_ptrIjEEEESG_NSD_INSE_IS9_EEEESI_jNS0_19identity_decomposerENS1_16block_id_wrapperIjLb1EEEEE10hipError_tT1_PNSt15iterator_traitsISN_E10value_typeET2_T3_PNSO_IST_E10value_typeET4_T5_PSY_SZ_PNS1_23onesweep_lookback_stateEbbT6_jjT7_P12ihipStream_tbENKUlT_T0_SN_SS_E_clIPjSG_PS9_SI_EEDaS16_S17_SN_SS_EUlS16_E_NS1_11comp_targetILNS1_3genE2ELNS1_11target_archE906ELNS1_3gpuE6ELNS1_3repE0EEENS1_47radix_sort_onesweep_sort_config_static_selectorELNS0_4arch9wavefront6targetE0EEEvSN_.has_recursion, 0
	.set _ZN7rocprim17ROCPRIM_400000_NS6detail17trampoline_kernelINS0_14default_configENS1_35radix_sort_onesweep_config_selectorIjN6thrust23THRUST_200600_302600_NS5tupleIffNS6_9null_typeES8_S8_S8_S8_S8_S8_S8_EEEEZZNS1_29radix_sort_onesweep_iterationIS3_Lb0ENS6_6detail15normal_iteratorINS6_10device_ptrIjEEEESG_NSD_INSE_IS9_EEEESI_jNS0_19identity_decomposerENS1_16block_id_wrapperIjLb1EEEEE10hipError_tT1_PNSt15iterator_traitsISN_E10value_typeET2_T3_PNSO_IST_E10value_typeET4_T5_PSY_SZ_PNS1_23onesweep_lookback_stateEbbT6_jjT7_P12ihipStream_tbENKUlT_T0_SN_SS_E_clIPjSG_PS9_SI_EEDaS16_S17_SN_SS_EUlS16_E_NS1_11comp_targetILNS1_3genE2ELNS1_11target_archE906ELNS1_3gpuE6ELNS1_3repE0EEENS1_47radix_sort_onesweep_sort_config_static_selectorELNS0_4arch9wavefront6targetE0EEEvSN_.has_indirect_call, 0
	.section	.AMDGPU.csdata,"",@progbits
; Kernel info:
; codeLenInByte = 0
; TotalNumSgprs: 0
; NumVgprs: 0
; ScratchSize: 0
; MemoryBound: 0
; FloatMode: 240
; IeeeMode: 1
; LDSByteSize: 0 bytes/workgroup (compile time only)
; SGPRBlocks: 0
; VGPRBlocks: 0
; NumSGPRsForWavesPerEU: 1
; NumVGPRsForWavesPerEU: 1
; Occupancy: 16
; WaveLimiterHint : 0
; COMPUTE_PGM_RSRC2:SCRATCH_EN: 0
; COMPUTE_PGM_RSRC2:USER_SGPR: 6
; COMPUTE_PGM_RSRC2:TRAP_HANDLER: 0
; COMPUTE_PGM_RSRC2:TGID_X_EN: 1
; COMPUTE_PGM_RSRC2:TGID_Y_EN: 0
; COMPUTE_PGM_RSRC2:TGID_Z_EN: 0
; COMPUTE_PGM_RSRC2:TIDIG_COMP_CNT: 0
	.section	.text._ZN7rocprim17ROCPRIM_400000_NS6detail17trampoline_kernelINS0_14default_configENS1_35radix_sort_onesweep_config_selectorIjN6thrust23THRUST_200600_302600_NS5tupleIffNS6_9null_typeES8_S8_S8_S8_S8_S8_S8_EEEEZZNS1_29radix_sort_onesweep_iterationIS3_Lb0ENS6_6detail15normal_iteratorINS6_10device_ptrIjEEEESG_NSD_INSE_IS9_EEEESI_jNS0_19identity_decomposerENS1_16block_id_wrapperIjLb1EEEEE10hipError_tT1_PNSt15iterator_traitsISN_E10value_typeET2_T3_PNSO_IST_E10value_typeET4_T5_PSY_SZ_PNS1_23onesweep_lookback_stateEbbT6_jjT7_P12ihipStream_tbENKUlT_T0_SN_SS_E_clIPjSG_PS9_SI_EEDaS16_S17_SN_SS_EUlS16_E_NS1_11comp_targetILNS1_3genE4ELNS1_11target_archE910ELNS1_3gpuE8ELNS1_3repE0EEENS1_47radix_sort_onesweep_sort_config_static_selectorELNS0_4arch9wavefront6targetE0EEEvSN_,"axG",@progbits,_ZN7rocprim17ROCPRIM_400000_NS6detail17trampoline_kernelINS0_14default_configENS1_35radix_sort_onesweep_config_selectorIjN6thrust23THRUST_200600_302600_NS5tupleIffNS6_9null_typeES8_S8_S8_S8_S8_S8_S8_EEEEZZNS1_29radix_sort_onesweep_iterationIS3_Lb0ENS6_6detail15normal_iteratorINS6_10device_ptrIjEEEESG_NSD_INSE_IS9_EEEESI_jNS0_19identity_decomposerENS1_16block_id_wrapperIjLb1EEEEE10hipError_tT1_PNSt15iterator_traitsISN_E10value_typeET2_T3_PNSO_IST_E10value_typeET4_T5_PSY_SZ_PNS1_23onesweep_lookback_stateEbbT6_jjT7_P12ihipStream_tbENKUlT_T0_SN_SS_E_clIPjSG_PS9_SI_EEDaS16_S17_SN_SS_EUlS16_E_NS1_11comp_targetILNS1_3genE4ELNS1_11target_archE910ELNS1_3gpuE8ELNS1_3repE0EEENS1_47radix_sort_onesweep_sort_config_static_selectorELNS0_4arch9wavefront6targetE0EEEvSN_,comdat
	.protected	_ZN7rocprim17ROCPRIM_400000_NS6detail17trampoline_kernelINS0_14default_configENS1_35radix_sort_onesweep_config_selectorIjN6thrust23THRUST_200600_302600_NS5tupleIffNS6_9null_typeES8_S8_S8_S8_S8_S8_S8_EEEEZZNS1_29radix_sort_onesweep_iterationIS3_Lb0ENS6_6detail15normal_iteratorINS6_10device_ptrIjEEEESG_NSD_INSE_IS9_EEEESI_jNS0_19identity_decomposerENS1_16block_id_wrapperIjLb1EEEEE10hipError_tT1_PNSt15iterator_traitsISN_E10value_typeET2_T3_PNSO_IST_E10value_typeET4_T5_PSY_SZ_PNS1_23onesweep_lookback_stateEbbT6_jjT7_P12ihipStream_tbENKUlT_T0_SN_SS_E_clIPjSG_PS9_SI_EEDaS16_S17_SN_SS_EUlS16_E_NS1_11comp_targetILNS1_3genE4ELNS1_11target_archE910ELNS1_3gpuE8ELNS1_3repE0EEENS1_47radix_sort_onesweep_sort_config_static_selectorELNS0_4arch9wavefront6targetE0EEEvSN_ ; -- Begin function _ZN7rocprim17ROCPRIM_400000_NS6detail17trampoline_kernelINS0_14default_configENS1_35radix_sort_onesweep_config_selectorIjN6thrust23THRUST_200600_302600_NS5tupleIffNS6_9null_typeES8_S8_S8_S8_S8_S8_S8_EEEEZZNS1_29radix_sort_onesweep_iterationIS3_Lb0ENS6_6detail15normal_iteratorINS6_10device_ptrIjEEEESG_NSD_INSE_IS9_EEEESI_jNS0_19identity_decomposerENS1_16block_id_wrapperIjLb1EEEEE10hipError_tT1_PNSt15iterator_traitsISN_E10value_typeET2_T3_PNSO_IST_E10value_typeET4_T5_PSY_SZ_PNS1_23onesweep_lookback_stateEbbT6_jjT7_P12ihipStream_tbENKUlT_T0_SN_SS_E_clIPjSG_PS9_SI_EEDaS16_S17_SN_SS_EUlS16_E_NS1_11comp_targetILNS1_3genE4ELNS1_11target_archE910ELNS1_3gpuE8ELNS1_3repE0EEENS1_47radix_sort_onesweep_sort_config_static_selectorELNS0_4arch9wavefront6targetE0EEEvSN_
	.globl	_ZN7rocprim17ROCPRIM_400000_NS6detail17trampoline_kernelINS0_14default_configENS1_35radix_sort_onesweep_config_selectorIjN6thrust23THRUST_200600_302600_NS5tupleIffNS6_9null_typeES8_S8_S8_S8_S8_S8_S8_EEEEZZNS1_29radix_sort_onesweep_iterationIS3_Lb0ENS6_6detail15normal_iteratorINS6_10device_ptrIjEEEESG_NSD_INSE_IS9_EEEESI_jNS0_19identity_decomposerENS1_16block_id_wrapperIjLb1EEEEE10hipError_tT1_PNSt15iterator_traitsISN_E10value_typeET2_T3_PNSO_IST_E10value_typeET4_T5_PSY_SZ_PNS1_23onesweep_lookback_stateEbbT6_jjT7_P12ihipStream_tbENKUlT_T0_SN_SS_E_clIPjSG_PS9_SI_EEDaS16_S17_SN_SS_EUlS16_E_NS1_11comp_targetILNS1_3genE4ELNS1_11target_archE910ELNS1_3gpuE8ELNS1_3repE0EEENS1_47radix_sort_onesweep_sort_config_static_selectorELNS0_4arch9wavefront6targetE0EEEvSN_
	.p2align	8
	.type	_ZN7rocprim17ROCPRIM_400000_NS6detail17trampoline_kernelINS0_14default_configENS1_35radix_sort_onesweep_config_selectorIjN6thrust23THRUST_200600_302600_NS5tupleIffNS6_9null_typeES8_S8_S8_S8_S8_S8_S8_EEEEZZNS1_29radix_sort_onesweep_iterationIS3_Lb0ENS6_6detail15normal_iteratorINS6_10device_ptrIjEEEESG_NSD_INSE_IS9_EEEESI_jNS0_19identity_decomposerENS1_16block_id_wrapperIjLb1EEEEE10hipError_tT1_PNSt15iterator_traitsISN_E10value_typeET2_T3_PNSO_IST_E10value_typeET4_T5_PSY_SZ_PNS1_23onesweep_lookback_stateEbbT6_jjT7_P12ihipStream_tbENKUlT_T0_SN_SS_E_clIPjSG_PS9_SI_EEDaS16_S17_SN_SS_EUlS16_E_NS1_11comp_targetILNS1_3genE4ELNS1_11target_archE910ELNS1_3gpuE8ELNS1_3repE0EEENS1_47radix_sort_onesweep_sort_config_static_selectorELNS0_4arch9wavefront6targetE0EEEvSN_,@function
_ZN7rocprim17ROCPRIM_400000_NS6detail17trampoline_kernelINS0_14default_configENS1_35radix_sort_onesweep_config_selectorIjN6thrust23THRUST_200600_302600_NS5tupleIffNS6_9null_typeES8_S8_S8_S8_S8_S8_S8_EEEEZZNS1_29radix_sort_onesweep_iterationIS3_Lb0ENS6_6detail15normal_iteratorINS6_10device_ptrIjEEEESG_NSD_INSE_IS9_EEEESI_jNS0_19identity_decomposerENS1_16block_id_wrapperIjLb1EEEEE10hipError_tT1_PNSt15iterator_traitsISN_E10value_typeET2_T3_PNSO_IST_E10value_typeET4_T5_PSY_SZ_PNS1_23onesweep_lookback_stateEbbT6_jjT7_P12ihipStream_tbENKUlT_T0_SN_SS_E_clIPjSG_PS9_SI_EEDaS16_S17_SN_SS_EUlS16_E_NS1_11comp_targetILNS1_3genE4ELNS1_11target_archE910ELNS1_3gpuE8ELNS1_3repE0EEENS1_47radix_sort_onesweep_sort_config_static_selectorELNS0_4arch9wavefront6targetE0EEEvSN_: ; @_ZN7rocprim17ROCPRIM_400000_NS6detail17trampoline_kernelINS0_14default_configENS1_35radix_sort_onesweep_config_selectorIjN6thrust23THRUST_200600_302600_NS5tupleIffNS6_9null_typeES8_S8_S8_S8_S8_S8_S8_EEEEZZNS1_29radix_sort_onesweep_iterationIS3_Lb0ENS6_6detail15normal_iteratorINS6_10device_ptrIjEEEESG_NSD_INSE_IS9_EEEESI_jNS0_19identity_decomposerENS1_16block_id_wrapperIjLb1EEEEE10hipError_tT1_PNSt15iterator_traitsISN_E10value_typeET2_T3_PNSO_IST_E10value_typeET4_T5_PSY_SZ_PNS1_23onesweep_lookback_stateEbbT6_jjT7_P12ihipStream_tbENKUlT_T0_SN_SS_E_clIPjSG_PS9_SI_EEDaS16_S17_SN_SS_EUlS16_E_NS1_11comp_targetILNS1_3genE4ELNS1_11target_archE910ELNS1_3gpuE8ELNS1_3repE0EEENS1_47radix_sort_onesweep_sort_config_static_selectorELNS0_4arch9wavefront6targetE0EEEvSN_
; %bb.0:
	.section	.rodata,"a",@progbits
	.p2align	6, 0x0
	.amdhsa_kernel _ZN7rocprim17ROCPRIM_400000_NS6detail17trampoline_kernelINS0_14default_configENS1_35radix_sort_onesweep_config_selectorIjN6thrust23THRUST_200600_302600_NS5tupleIffNS6_9null_typeES8_S8_S8_S8_S8_S8_S8_EEEEZZNS1_29radix_sort_onesweep_iterationIS3_Lb0ENS6_6detail15normal_iteratorINS6_10device_ptrIjEEEESG_NSD_INSE_IS9_EEEESI_jNS0_19identity_decomposerENS1_16block_id_wrapperIjLb1EEEEE10hipError_tT1_PNSt15iterator_traitsISN_E10value_typeET2_T3_PNSO_IST_E10value_typeET4_T5_PSY_SZ_PNS1_23onesweep_lookback_stateEbbT6_jjT7_P12ihipStream_tbENKUlT_T0_SN_SS_E_clIPjSG_PS9_SI_EEDaS16_S17_SN_SS_EUlS16_E_NS1_11comp_targetILNS1_3genE4ELNS1_11target_archE910ELNS1_3gpuE8ELNS1_3repE0EEENS1_47radix_sort_onesweep_sort_config_static_selectorELNS0_4arch9wavefront6targetE0EEEvSN_
		.amdhsa_group_segment_fixed_size 0
		.amdhsa_private_segment_fixed_size 0
		.amdhsa_kernarg_size 88
		.amdhsa_user_sgpr_count 6
		.amdhsa_user_sgpr_private_segment_buffer 1
		.amdhsa_user_sgpr_dispatch_ptr 0
		.amdhsa_user_sgpr_queue_ptr 0
		.amdhsa_user_sgpr_kernarg_segment_ptr 1
		.amdhsa_user_sgpr_dispatch_id 0
		.amdhsa_user_sgpr_flat_scratch_init 0
		.amdhsa_user_sgpr_private_segment_size 0
		.amdhsa_wavefront_size32 1
		.amdhsa_uses_dynamic_stack 0
		.amdhsa_system_sgpr_private_segment_wavefront_offset 0
		.amdhsa_system_sgpr_workgroup_id_x 1
		.amdhsa_system_sgpr_workgroup_id_y 0
		.amdhsa_system_sgpr_workgroup_id_z 0
		.amdhsa_system_sgpr_workgroup_info 0
		.amdhsa_system_vgpr_workitem_id 0
		.amdhsa_next_free_vgpr 1
		.amdhsa_next_free_sgpr 1
		.amdhsa_reserve_vcc 0
		.amdhsa_reserve_flat_scratch 0
		.amdhsa_float_round_mode_32 0
		.amdhsa_float_round_mode_16_64 0
		.amdhsa_float_denorm_mode_32 3
		.amdhsa_float_denorm_mode_16_64 3
		.amdhsa_dx10_clamp 1
		.amdhsa_ieee_mode 1
		.amdhsa_fp16_overflow 0
		.amdhsa_workgroup_processor_mode 1
		.amdhsa_memory_ordered 1
		.amdhsa_forward_progress 1
		.amdhsa_shared_vgpr_count 0
		.amdhsa_exception_fp_ieee_invalid_op 0
		.amdhsa_exception_fp_denorm_src 0
		.amdhsa_exception_fp_ieee_div_zero 0
		.amdhsa_exception_fp_ieee_overflow 0
		.amdhsa_exception_fp_ieee_underflow 0
		.amdhsa_exception_fp_ieee_inexact 0
		.amdhsa_exception_int_div_zero 0
	.end_amdhsa_kernel
	.section	.text._ZN7rocprim17ROCPRIM_400000_NS6detail17trampoline_kernelINS0_14default_configENS1_35radix_sort_onesweep_config_selectorIjN6thrust23THRUST_200600_302600_NS5tupleIffNS6_9null_typeES8_S8_S8_S8_S8_S8_S8_EEEEZZNS1_29radix_sort_onesweep_iterationIS3_Lb0ENS6_6detail15normal_iteratorINS6_10device_ptrIjEEEESG_NSD_INSE_IS9_EEEESI_jNS0_19identity_decomposerENS1_16block_id_wrapperIjLb1EEEEE10hipError_tT1_PNSt15iterator_traitsISN_E10value_typeET2_T3_PNSO_IST_E10value_typeET4_T5_PSY_SZ_PNS1_23onesweep_lookback_stateEbbT6_jjT7_P12ihipStream_tbENKUlT_T0_SN_SS_E_clIPjSG_PS9_SI_EEDaS16_S17_SN_SS_EUlS16_E_NS1_11comp_targetILNS1_3genE4ELNS1_11target_archE910ELNS1_3gpuE8ELNS1_3repE0EEENS1_47radix_sort_onesweep_sort_config_static_selectorELNS0_4arch9wavefront6targetE0EEEvSN_,"axG",@progbits,_ZN7rocprim17ROCPRIM_400000_NS6detail17trampoline_kernelINS0_14default_configENS1_35radix_sort_onesweep_config_selectorIjN6thrust23THRUST_200600_302600_NS5tupleIffNS6_9null_typeES8_S8_S8_S8_S8_S8_S8_EEEEZZNS1_29radix_sort_onesweep_iterationIS3_Lb0ENS6_6detail15normal_iteratorINS6_10device_ptrIjEEEESG_NSD_INSE_IS9_EEEESI_jNS0_19identity_decomposerENS1_16block_id_wrapperIjLb1EEEEE10hipError_tT1_PNSt15iterator_traitsISN_E10value_typeET2_T3_PNSO_IST_E10value_typeET4_T5_PSY_SZ_PNS1_23onesweep_lookback_stateEbbT6_jjT7_P12ihipStream_tbENKUlT_T0_SN_SS_E_clIPjSG_PS9_SI_EEDaS16_S17_SN_SS_EUlS16_E_NS1_11comp_targetILNS1_3genE4ELNS1_11target_archE910ELNS1_3gpuE8ELNS1_3repE0EEENS1_47radix_sort_onesweep_sort_config_static_selectorELNS0_4arch9wavefront6targetE0EEEvSN_,comdat
.Lfunc_end197:
	.size	_ZN7rocprim17ROCPRIM_400000_NS6detail17trampoline_kernelINS0_14default_configENS1_35radix_sort_onesweep_config_selectorIjN6thrust23THRUST_200600_302600_NS5tupleIffNS6_9null_typeES8_S8_S8_S8_S8_S8_S8_EEEEZZNS1_29radix_sort_onesweep_iterationIS3_Lb0ENS6_6detail15normal_iteratorINS6_10device_ptrIjEEEESG_NSD_INSE_IS9_EEEESI_jNS0_19identity_decomposerENS1_16block_id_wrapperIjLb1EEEEE10hipError_tT1_PNSt15iterator_traitsISN_E10value_typeET2_T3_PNSO_IST_E10value_typeET4_T5_PSY_SZ_PNS1_23onesweep_lookback_stateEbbT6_jjT7_P12ihipStream_tbENKUlT_T0_SN_SS_E_clIPjSG_PS9_SI_EEDaS16_S17_SN_SS_EUlS16_E_NS1_11comp_targetILNS1_3genE4ELNS1_11target_archE910ELNS1_3gpuE8ELNS1_3repE0EEENS1_47radix_sort_onesweep_sort_config_static_selectorELNS0_4arch9wavefront6targetE0EEEvSN_, .Lfunc_end197-_ZN7rocprim17ROCPRIM_400000_NS6detail17trampoline_kernelINS0_14default_configENS1_35radix_sort_onesweep_config_selectorIjN6thrust23THRUST_200600_302600_NS5tupleIffNS6_9null_typeES8_S8_S8_S8_S8_S8_S8_EEEEZZNS1_29radix_sort_onesweep_iterationIS3_Lb0ENS6_6detail15normal_iteratorINS6_10device_ptrIjEEEESG_NSD_INSE_IS9_EEEESI_jNS0_19identity_decomposerENS1_16block_id_wrapperIjLb1EEEEE10hipError_tT1_PNSt15iterator_traitsISN_E10value_typeET2_T3_PNSO_IST_E10value_typeET4_T5_PSY_SZ_PNS1_23onesweep_lookback_stateEbbT6_jjT7_P12ihipStream_tbENKUlT_T0_SN_SS_E_clIPjSG_PS9_SI_EEDaS16_S17_SN_SS_EUlS16_E_NS1_11comp_targetILNS1_3genE4ELNS1_11target_archE910ELNS1_3gpuE8ELNS1_3repE0EEENS1_47radix_sort_onesweep_sort_config_static_selectorELNS0_4arch9wavefront6targetE0EEEvSN_
                                        ; -- End function
	.set _ZN7rocprim17ROCPRIM_400000_NS6detail17trampoline_kernelINS0_14default_configENS1_35radix_sort_onesweep_config_selectorIjN6thrust23THRUST_200600_302600_NS5tupleIffNS6_9null_typeES8_S8_S8_S8_S8_S8_S8_EEEEZZNS1_29radix_sort_onesweep_iterationIS3_Lb0ENS6_6detail15normal_iteratorINS6_10device_ptrIjEEEESG_NSD_INSE_IS9_EEEESI_jNS0_19identity_decomposerENS1_16block_id_wrapperIjLb1EEEEE10hipError_tT1_PNSt15iterator_traitsISN_E10value_typeET2_T3_PNSO_IST_E10value_typeET4_T5_PSY_SZ_PNS1_23onesweep_lookback_stateEbbT6_jjT7_P12ihipStream_tbENKUlT_T0_SN_SS_E_clIPjSG_PS9_SI_EEDaS16_S17_SN_SS_EUlS16_E_NS1_11comp_targetILNS1_3genE4ELNS1_11target_archE910ELNS1_3gpuE8ELNS1_3repE0EEENS1_47radix_sort_onesweep_sort_config_static_selectorELNS0_4arch9wavefront6targetE0EEEvSN_.num_vgpr, 0
	.set _ZN7rocprim17ROCPRIM_400000_NS6detail17trampoline_kernelINS0_14default_configENS1_35radix_sort_onesweep_config_selectorIjN6thrust23THRUST_200600_302600_NS5tupleIffNS6_9null_typeES8_S8_S8_S8_S8_S8_S8_EEEEZZNS1_29radix_sort_onesweep_iterationIS3_Lb0ENS6_6detail15normal_iteratorINS6_10device_ptrIjEEEESG_NSD_INSE_IS9_EEEESI_jNS0_19identity_decomposerENS1_16block_id_wrapperIjLb1EEEEE10hipError_tT1_PNSt15iterator_traitsISN_E10value_typeET2_T3_PNSO_IST_E10value_typeET4_T5_PSY_SZ_PNS1_23onesweep_lookback_stateEbbT6_jjT7_P12ihipStream_tbENKUlT_T0_SN_SS_E_clIPjSG_PS9_SI_EEDaS16_S17_SN_SS_EUlS16_E_NS1_11comp_targetILNS1_3genE4ELNS1_11target_archE910ELNS1_3gpuE8ELNS1_3repE0EEENS1_47radix_sort_onesweep_sort_config_static_selectorELNS0_4arch9wavefront6targetE0EEEvSN_.num_agpr, 0
	.set _ZN7rocprim17ROCPRIM_400000_NS6detail17trampoline_kernelINS0_14default_configENS1_35radix_sort_onesweep_config_selectorIjN6thrust23THRUST_200600_302600_NS5tupleIffNS6_9null_typeES8_S8_S8_S8_S8_S8_S8_EEEEZZNS1_29radix_sort_onesweep_iterationIS3_Lb0ENS6_6detail15normal_iteratorINS6_10device_ptrIjEEEESG_NSD_INSE_IS9_EEEESI_jNS0_19identity_decomposerENS1_16block_id_wrapperIjLb1EEEEE10hipError_tT1_PNSt15iterator_traitsISN_E10value_typeET2_T3_PNSO_IST_E10value_typeET4_T5_PSY_SZ_PNS1_23onesweep_lookback_stateEbbT6_jjT7_P12ihipStream_tbENKUlT_T0_SN_SS_E_clIPjSG_PS9_SI_EEDaS16_S17_SN_SS_EUlS16_E_NS1_11comp_targetILNS1_3genE4ELNS1_11target_archE910ELNS1_3gpuE8ELNS1_3repE0EEENS1_47radix_sort_onesweep_sort_config_static_selectorELNS0_4arch9wavefront6targetE0EEEvSN_.numbered_sgpr, 0
	.set _ZN7rocprim17ROCPRIM_400000_NS6detail17trampoline_kernelINS0_14default_configENS1_35radix_sort_onesweep_config_selectorIjN6thrust23THRUST_200600_302600_NS5tupleIffNS6_9null_typeES8_S8_S8_S8_S8_S8_S8_EEEEZZNS1_29radix_sort_onesweep_iterationIS3_Lb0ENS6_6detail15normal_iteratorINS6_10device_ptrIjEEEESG_NSD_INSE_IS9_EEEESI_jNS0_19identity_decomposerENS1_16block_id_wrapperIjLb1EEEEE10hipError_tT1_PNSt15iterator_traitsISN_E10value_typeET2_T3_PNSO_IST_E10value_typeET4_T5_PSY_SZ_PNS1_23onesweep_lookback_stateEbbT6_jjT7_P12ihipStream_tbENKUlT_T0_SN_SS_E_clIPjSG_PS9_SI_EEDaS16_S17_SN_SS_EUlS16_E_NS1_11comp_targetILNS1_3genE4ELNS1_11target_archE910ELNS1_3gpuE8ELNS1_3repE0EEENS1_47radix_sort_onesweep_sort_config_static_selectorELNS0_4arch9wavefront6targetE0EEEvSN_.num_named_barrier, 0
	.set _ZN7rocprim17ROCPRIM_400000_NS6detail17trampoline_kernelINS0_14default_configENS1_35radix_sort_onesweep_config_selectorIjN6thrust23THRUST_200600_302600_NS5tupleIffNS6_9null_typeES8_S8_S8_S8_S8_S8_S8_EEEEZZNS1_29radix_sort_onesweep_iterationIS3_Lb0ENS6_6detail15normal_iteratorINS6_10device_ptrIjEEEESG_NSD_INSE_IS9_EEEESI_jNS0_19identity_decomposerENS1_16block_id_wrapperIjLb1EEEEE10hipError_tT1_PNSt15iterator_traitsISN_E10value_typeET2_T3_PNSO_IST_E10value_typeET4_T5_PSY_SZ_PNS1_23onesweep_lookback_stateEbbT6_jjT7_P12ihipStream_tbENKUlT_T0_SN_SS_E_clIPjSG_PS9_SI_EEDaS16_S17_SN_SS_EUlS16_E_NS1_11comp_targetILNS1_3genE4ELNS1_11target_archE910ELNS1_3gpuE8ELNS1_3repE0EEENS1_47radix_sort_onesweep_sort_config_static_selectorELNS0_4arch9wavefront6targetE0EEEvSN_.private_seg_size, 0
	.set _ZN7rocprim17ROCPRIM_400000_NS6detail17trampoline_kernelINS0_14default_configENS1_35radix_sort_onesweep_config_selectorIjN6thrust23THRUST_200600_302600_NS5tupleIffNS6_9null_typeES8_S8_S8_S8_S8_S8_S8_EEEEZZNS1_29radix_sort_onesweep_iterationIS3_Lb0ENS6_6detail15normal_iteratorINS6_10device_ptrIjEEEESG_NSD_INSE_IS9_EEEESI_jNS0_19identity_decomposerENS1_16block_id_wrapperIjLb1EEEEE10hipError_tT1_PNSt15iterator_traitsISN_E10value_typeET2_T3_PNSO_IST_E10value_typeET4_T5_PSY_SZ_PNS1_23onesweep_lookback_stateEbbT6_jjT7_P12ihipStream_tbENKUlT_T0_SN_SS_E_clIPjSG_PS9_SI_EEDaS16_S17_SN_SS_EUlS16_E_NS1_11comp_targetILNS1_3genE4ELNS1_11target_archE910ELNS1_3gpuE8ELNS1_3repE0EEENS1_47radix_sort_onesweep_sort_config_static_selectorELNS0_4arch9wavefront6targetE0EEEvSN_.uses_vcc, 0
	.set _ZN7rocprim17ROCPRIM_400000_NS6detail17trampoline_kernelINS0_14default_configENS1_35radix_sort_onesweep_config_selectorIjN6thrust23THRUST_200600_302600_NS5tupleIffNS6_9null_typeES8_S8_S8_S8_S8_S8_S8_EEEEZZNS1_29radix_sort_onesweep_iterationIS3_Lb0ENS6_6detail15normal_iteratorINS6_10device_ptrIjEEEESG_NSD_INSE_IS9_EEEESI_jNS0_19identity_decomposerENS1_16block_id_wrapperIjLb1EEEEE10hipError_tT1_PNSt15iterator_traitsISN_E10value_typeET2_T3_PNSO_IST_E10value_typeET4_T5_PSY_SZ_PNS1_23onesweep_lookback_stateEbbT6_jjT7_P12ihipStream_tbENKUlT_T0_SN_SS_E_clIPjSG_PS9_SI_EEDaS16_S17_SN_SS_EUlS16_E_NS1_11comp_targetILNS1_3genE4ELNS1_11target_archE910ELNS1_3gpuE8ELNS1_3repE0EEENS1_47radix_sort_onesweep_sort_config_static_selectorELNS0_4arch9wavefront6targetE0EEEvSN_.uses_flat_scratch, 0
	.set _ZN7rocprim17ROCPRIM_400000_NS6detail17trampoline_kernelINS0_14default_configENS1_35radix_sort_onesweep_config_selectorIjN6thrust23THRUST_200600_302600_NS5tupleIffNS6_9null_typeES8_S8_S8_S8_S8_S8_S8_EEEEZZNS1_29radix_sort_onesweep_iterationIS3_Lb0ENS6_6detail15normal_iteratorINS6_10device_ptrIjEEEESG_NSD_INSE_IS9_EEEESI_jNS0_19identity_decomposerENS1_16block_id_wrapperIjLb1EEEEE10hipError_tT1_PNSt15iterator_traitsISN_E10value_typeET2_T3_PNSO_IST_E10value_typeET4_T5_PSY_SZ_PNS1_23onesweep_lookback_stateEbbT6_jjT7_P12ihipStream_tbENKUlT_T0_SN_SS_E_clIPjSG_PS9_SI_EEDaS16_S17_SN_SS_EUlS16_E_NS1_11comp_targetILNS1_3genE4ELNS1_11target_archE910ELNS1_3gpuE8ELNS1_3repE0EEENS1_47radix_sort_onesweep_sort_config_static_selectorELNS0_4arch9wavefront6targetE0EEEvSN_.has_dyn_sized_stack, 0
	.set _ZN7rocprim17ROCPRIM_400000_NS6detail17trampoline_kernelINS0_14default_configENS1_35radix_sort_onesweep_config_selectorIjN6thrust23THRUST_200600_302600_NS5tupleIffNS6_9null_typeES8_S8_S8_S8_S8_S8_S8_EEEEZZNS1_29radix_sort_onesweep_iterationIS3_Lb0ENS6_6detail15normal_iteratorINS6_10device_ptrIjEEEESG_NSD_INSE_IS9_EEEESI_jNS0_19identity_decomposerENS1_16block_id_wrapperIjLb1EEEEE10hipError_tT1_PNSt15iterator_traitsISN_E10value_typeET2_T3_PNSO_IST_E10value_typeET4_T5_PSY_SZ_PNS1_23onesweep_lookback_stateEbbT6_jjT7_P12ihipStream_tbENKUlT_T0_SN_SS_E_clIPjSG_PS9_SI_EEDaS16_S17_SN_SS_EUlS16_E_NS1_11comp_targetILNS1_3genE4ELNS1_11target_archE910ELNS1_3gpuE8ELNS1_3repE0EEENS1_47radix_sort_onesweep_sort_config_static_selectorELNS0_4arch9wavefront6targetE0EEEvSN_.has_recursion, 0
	.set _ZN7rocprim17ROCPRIM_400000_NS6detail17trampoline_kernelINS0_14default_configENS1_35radix_sort_onesweep_config_selectorIjN6thrust23THRUST_200600_302600_NS5tupleIffNS6_9null_typeES8_S8_S8_S8_S8_S8_S8_EEEEZZNS1_29radix_sort_onesweep_iterationIS3_Lb0ENS6_6detail15normal_iteratorINS6_10device_ptrIjEEEESG_NSD_INSE_IS9_EEEESI_jNS0_19identity_decomposerENS1_16block_id_wrapperIjLb1EEEEE10hipError_tT1_PNSt15iterator_traitsISN_E10value_typeET2_T3_PNSO_IST_E10value_typeET4_T5_PSY_SZ_PNS1_23onesweep_lookback_stateEbbT6_jjT7_P12ihipStream_tbENKUlT_T0_SN_SS_E_clIPjSG_PS9_SI_EEDaS16_S17_SN_SS_EUlS16_E_NS1_11comp_targetILNS1_3genE4ELNS1_11target_archE910ELNS1_3gpuE8ELNS1_3repE0EEENS1_47radix_sort_onesweep_sort_config_static_selectorELNS0_4arch9wavefront6targetE0EEEvSN_.has_indirect_call, 0
	.section	.AMDGPU.csdata,"",@progbits
; Kernel info:
; codeLenInByte = 0
; TotalNumSgprs: 0
; NumVgprs: 0
; ScratchSize: 0
; MemoryBound: 0
; FloatMode: 240
; IeeeMode: 1
; LDSByteSize: 0 bytes/workgroup (compile time only)
; SGPRBlocks: 0
; VGPRBlocks: 0
; NumSGPRsForWavesPerEU: 1
; NumVGPRsForWavesPerEU: 1
; Occupancy: 16
; WaveLimiterHint : 0
; COMPUTE_PGM_RSRC2:SCRATCH_EN: 0
; COMPUTE_PGM_RSRC2:USER_SGPR: 6
; COMPUTE_PGM_RSRC2:TRAP_HANDLER: 0
; COMPUTE_PGM_RSRC2:TGID_X_EN: 1
; COMPUTE_PGM_RSRC2:TGID_Y_EN: 0
; COMPUTE_PGM_RSRC2:TGID_Z_EN: 0
; COMPUTE_PGM_RSRC2:TIDIG_COMP_CNT: 0
	.section	.text._ZN7rocprim17ROCPRIM_400000_NS6detail17trampoline_kernelINS0_14default_configENS1_35radix_sort_onesweep_config_selectorIjN6thrust23THRUST_200600_302600_NS5tupleIffNS6_9null_typeES8_S8_S8_S8_S8_S8_S8_EEEEZZNS1_29radix_sort_onesweep_iterationIS3_Lb0ENS6_6detail15normal_iteratorINS6_10device_ptrIjEEEESG_NSD_INSE_IS9_EEEESI_jNS0_19identity_decomposerENS1_16block_id_wrapperIjLb1EEEEE10hipError_tT1_PNSt15iterator_traitsISN_E10value_typeET2_T3_PNSO_IST_E10value_typeET4_T5_PSY_SZ_PNS1_23onesweep_lookback_stateEbbT6_jjT7_P12ihipStream_tbENKUlT_T0_SN_SS_E_clIPjSG_PS9_SI_EEDaS16_S17_SN_SS_EUlS16_E_NS1_11comp_targetILNS1_3genE3ELNS1_11target_archE908ELNS1_3gpuE7ELNS1_3repE0EEENS1_47radix_sort_onesweep_sort_config_static_selectorELNS0_4arch9wavefront6targetE0EEEvSN_,"axG",@progbits,_ZN7rocprim17ROCPRIM_400000_NS6detail17trampoline_kernelINS0_14default_configENS1_35radix_sort_onesweep_config_selectorIjN6thrust23THRUST_200600_302600_NS5tupleIffNS6_9null_typeES8_S8_S8_S8_S8_S8_S8_EEEEZZNS1_29radix_sort_onesweep_iterationIS3_Lb0ENS6_6detail15normal_iteratorINS6_10device_ptrIjEEEESG_NSD_INSE_IS9_EEEESI_jNS0_19identity_decomposerENS1_16block_id_wrapperIjLb1EEEEE10hipError_tT1_PNSt15iterator_traitsISN_E10value_typeET2_T3_PNSO_IST_E10value_typeET4_T5_PSY_SZ_PNS1_23onesweep_lookback_stateEbbT6_jjT7_P12ihipStream_tbENKUlT_T0_SN_SS_E_clIPjSG_PS9_SI_EEDaS16_S17_SN_SS_EUlS16_E_NS1_11comp_targetILNS1_3genE3ELNS1_11target_archE908ELNS1_3gpuE7ELNS1_3repE0EEENS1_47radix_sort_onesweep_sort_config_static_selectorELNS0_4arch9wavefront6targetE0EEEvSN_,comdat
	.protected	_ZN7rocprim17ROCPRIM_400000_NS6detail17trampoline_kernelINS0_14default_configENS1_35radix_sort_onesweep_config_selectorIjN6thrust23THRUST_200600_302600_NS5tupleIffNS6_9null_typeES8_S8_S8_S8_S8_S8_S8_EEEEZZNS1_29radix_sort_onesweep_iterationIS3_Lb0ENS6_6detail15normal_iteratorINS6_10device_ptrIjEEEESG_NSD_INSE_IS9_EEEESI_jNS0_19identity_decomposerENS1_16block_id_wrapperIjLb1EEEEE10hipError_tT1_PNSt15iterator_traitsISN_E10value_typeET2_T3_PNSO_IST_E10value_typeET4_T5_PSY_SZ_PNS1_23onesweep_lookback_stateEbbT6_jjT7_P12ihipStream_tbENKUlT_T0_SN_SS_E_clIPjSG_PS9_SI_EEDaS16_S17_SN_SS_EUlS16_E_NS1_11comp_targetILNS1_3genE3ELNS1_11target_archE908ELNS1_3gpuE7ELNS1_3repE0EEENS1_47radix_sort_onesweep_sort_config_static_selectorELNS0_4arch9wavefront6targetE0EEEvSN_ ; -- Begin function _ZN7rocprim17ROCPRIM_400000_NS6detail17trampoline_kernelINS0_14default_configENS1_35radix_sort_onesweep_config_selectorIjN6thrust23THRUST_200600_302600_NS5tupleIffNS6_9null_typeES8_S8_S8_S8_S8_S8_S8_EEEEZZNS1_29radix_sort_onesweep_iterationIS3_Lb0ENS6_6detail15normal_iteratorINS6_10device_ptrIjEEEESG_NSD_INSE_IS9_EEEESI_jNS0_19identity_decomposerENS1_16block_id_wrapperIjLb1EEEEE10hipError_tT1_PNSt15iterator_traitsISN_E10value_typeET2_T3_PNSO_IST_E10value_typeET4_T5_PSY_SZ_PNS1_23onesweep_lookback_stateEbbT6_jjT7_P12ihipStream_tbENKUlT_T0_SN_SS_E_clIPjSG_PS9_SI_EEDaS16_S17_SN_SS_EUlS16_E_NS1_11comp_targetILNS1_3genE3ELNS1_11target_archE908ELNS1_3gpuE7ELNS1_3repE0EEENS1_47radix_sort_onesweep_sort_config_static_selectorELNS0_4arch9wavefront6targetE0EEEvSN_
	.globl	_ZN7rocprim17ROCPRIM_400000_NS6detail17trampoline_kernelINS0_14default_configENS1_35radix_sort_onesweep_config_selectorIjN6thrust23THRUST_200600_302600_NS5tupleIffNS6_9null_typeES8_S8_S8_S8_S8_S8_S8_EEEEZZNS1_29radix_sort_onesweep_iterationIS3_Lb0ENS6_6detail15normal_iteratorINS6_10device_ptrIjEEEESG_NSD_INSE_IS9_EEEESI_jNS0_19identity_decomposerENS1_16block_id_wrapperIjLb1EEEEE10hipError_tT1_PNSt15iterator_traitsISN_E10value_typeET2_T3_PNSO_IST_E10value_typeET4_T5_PSY_SZ_PNS1_23onesweep_lookback_stateEbbT6_jjT7_P12ihipStream_tbENKUlT_T0_SN_SS_E_clIPjSG_PS9_SI_EEDaS16_S17_SN_SS_EUlS16_E_NS1_11comp_targetILNS1_3genE3ELNS1_11target_archE908ELNS1_3gpuE7ELNS1_3repE0EEENS1_47radix_sort_onesweep_sort_config_static_selectorELNS0_4arch9wavefront6targetE0EEEvSN_
	.p2align	8
	.type	_ZN7rocprim17ROCPRIM_400000_NS6detail17trampoline_kernelINS0_14default_configENS1_35radix_sort_onesweep_config_selectorIjN6thrust23THRUST_200600_302600_NS5tupleIffNS6_9null_typeES8_S8_S8_S8_S8_S8_S8_EEEEZZNS1_29radix_sort_onesweep_iterationIS3_Lb0ENS6_6detail15normal_iteratorINS6_10device_ptrIjEEEESG_NSD_INSE_IS9_EEEESI_jNS0_19identity_decomposerENS1_16block_id_wrapperIjLb1EEEEE10hipError_tT1_PNSt15iterator_traitsISN_E10value_typeET2_T3_PNSO_IST_E10value_typeET4_T5_PSY_SZ_PNS1_23onesweep_lookback_stateEbbT6_jjT7_P12ihipStream_tbENKUlT_T0_SN_SS_E_clIPjSG_PS9_SI_EEDaS16_S17_SN_SS_EUlS16_E_NS1_11comp_targetILNS1_3genE3ELNS1_11target_archE908ELNS1_3gpuE7ELNS1_3repE0EEENS1_47radix_sort_onesweep_sort_config_static_selectorELNS0_4arch9wavefront6targetE0EEEvSN_,@function
_ZN7rocprim17ROCPRIM_400000_NS6detail17trampoline_kernelINS0_14default_configENS1_35radix_sort_onesweep_config_selectorIjN6thrust23THRUST_200600_302600_NS5tupleIffNS6_9null_typeES8_S8_S8_S8_S8_S8_S8_EEEEZZNS1_29radix_sort_onesweep_iterationIS3_Lb0ENS6_6detail15normal_iteratorINS6_10device_ptrIjEEEESG_NSD_INSE_IS9_EEEESI_jNS0_19identity_decomposerENS1_16block_id_wrapperIjLb1EEEEE10hipError_tT1_PNSt15iterator_traitsISN_E10value_typeET2_T3_PNSO_IST_E10value_typeET4_T5_PSY_SZ_PNS1_23onesweep_lookback_stateEbbT6_jjT7_P12ihipStream_tbENKUlT_T0_SN_SS_E_clIPjSG_PS9_SI_EEDaS16_S17_SN_SS_EUlS16_E_NS1_11comp_targetILNS1_3genE3ELNS1_11target_archE908ELNS1_3gpuE7ELNS1_3repE0EEENS1_47radix_sort_onesweep_sort_config_static_selectorELNS0_4arch9wavefront6targetE0EEEvSN_: ; @_ZN7rocprim17ROCPRIM_400000_NS6detail17trampoline_kernelINS0_14default_configENS1_35radix_sort_onesweep_config_selectorIjN6thrust23THRUST_200600_302600_NS5tupleIffNS6_9null_typeES8_S8_S8_S8_S8_S8_S8_EEEEZZNS1_29radix_sort_onesweep_iterationIS3_Lb0ENS6_6detail15normal_iteratorINS6_10device_ptrIjEEEESG_NSD_INSE_IS9_EEEESI_jNS0_19identity_decomposerENS1_16block_id_wrapperIjLb1EEEEE10hipError_tT1_PNSt15iterator_traitsISN_E10value_typeET2_T3_PNSO_IST_E10value_typeET4_T5_PSY_SZ_PNS1_23onesweep_lookback_stateEbbT6_jjT7_P12ihipStream_tbENKUlT_T0_SN_SS_E_clIPjSG_PS9_SI_EEDaS16_S17_SN_SS_EUlS16_E_NS1_11comp_targetILNS1_3genE3ELNS1_11target_archE908ELNS1_3gpuE7ELNS1_3repE0EEENS1_47radix_sort_onesweep_sort_config_static_selectorELNS0_4arch9wavefront6targetE0EEEvSN_
; %bb.0:
	.section	.rodata,"a",@progbits
	.p2align	6, 0x0
	.amdhsa_kernel _ZN7rocprim17ROCPRIM_400000_NS6detail17trampoline_kernelINS0_14default_configENS1_35radix_sort_onesweep_config_selectorIjN6thrust23THRUST_200600_302600_NS5tupleIffNS6_9null_typeES8_S8_S8_S8_S8_S8_S8_EEEEZZNS1_29radix_sort_onesweep_iterationIS3_Lb0ENS6_6detail15normal_iteratorINS6_10device_ptrIjEEEESG_NSD_INSE_IS9_EEEESI_jNS0_19identity_decomposerENS1_16block_id_wrapperIjLb1EEEEE10hipError_tT1_PNSt15iterator_traitsISN_E10value_typeET2_T3_PNSO_IST_E10value_typeET4_T5_PSY_SZ_PNS1_23onesweep_lookback_stateEbbT6_jjT7_P12ihipStream_tbENKUlT_T0_SN_SS_E_clIPjSG_PS9_SI_EEDaS16_S17_SN_SS_EUlS16_E_NS1_11comp_targetILNS1_3genE3ELNS1_11target_archE908ELNS1_3gpuE7ELNS1_3repE0EEENS1_47radix_sort_onesweep_sort_config_static_selectorELNS0_4arch9wavefront6targetE0EEEvSN_
		.amdhsa_group_segment_fixed_size 0
		.amdhsa_private_segment_fixed_size 0
		.amdhsa_kernarg_size 88
		.amdhsa_user_sgpr_count 6
		.amdhsa_user_sgpr_private_segment_buffer 1
		.amdhsa_user_sgpr_dispatch_ptr 0
		.amdhsa_user_sgpr_queue_ptr 0
		.amdhsa_user_sgpr_kernarg_segment_ptr 1
		.amdhsa_user_sgpr_dispatch_id 0
		.amdhsa_user_sgpr_flat_scratch_init 0
		.amdhsa_user_sgpr_private_segment_size 0
		.amdhsa_wavefront_size32 1
		.amdhsa_uses_dynamic_stack 0
		.amdhsa_system_sgpr_private_segment_wavefront_offset 0
		.amdhsa_system_sgpr_workgroup_id_x 1
		.amdhsa_system_sgpr_workgroup_id_y 0
		.amdhsa_system_sgpr_workgroup_id_z 0
		.amdhsa_system_sgpr_workgroup_info 0
		.amdhsa_system_vgpr_workitem_id 0
		.amdhsa_next_free_vgpr 1
		.amdhsa_next_free_sgpr 1
		.amdhsa_reserve_vcc 0
		.amdhsa_reserve_flat_scratch 0
		.amdhsa_float_round_mode_32 0
		.amdhsa_float_round_mode_16_64 0
		.amdhsa_float_denorm_mode_32 3
		.amdhsa_float_denorm_mode_16_64 3
		.amdhsa_dx10_clamp 1
		.amdhsa_ieee_mode 1
		.amdhsa_fp16_overflow 0
		.amdhsa_workgroup_processor_mode 1
		.amdhsa_memory_ordered 1
		.amdhsa_forward_progress 1
		.amdhsa_shared_vgpr_count 0
		.amdhsa_exception_fp_ieee_invalid_op 0
		.amdhsa_exception_fp_denorm_src 0
		.amdhsa_exception_fp_ieee_div_zero 0
		.amdhsa_exception_fp_ieee_overflow 0
		.amdhsa_exception_fp_ieee_underflow 0
		.amdhsa_exception_fp_ieee_inexact 0
		.amdhsa_exception_int_div_zero 0
	.end_amdhsa_kernel
	.section	.text._ZN7rocprim17ROCPRIM_400000_NS6detail17trampoline_kernelINS0_14default_configENS1_35radix_sort_onesweep_config_selectorIjN6thrust23THRUST_200600_302600_NS5tupleIffNS6_9null_typeES8_S8_S8_S8_S8_S8_S8_EEEEZZNS1_29radix_sort_onesweep_iterationIS3_Lb0ENS6_6detail15normal_iteratorINS6_10device_ptrIjEEEESG_NSD_INSE_IS9_EEEESI_jNS0_19identity_decomposerENS1_16block_id_wrapperIjLb1EEEEE10hipError_tT1_PNSt15iterator_traitsISN_E10value_typeET2_T3_PNSO_IST_E10value_typeET4_T5_PSY_SZ_PNS1_23onesweep_lookback_stateEbbT6_jjT7_P12ihipStream_tbENKUlT_T0_SN_SS_E_clIPjSG_PS9_SI_EEDaS16_S17_SN_SS_EUlS16_E_NS1_11comp_targetILNS1_3genE3ELNS1_11target_archE908ELNS1_3gpuE7ELNS1_3repE0EEENS1_47radix_sort_onesweep_sort_config_static_selectorELNS0_4arch9wavefront6targetE0EEEvSN_,"axG",@progbits,_ZN7rocprim17ROCPRIM_400000_NS6detail17trampoline_kernelINS0_14default_configENS1_35radix_sort_onesweep_config_selectorIjN6thrust23THRUST_200600_302600_NS5tupleIffNS6_9null_typeES8_S8_S8_S8_S8_S8_S8_EEEEZZNS1_29radix_sort_onesweep_iterationIS3_Lb0ENS6_6detail15normal_iteratorINS6_10device_ptrIjEEEESG_NSD_INSE_IS9_EEEESI_jNS0_19identity_decomposerENS1_16block_id_wrapperIjLb1EEEEE10hipError_tT1_PNSt15iterator_traitsISN_E10value_typeET2_T3_PNSO_IST_E10value_typeET4_T5_PSY_SZ_PNS1_23onesweep_lookback_stateEbbT6_jjT7_P12ihipStream_tbENKUlT_T0_SN_SS_E_clIPjSG_PS9_SI_EEDaS16_S17_SN_SS_EUlS16_E_NS1_11comp_targetILNS1_3genE3ELNS1_11target_archE908ELNS1_3gpuE7ELNS1_3repE0EEENS1_47radix_sort_onesweep_sort_config_static_selectorELNS0_4arch9wavefront6targetE0EEEvSN_,comdat
.Lfunc_end198:
	.size	_ZN7rocprim17ROCPRIM_400000_NS6detail17trampoline_kernelINS0_14default_configENS1_35radix_sort_onesweep_config_selectorIjN6thrust23THRUST_200600_302600_NS5tupleIffNS6_9null_typeES8_S8_S8_S8_S8_S8_S8_EEEEZZNS1_29radix_sort_onesweep_iterationIS3_Lb0ENS6_6detail15normal_iteratorINS6_10device_ptrIjEEEESG_NSD_INSE_IS9_EEEESI_jNS0_19identity_decomposerENS1_16block_id_wrapperIjLb1EEEEE10hipError_tT1_PNSt15iterator_traitsISN_E10value_typeET2_T3_PNSO_IST_E10value_typeET4_T5_PSY_SZ_PNS1_23onesweep_lookback_stateEbbT6_jjT7_P12ihipStream_tbENKUlT_T0_SN_SS_E_clIPjSG_PS9_SI_EEDaS16_S17_SN_SS_EUlS16_E_NS1_11comp_targetILNS1_3genE3ELNS1_11target_archE908ELNS1_3gpuE7ELNS1_3repE0EEENS1_47radix_sort_onesweep_sort_config_static_selectorELNS0_4arch9wavefront6targetE0EEEvSN_, .Lfunc_end198-_ZN7rocprim17ROCPRIM_400000_NS6detail17trampoline_kernelINS0_14default_configENS1_35radix_sort_onesweep_config_selectorIjN6thrust23THRUST_200600_302600_NS5tupleIffNS6_9null_typeES8_S8_S8_S8_S8_S8_S8_EEEEZZNS1_29radix_sort_onesweep_iterationIS3_Lb0ENS6_6detail15normal_iteratorINS6_10device_ptrIjEEEESG_NSD_INSE_IS9_EEEESI_jNS0_19identity_decomposerENS1_16block_id_wrapperIjLb1EEEEE10hipError_tT1_PNSt15iterator_traitsISN_E10value_typeET2_T3_PNSO_IST_E10value_typeET4_T5_PSY_SZ_PNS1_23onesweep_lookback_stateEbbT6_jjT7_P12ihipStream_tbENKUlT_T0_SN_SS_E_clIPjSG_PS9_SI_EEDaS16_S17_SN_SS_EUlS16_E_NS1_11comp_targetILNS1_3genE3ELNS1_11target_archE908ELNS1_3gpuE7ELNS1_3repE0EEENS1_47radix_sort_onesweep_sort_config_static_selectorELNS0_4arch9wavefront6targetE0EEEvSN_
                                        ; -- End function
	.set _ZN7rocprim17ROCPRIM_400000_NS6detail17trampoline_kernelINS0_14default_configENS1_35radix_sort_onesweep_config_selectorIjN6thrust23THRUST_200600_302600_NS5tupleIffNS6_9null_typeES8_S8_S8_S8_S8_S8_S8_EEEEZZNS1_29radix_sort_onesweep_iterationIS3_Lb0ENS6_6detail15normal_iteratorINS6_10device_ptrIjEEEESG_NSD_INSE_IS9_EEEESI_jNS0_19identity_decomposerENS1_16block_id_wrapperIjLb1EEEEE10hipError_tT1_PNSt15iterator_traitsISN_E10value_typeET2_T3_PNSO_IST_E10value_typeET4_T5_PSY_SZ_PNS1_23onesweep_lookback_stateEbbT6_jjT7_P12ihipStream_tbENKUlT_T0_SN_SS_E_clIPjSG_PS9_SI_EEDaS16_S17_SN_SS_EUlS16_E_NS1_11comp_targetILNS1_3genE3ELNS1_11target_archE908ELNS1_3gpuE7ELNS1_3repE0EEENS1_47radix_sort_onesweep_sort_config_static_selectorELNS0_4arch9wavefront6targetE0EEEvSN_.num_vgpr, 0
	.set _ZN7rocprim17ROCPRIM_400000_NS6detail17trampoline_kernelINS0_14default_configENS1_35radix_sort_onesweep_config_selectorIjN6thrust23THRUST_200600_302600_NS5tupleIffNS6_9null_typeES8_S8_S8_S8_S8_S8_S8_EEEEZZNS1_29radix_sort_onesweep_iterationIS3_Lb0ENS6_6detail15normal_iteratorINS6_10device_ptrIjEEEESG_NSD_INSE_IS9_EEEESI_jNS0_19identity_decomposerENS1_16block_id_wrapperIjLb1EEEEE10hipError_tT1_PNSt15iterator_traitsISN_E10value_typeET2_T3_PNSO_IST_E10value_typeET4_T5_PSY_SZ_PNS1_23onesweep_lookback_stateEbbT6_jjT7_P12ihipStream_tbENKUlT_T0_SN_SS_E_clIPjSG_PS9_SI_EEDaS16_S17_SN_SS_EUlS16_E_NS1_11comp_targetILNS1_3genE3ELNS1_11target_archE908ELNS1_3gpuE7ELNS1_3repE0EEENS1_47radix_sort_onesweep_sort_config_static_selectorELNS0_4arch9wavefront6targetE0EEEvSN_.num_agpr, 0
	.set _ZN7rocprim17ROCPRIM_400000_NS6detail17trampoline_kernelINS0_14default_configENS1_35radix_sort_onesweep_config_selectorIjN6thrust23THRUST_200600_302600_NS5tupleIffNS6_9null_typeES8_S8_S8_S8_S8_S8_S8_EEEEZZNS1_29radix_sort_onesweep_iterationIS3_Lb0ENS6_6detail15normal_iteratorINS6_10device_ptrIjEEEESG_NSD_INSE_IS9_EEEESI_jNS0_19identity_decomposerENS1_16block_id_wrapperIjLb1EEEEE10hipError_tT1_PNSt15iterator_traitsISN_E10value_typeET2_T3_PNSO_IST_E10value_typeET4_T5_PSY_SZ_PNS1_23onesweep_lookback_stateEbbT6_jjT7_P12ihipStream_tbENKUlT_T0_SN_SS_E_clIPjSG_PS9_SI_EEDaS16_S17_SN_SS_EUlS16_E_NS1_11comp_targetILNS1_3genE3ELNS1_11target_archE908ELNS1_3gpuE7ELNS1_3repE0EEENS1_47radix_sort_onesweep_sort_config_static_selectorELNS0_4arch9wavefront6targetE0EEEvSN_.numbered_sgpr, 0
	.set _ZN7rocprim17ROCPRIM_400000_NS6detail17trampoline_kernelINS0_14default_configENS1_35radix_sort_onesweep_config_selectorIjN6thrust23THRUST_200600_302600_NS5tupleIffNS6_9null_typeES8_S8_S8_S8_S8_S8_S8_EEEEZZNS1_29radix_sort_onesweep_iterationIS3_Lb0ENS6_6detail15normal_iteratorINS6_10device_ptrIjEEEESG_NSD_INSE_IS9_EEEESI_jNS0_19identity_decomposerENS1_16block_id_wrapperIjLb1EEEEE10hipError_tT1_PNSt15iterator_traitsISN_E10value_typeET2_T3_PNSO_IST_E10value_typeET4_T5_PSY_SZ_PNS1_23onesweep_lookback_stateEbbT6_jjT7_P12ihipStream_tbENKUlT_T0_SN_SS_E_clIPjSG_PS9_SI_EEDaS16_S17_SN_SS_EUlS16_E_NS1_11comp_targetILNS1_3genE3ELNS1_11target_archE908ELNS1_3gpuE7ELNS1_3repE0EEENS1_47radix_sort_onesweep_sort_config_static_selectorELNS0_4arch9wavefront6targetE0EEEvSN_.num_named_barrier, 0
	.set _ZN7rocprim17ROCPRIM_400000_NS6detail17trampoline_kernelINS0_14default_configENS1_35radix_sort_onesweep_config_selectorIjN6thrust23THRUST_200600_302600_NS5tupleIffNS6_9null_typeES8_S8_S8_S8_S8_S8_S8_EEEEZZNS1_29radix_sort_onesweep_iterationIS3_Lb0ENS6_6detail15normal_iteratorINS6_10device_ptrIjEEEESG_NSD_INSE_IS9_EEEESI_jNS0_19identity_decomposerENS1_16block_id_wrapperIjLb1EEEEE10hipError_tT1_PNSt15iterator_traitsISN_E10value_typeET2_T3_PNSO_IST_E10value_typeET4_T5_PSY_SZ_PNS1_23onesweep_lookback_stateEbbT6_jjT7_P12ihipStream_tbENKUlT_T0_SN_SS_E_clIPjSG_PS9_SI_EEDaS16_S17_SN_SS_EUlS16_E_NS1_11comp_targetILNS1_3genE3ELNS1_11target_archE908ELNS1_3gpuE7ELNS1_3repE0EEENS1_47radix_sort_onesweep_sort_config_static_selectorELNS0_4arch9wavefront6targetE0EEEvSN_.private_seg_size, 0
	.set _ZN7rocprim17ROCPRIM_400000_NS6detail17trampoline_kernelINS0_14default_configENS1_35radix_sort_onesweep_config_selectorIjN6thrust23THRUST_200600_302600_NS5tupleIffNS6_9null_typeES8_S8_S8_S8_S8_S8_S8_EEEEZZNS1_29radix_sort_onesweep_iterationIS3_Lb0ENS6_6detail15normal_iteratorINS6_10device_ptrIjEEEESG_NSD_INSE_IS9_EEEESI_jNS0_19identity_decomposerENS1_16block_id_wrapperIjLb1EEEEE10hipError_tT1_PNSt15iterator_traitsISN_E10value_typeET2_T3_PNSO_IST_E10value_typeET4_T5_PSY_SZ_PNS1_23onesweep_lookback_stateEbbT6_jjT7_P12ihipStream_tbENKUlT_T0_SN_SS_E_clIPjSG_PS9_SI_EEDaS16_S17_SN_SS_EUlS16_E_NS1_11comp_targetILNS1_3genE3ELNS1_11target_archE908ELNS1_3gpuE7ELNS1_3repE0EEENS1_47radix_sort_onesweep_sort_config_static_selectorELNS0_4arch9wavefront6targetE0EEEvSN_.uses_vcc, 0
	.set _ZN7rocprim17ROCPRIM_400000_NS6detail17trampoline_kernelINS0_14default_configENS1_35radix_sort_onesweep_config_selectorIjN6thrust23THRUST_200600_302600_NS5tupleIffNS6_9null_typeES8_S8_S8_S8_S8_S8_S8_EEEEZZNS1_29radix_sort_onesweep_iterationIS3_Lb0ENS6_6detail15normal_iteratorINS6_10device_ptrIjEEEESG_NSD_INSE_IS9_EEEESI_jNS0_19identity_decomposerENS1_16block_id_wrapperIjLb1EEEEE10hipError_tT1_PNSt15iterator_traitsISN_E10value_typeET2_T3_PNSO_IST_E10value_typeET4_T5_PSY_SZ_PNS1_23onesweep_lookback_stateEbbT6_jjT7_P12ihipStream_tbENKUlT_T0_SN_SS_E_clIPjSG_PS9_SI_EEDaS16_S17_SN_SS_EUlS16_E_NS1_11comp_targetILNS1_3genE3ELNS1_11target_archE908ELNS1_3gpuE7ELNS1_3repE0EEENS1_47radix_sort_onesweep_sort_config_static_selectorELNS0_4arch9wavefront6targetE0EEEvSN_.uses_flat_scratch, 0
	.set _ZN7rocprim17ROCPRIM_400000_NS6detail17trampoline_kernelINS0_14default_configENS1_35radix_sort_onesweep_config_selectorIjN6thrust23THRUST_200600_302600_NS5tupleIffNS6_9null_typeES8_S8_S8_S8_S8_S8_S8_EEEEZZNS1_29radix_sort_onesweep_iterationIS3_Lb0ENS6_6detail15normal_iteratorINS6_10device_ptrIjEEEESG_NSD_INSE_IS9_EEEESI_jNS0_19identity_decomposerENS1_16block_id_wrapperIjLb1EEEEE10hipError_tT1_PNSt15iterator_traitsISN_E10value_typeET2_T3_PNSO_IST_E10value_typeET4_T5_PSY_SZ_PNS1_23onesweep_lookback_stateEbbT6_jjT7_P12ihipStream_tbENKUlT_T0_SN_SS_E_clIPjSG_PS9_SI_EEDaS16_S17_SN_SS_EUlS16_E_NS1_11comp_targetILNS1_3genE3ELNS1_11target_archE908ELNS1_3gpuE7ELNS1_3repE0EEENS1_47radix_sort_onesweep_sort_config_static_selectorELNS0_4arch9wavefront6targetE0EEEvSN_.has_dyn_sized_stack, 0
	.set _ZN7rocprim17ROCPRIM_400000_NS6detail17trampoline_kernelINS0_14default_configENS1_35radix_sort_onesweep_config_selectorIjN6thrust23THRUST_200600_302600_NS5tupleIffNS6_9null_typeES8_S8_S8_S8_S8_S8_S8_EEEEZZNS1_29radix_sort_onesweep_iterationIS3_Lb0ENS6_6detail15normal_iteratorINS6_10device_ptrIjEEEESG_NSD_INSE_IS9_EEEESI_jNS0_19identity_decomposerENS1_16block_id_wrapperIjLb1EEEEE10hipError_tT1_PNSt15iterator_traitsISN_E10value_typeET2_T3_PNSO_IST_E10value_typeET4_T5_PSY_SZ_PNS1_23onesweep_lookback_stateEbbT6_jjT7_P12ihipStream_tbENKUlT_T0_SN_SS_E_clIPjSG_PS9_SI_EEDaS16_S17_SN_SS_EUlS16_E_NS1_11comp_targetILNS1_3genE3ELNS1_11target_archE908ELNS1_3gpuE7ELNS1_3repE0EEENS1_47radix_sort_onesweep_sort_config_static_selectorELNS0_4arch9wavefront6targetE0EEEvSN_.has_recursion, 0
	.set _ZN7rocprim17ROCPRIM_400000_NS6detail17trampoline_kernelINS0_14default_configENS1_35radix_sort_onesweep_config_selectorIjN6thrust23THRUST_200600_302600_NS5tupleIffNS6_9null_typeES8_S8_S8_S8_S8_S8_S8_EEEEZZNS1_29radix_sort_onesweep_iterationIS3_Lb0ENS6_6detail15normal_iteratorINS6_10device_ptrIjEEEESG_NSD_INSE_IS9_EEEESI_jNS0_19identity_decomposerENS1_16block_id_wrapperIjLb1EEEEE10hipError_tT1_PNSt15iterator_traitsISN_E10value_typeET2_T3_PNSO_IST_E10value_typeET4_T5_PSY_SZ_PNS1_23onesweep_lookback_stateEbbT6_jjT7_P12ihipStream_tbENKUlT_T0_SN_SS_E_clIPjSG_PS9_SI_EEDaS16_S17_SN_SS_EUlS16_E_NS1_11comp_targetILNS1_3genE3ELNS1_11target_archE908ELNS1_3gpuE7ELNS1_3repE0EEENS1_47radix_sort_onesweep_sort_config_static_selectorELNS0_4arch9wavefront6targetE0EEEvSN_.has_indirect_call, 0
	.section	.AMDGPU.csdata,"",@progbits
; Kernel info:
; codeLenInByte = 0
; TotalNumSgprs: 0
; NumVgprs: 0
; ScratchSize: 0
; MemoryBound: 0
; FloatMode: 240
; IeeeMode: 1
; LDSByteSize: 0 bytes/workgroup (compile time only)
; SGPRBlocks: 0
; VGPRBlocks: 0
; NumSGPRsForWavesPerEU: 1
; NumVGPRsForWavesPerEU: 1
; Occupancy: 16
; WaveLimiterHint : 0
; COMPUTE_PGM_RSRC2:SCRATCH_EN: 0
; COMPUTE_PGM_RSRC2:USER_SGPR: 6
; COMPUTE_PGM_RSRC2:TRAP_HANDLER: 0
; COMPUTE_PGM_RSRC2:TGID_X_EN: 1
; COMPUTE_PGM_RSRC2:TGID_Y_EN: 0
; COMPUTE_PGM_RSRC2:TGID_Z_EN: 0
; COMPUTE_PGM_RSRC2:TIDIG_COMP_CNT: 0
	.section	.text._ZN7rocprim17ROCPRIM_400000_NS6detail17trampoline_kernelINS0_14default_configENS1_35radix_sort_onesweep_config_selectorIjN6thrust23THRUST_200600_302600_NS5tupleIffNS6_9null_typeES8_S8_S8_S8_S8_S8_S8_EEEEZZNS1_29radix_sort_onesweep_iterationIS3_Lb0ENS6_6detail15normal_iteratorINS6_10device_ptrIjEEEESG_NSD_INSE_IS9_EEEESI_jNS0_19identity_decomposerENS1_16block_id_wrapperIjLb1EEEEE10hipError_tT1_PNSt15iterator_traitsISN_E10value_typeET2_T3_PNSO_IST_E10value_typeET4_T5_PSY_SZ_PNS1_23onesweep_lookback_stateEbbT6_jjT7_P12ihipStream_tbENKUlT_T0_SN_SS_E_clIPjSG_PS9_SI_EEDaS16_S17_SN_SS_EUlS16_E_NS1_11comp_targetILNS1_3genE10ELNS1_11target_archE1201ELNS1_3gpuE5ELNS1_3repE0EEENS1_47radix_sort_onesweep_sort_config_static_selectorELNS0_4arch9wavefront6targetE0EEEvSN_,"axG",@progbits,_ZN7rocprim17ROCPRIM_400000_NS6detail17trampoline_kernelINS0_14default_configENS1_35radix_sort_onesweep_config_selectorIjN6thrust23THRUST_200600_302600_NS5tupleIffNS6_9null_typeES8_S8_S8_S8_S8_S8_S8_EEEEZZNS1_29radix_sort_onesweep_iterationIS3_Lb0ENS6_6detail15normal_iteratorINS6_10device_ptrIjEEEESG_NSD_INSE_IS9_EEEESI_jNS0_19identity_decomposerENS1_16block_id_wrapperIjLb1EEEEE10hipError_tT1_PNSt15iterator_traitsISN_E10value_typeET2_T3_PNSO_IST_E10value_typeET4_T5_PSY_SZ_PNS1_23onesweep_lookback_stateEbbT6_jjT7_P12ihipStream_tbENKUlT_T0_SN_SS_E_clIPjSG_PS9_SI_EEDaS16_S17_SN_SS_EUlS16_E_NS1_11comp_targetILNS1_3genE10ELNS1_11target_archE1201ELNS1_3gpuE5ELNS1_3repE0EEENS1_47radix_sort_onesweep_sort_config_static_selectorELNS0_4arch9wavefront6targetE0EEEvSN_,comdat
	.protected	_ZN7rocprim17ROCPRIM_400000_NS6detail17trampoline_kernelINS0_14default_configENS1_35radix_sort_onesweep_config_selectorIjN6thrust23THRUST_200600_302600_NS5tupleIffNS6_9null_typeES8_S8_S8_S8_S8_S8_S8_EEEEZZNS1_29radix_sort_onesweep_iterationIS3_Lb0ENS6_6detail15normal_iteratorINS6_10device_ptrIjEEEESG_NSD_INSE_IS9_EEEESI_jNS0_19identity_decomposerENS1_16block_id_wrapperIjLb1EEEEE10hipError_tT1_PNSt15iterator_traitsISN_E10value_typeET2_T3_PNSO_IST_E10value_typeET4_T5_PSY_SZ_PNS1_23onesweep_lookback_stateEbbT6_jjT7_P12ihipStream_tbENKUlT_T0_SN_SS_E_clIPjSG_PS9_SI_EEDaS16_S17_SN_SS_EUlS16_E_NS1_11comp_targetILNS1_3genE10ELNS1_11target_archE1201ELNS1_3gpuE5ELNS1_3repE0EEENS1_47radix_sort_onesweep_sort_config_static_selectorELNS0_4arch9wavefront6targetE0EEEvSN_ ; -- Begin function _ZN7rocprim17ROCPRIM_400000_NS6detail17trampoline_kernelINS0_14default_configENS1_35radix_sort_onesweep_config_selectorIjN6thrust23THRUST_200600_302600_NS5tupleIffNS6_9null_typeES8_S8_S8_S8_S8_S8_S8_EEEEZZNS1_29radix_sort_onesweep_iterationIS3_Lb0ENS6_6detail15normal_iteratorINS6_10device_ptrIjEEEESG_NSD_INSE_IS9_EEEESI_jNS0_19identity_decomposerENS1_16block_id_wrapperIjLb1EEEEE10hipError_tT1_PNSt15iterator_traitsISN_E10value_typeET2_T3_PNSO_IST_E10value_typeET4_T5_PSY_SZ_PNS1_23onesweep_lookback_stateEbbT6_jjT7_P12ihipStream_tbENKUlT_T0_SN_SS_E_clIPjSG_PS9_SI_EEDaS16_S17_SN_SS_EUlS16_E_NS1_11comp_targetILNS1_3genE10ELNS1_11target_archE1201ELNS1_3gpuE5ELNS1_3repE0EEENS1_47radix_sort_onesweep_sort_config_static_selectorELNS0_4arch9wavefront6targetE0EEEvSN_
	.globl	_ZN7rocprim17ROCPRIM_400000_NS6detail17trampoline_kernelINS0_14default_configENS1_35radix_sort_onesweep_config_selectorIjN6thrust23THRUST_200600_302600_NS5tupleIffNS6_9null_typeES8_S8_S8_S8_S8_S8_S8_EEEEZZNS1_29radix_sort_onesweep_iterationIS3_Lb0ENS6_6detail15normal_iteratorINS6_10device_ptrIjEEEESG_NSD_INSE_IS9_EEEESI_jNS0_19identity_decomposerENS1_16block_id_wrapperIjLb1EEEEE10hipError_tT1_PNSt15iterator_traitsISN_E10value_typeET2_T3_PNSO_IST_E10value_typeET4_T5_PSY_SZ_PNS1_23onesweep_lookback_stateEbbT6_jjT7_P12ihipStream_tbENKUlT_T0_SN_SS_E_clIPjSG_PS9_SI_EEDaS16_S17_SN_SS_EUlS16_E_NS1_11comp_targetILNS1_3genE10ELNS1_11target_archE1201ELNS1_3gpuE5ELNS1_3repE0EEENS1_47radix_sort_onesweep_sort_config_static_selectorELNS0_4arch9wavefront6targetE0EEEvSN_
	.p2align	8
	.type	_ZN7rocprim17ROCPRIM_400000_NS6detail17trampoline_kernelINS0_14default_configENS1_35radix_sort_onesweep_config_selectorIjN6thrust23THRUST_200600_302600_NS5tupleIffNS6_9null_typeES8_S8_S8_S8_S8_S8_S8_EEEEZZNS1_29radix_sort_onesweep_iterationIS3_Lb0ENS6_6detail15normal_iteratorINS6_10device_ptrIjEEEESG_NSD_INSE_IS9_EEEESI_jNS0_19identity_decomposerENS1_16block_id_wrapperIjLb1EEEEE10hipError_tT1_PNSt15iterator_traitsISN_E10value_typeET2_T3_PNSO_IST_E10value_typeET4_T5_PSY_SZ_PNS1_23onesweep_lookback_stateEbbT6_jjT7_P12ihipStream_tbENKUlT_T0_SN_SS_E_clIPjSG_PS9_SI_EEDaS16_S17_SN_SS_EUlS16_E_NS1_11comp_targetILNS1_3genE10ELNS1_11target_archE1201ELNS1_3gpuE5ELNS1_3repE0EEENS1_47radix_sort_onesweep_sort_config_static_selectorELNS0_4arch9wavefront6targetE0EEEvSN_,@function
_ZN7rocprim17ROCPRIM_400000_NS6detail17trampoline_kernelINS0_14default_configENS1_35radix_sort_onesweep_config_selectorIjN6thrust23THRUST_200600_302600_NS5tupleIffNS6_9null_typeES8_S8_S8_S8_S8_S8_S8_EEEEZZNS1_29radix_sort_onesweep_iterationIS3_Lb0ENS6_6detail15normal_iteratorINS6_10device_ptrIjEEEESG_NSD_INSE_IS9_EEEESI_jNS0_19identity_decomposerENS1_16block_id_wrapperIjLb1EEEEE10hipError_tT1_PNSt15iterator_traitsISN_E10value_typeET2_T3_PNSO_IST_E10value_typeET4_T5_PSY_SZ_PNS1_23onesweep_lookback_stateEbbT6_jjT7_P12ihipStream_tbENKUlT_T0_SN_SS_E_clIPjSG_PS9_SI_EEDaS16_S17_SN_SS_EUlS16_E_NS1_11comp_targetILNS1_3genE10ELNS1_11target_archE1201ELNS1_3gpuE5ELNS1_3repE0EEENS1_47radix_sort_onesweep_sort_config_static_selectorELNS0_4arch9wavefront6targetE0EEEvSN_: ; @_ZN7rocprim17ROCPRIM_400000_NS6detail17trampoline_kernelINS0_14default_configENS1_35radix_sort_onesweep_config_selectorIjN6thrust23THRUST_200600_302600_NS5tupleIffNS6_9null_typeES8_S8_S8_S8_S8_S8_S8_EEEEZZNS1_29radix_sort_onesweep_iterationIS3_Lb0ENS6_6detail15normal_iteratorINS6_10device_ptrIjEEEESG_NSD_INSE_IS9_EEEESI_jNS0_19identity_decomposerENS1_16block_id_wrapperIjLb1EEEEE10hipError_tT1_PNSt15iterator_traitsISN_E10value_typeET2_T3_PNSO_IST_E10value_typeET4_T5_PSY_SZ_PNS1_23onesweep_lookback_stateEbbT6_jjT7_P12ihipStream_tbENKUlT_T0_SN_SS_E_clIPjSG_PS9_SI_EEDaS16_S17_SN_SS_EUlS16_E_NS1_11comp_targetILNS1_3genE10ELNS1_11target_archE1201ELNS1_3gpuE5ELNS1_3repE0EEENS1_47radix_sort_onesweep_sort_config_static_selectorELNS0_4arch9wavefront6targetE0EEEvSN_
; %bb.0:
	.section	.rodata,"a",@progbits
	.p2align	6, 0x0
	.amdhsa_kernel _ZN7rocprim17ROCPRIM_400000_NS6detail17trampoline_kernelINS0_14default_configENS1_35radix_sort_onesweep_config_selectorIjN6thrust23THRUST_200600_302600_NS5tupleIffNS6_9null_typeES8_S8_S8_S8_S8_S8_S8_EEEEZZNS1_29radix_sort_onesweep_iterationIS3_Lb0ENS6_6detail15normal_iteratorINS6_10device_ptrIjEEEESG_NSD_INSE_IS9_EEEESI_jNS0_19identity_decomposerENS1_16block_id_wrapperIjLb1EEEEE10hipError_tT1_PNSt15iterator_traitsISN_E10value_typeET2_T3_PNSO_IST_E10value_typeET4_T5_PSY_SZ_PNS1_23onesweep_lookback_stateEbbT6_jjT7_P12ihipStream_tbENKUlT_T0_SN_SS_E_clIPjSG_PS9_SI_EEDaS16_S17_SN_SS_EUlS16_E_NS1_11comp_targetILNS1_3genE10ELNS1_11target_archE1201ELNS1_3gpuE5ELNS1_3repE0EEENS1_47radix_sort_onesweep_sort_config_static_selectorELNS0_4arch9wavefront6targetE0EEEvSN_
		.amdhsa_group_segment_fixed_size 0
		.amdhsa_private_segment_fixed_size 0
		.amdhsa_kernarg_size 88
		.amdhsa_user_sgpr_count 6
		.amdhsa_user_sgpr_private_segment_buffer 1
		.amdhsa_user_sgpr_dispatch_ptr 0
		.amdhsa_user_sgpr_queue_ptr 0
		.amdhsa_user_sgpr_kernarg_segment_ptr 1
		.amdhsa_user_sgpr_dispatch_id 0
		.amdhsa_user_sgpr_flat_scratch_init 0
		.amdhsa_user_sgpr_private_segment_size 0
		.amdhsa_wavefront_size32 1
		.amdhsa_uses_dynamic_stack 0
		.amdhsa_system_sgpr_private_segment_wavefront_offset 0
		.amdhsa_system_sgpr_workgroup_id_x 1
		.amdhsa_system_sgpr_workgroup_id_y 0
		.amdhsa_system_sgpr_workgroup_id_z 0
		.amdhsa_system_sgpr_workgroup_info 0
		.amdhsa_system_vgpr_workitem_id 0
		.amdhsa_next_free_vgpr 1
		.amdhsa_next_free_sgpr 1
		.amdhsa_reserve_vcc 0
		.amdhsa_reserve_flat_scratch 0
		.amdhsa_float_round_mode_32 0
		.amdhsa_float_round_mode_16_64 0
		.amdhsa_float_denorm_mode_32 3
		.amdhsa_float_denorm_mode_16_64 3
		.amdhsa_dx10_clamp 1
		.amdhsa_ieee_mode 1
		.amdhsa_fp16_overflow 0
		.amdhsa_workgroup_processor_mode 1
		.amdhsa_memory_ordered 1
		.amdhsa_forward_progress 1
		.amdhsa_shared_vgpr_count 0
		.amdhsa_exception_fp_ieee_invalid_op 0
		.amdhsa_exception_fp_denorm_src 0
		.amdhsa_exception_fp_ieee_div_zero 0
		.amdhsa_exception_fp_ieee_overflow 0
		.amdhsa_exception_fp_ieee_underflow 0
		.amdhsa_exception_fp_ieee_inexact 0
		.amdhsa_exception_int_div_zero 0
	.end_amdhsa_kernel
	.section	.text._ZN7rocprim17ROCPRIM_400000_NS6detail17trampoline_kernelINS0_14default_configENS1_35radix_sort_onesweep_config_selectorIjN6thrust23THRUST_200600_302600_NS5tupleIffNS6_9null_typeES8_S8_S8_S8_S8_S8_S8_EEEEZZNS1_29radix_sort_onesweep_iterationIS3_Lb0ENS6_6detail15normal_iteratorINS6_10device_ptrIjEEEESG_NSD_INSE_IS9_EEEESI_jNS0_19identity_decomposerENS1_16block_id_wrapperIjLb1EEEEE10hipError_tT1_PNSt15iterator_traitsISN_E10value_typeET2_T3_PNSO_IST_E10value_typeET4_T5_PSY_SZ_PNS1_23onesweep_lookback_stateEbbT6_jjT7_P12ihipStream_tbENKUlT_T0_SN_SS_E_clIPjSG_PS9_SI_EEDaS16_S17_SN_SS_EUlS16_E_NS1_11comp_targetILNS1_3genE10ELNS1_11target_archE1201ELNS1_3gpuE5ELNS1_3repE0EEENS1_47radix_sort_onesweep_sort_config_static_selectorELNS0_4arch9wavefront6targetE0EEEvSN_,"axG",@progbits,_ZN7rocprim17ROCPRIM_400000_NS6detail17trampoline_kernelINS0_14default_configENS1_35radix_sort_onesweep_config_selectorIjN6thrust23THRUST_200600_302600_NS5tupleIffNS6_9null_typeES8_S8_S8_S8_S8_S8_S8_EEEEZZNS1_29radix_sort_onesweep_iterationIS3_Lb0ENS6_6detail15normal_iteratorINS6_10device_ptrIjEEEESG_NSD_INSE_IS9_EEEESI_jNS0_19identity_decomposerENS1_16block_id_wrapperIjLb1EEEEE10hipError_tT1_PNSt15iterator_traitsISN_E10value_typeET2_T3_PNSO_IST_E10value_typeET4_T5_PSY_SZ_PNS1_23onesweep_lookback_stateEbbT6_jjT7_P12ihipStream_tbENKUlT_T0_SN_SS_E_clIPjSG_PS9_SI_EEDaS16_S17_SN_SS_EUlS16_E_NS1_11comp_targetILNS1_3genE10ELNS1_11target_archE1201ELNS1_3gpuE5ELNS1_3repE0EEENS1_47radix_sort_onesweep_sort_config_static_selectorELNS0_4arch9wavefront6targetE0EEEvSN_,comdat
.Lfunc_end199:
	.size	_ZN7rocprim17ROCPRIM_400000_NS6detail17trampoline_kernelINS0_14default_configENS1_35radix_sort_onesweep_config_selectorIjN6thrust23THRUST_200600_302600_NS5tupleIffNS6_9null_typeES8_S8_S8_S8_S8_S8_S8_EEEEZZNS1_29radix_sort_onesweep_iterationIS3_Lb0ENS6_6detail15normal_iteratorINS6_10device_ptrIjEEEESG_NSD_INSE_IS9_EEEESI_jNS0_19identity_decomposerENS1_16block_id_wrapperIjLb1EEEEE10hipError_tT1_PNSt15iterator_traitsISN_E10value_typeET2_T3_PNSO_IST_E10value_typeET4_T5_PSY_SZ_PNS1_23onesweep_lookback_stateEbbT6_jjT7_P12ihipStream_tbENKUlT_T0_SN_SS_E_clIPjSG_PS9_SI_EEDaS16_S17_SN_SS_EUlS16_E_NS1_11comp_targetILNS1_3genE10ELNS1_11target_archE1201ELNS1_3gpuE5ELNS1_3repE0EEENS1_47radix_sort_onesweep_sort_config_static_selectorELNS0_4arch9wavefront6targetE0EEEvSN_, .Lfunc_end199-_ZN7rocprim17ROCPRIM_400000_NS6detail17trampoline_kernelINS0_14default_configENS1_35radix_sort_onesweep_config_selectorIjN6thrust23THRUST_200600_302600_NS5tupleIffNS6_9null_typeES8_S8_S8_S8_S8_S8_S8_EEEEZZNS1_29radix_sort_onesweep_iterationIS3_Lb0ENS6_6detail15normal_iteratorINS6_10device_ptrIjEEEESG_NSD_INSE_IS9_EEEESI_jNS0_19identity_decomposerENS1_16block_id_wrapperIjLb1EEEEE10hipError_tT1_PNSt15iterator_traitsISN_E10value_typeET2_T3_PNSO_IST_E10value_typeET4_T5_PSY_SZ_PNS1_23onesweep_lookback_stateEbbT6_jjT7_P12ihipStream_tbENKUlT_T0_SN_SS_E_clIPjSG_PS9_SI_EEDaS16_S17_SN_SS_EUlS16_E_NS1_11comp_targetILNS1_3genE10ELNS1_11target_archE1201ELNS1_3gpuE5ELNS1_3repE0EEENS1_47radix_sort_onesweep_sort_config_static_selectorELNS0_4arch9wavefront6targetE0EEEvSN_
                                        ; -- End function
	.set _ZN7rocprim17ROCPRIM_400000_NS6detail17trampoline_kernelINS0_14default_configENS1_35radix_sort_onesweep_config_selectorIjN6thrust23THRUST_200600_302600_NS5tupleIffNS6_9null_typeES8_S8_S8_S8_S8_S8_S8_EEEEZZNS1_29radix_sort_onesweep_iterationIS3_Lb0ENS6_6detail15normal_iteratorINS6_10device_ptrIjEEEESG_NSD_INSE_IS9_EEEESI_jNS0_19identity_decomposerENS1_16block_id_wrapperIjLb1EEEEE10hipError_tT1_PNSt15iterator_traitsISN_E10value_typeET2_T3_PNSO_IST_E10value_typeET4_T5_PSY_SZ_PNS1_23onesweep_lookback_stateEbbT6_jjT7_P12ihipStream_tbENKUlT_T0_SN_SS_E_clIPjSG_PS9_SI_EEDaS16_S17_SN_SS_EUlS16_E_NS1_11comp_targetILNS1_3genE10ELNS1_11target_archE1201ELNS1_3gpuE5ELNS1_3repE0EEENS1_47radix_sort_onesweep_sort_config_static_selectorELNS0_4arch9wavefront6targetE0EEEvSN_.num_vgpr, 0
	.set _ZN7rocprim17ROCPRIM_400000_NS6detail17trampoline_kernelINS0_14default_configENS1_35radix_sort_onesweep_config_selectorIjN6thrust23THRUST_200600_302600_NS5tupleIffNS6_9null_typeES8_S8_S8_S8_S8_S8_S8_EEEEZZNS1_29radix_sort_onesweep_iterationIS3_Lb0ENS6_6detail15normal_iteratorINS6_10device_ptrIjEEEESG_NSD_INSE_IS9_EEEESI_jNS0_19identity_decomposerENS1_16block_id_wrapperIjLb1EEEEE10hipError_tT1_PNSt15iterator_traitsISN_E10value_typeET2_T3_PNSO_IST_E10value_typeET4_T5_PSY_SZ_PNS1_23onesweep_lookback_stateEbbT6_jjT7_P12ihipStream_tbENKUlT_T0_SN_SS_E_clIPjSG_PS9_SI_EEDaS16_S17_SN_SS_EUlS16_E_NS1_11comp_targetILNS1_3genE10ELNS1_11target_archE1201ELNS1_3gpuE5ELNS1_3repE0EEENS1_47radix_sort_onesweep_sort_config_static_selectorELNS0_4arch9wavefront6targetE0EEEvSN_.num_agpr, 0
	.set _ZN7rocprim17ROCPRIM_400000_NS6detail17trampoline_kernelINS0_14default_configENS1_35radix_sort_onesweep_config_selectorIjN6thrust23THRUST_200600_302600_NS5tupleIffNS6_9null_typeES8_S8_S8_S8_S8_S8_S8_EEEEZZNS1_29radix_sort_onesweep_iterationIS3_Lb0ENS6_6detail15normal_iteratorINS6_10device_ptrIjEEEESG_NSD_INSE_IS9_EEEESI_jNS0_19identity_decomposerENS1_16block_id_wrapperIjLb1EEEEE10hipError_tT1_PNSt15iterator_traitsISN_E10value_typeET2_T3_PNSO_IST_E10value_typeET4_T5_PSY_SZ_PNS1_23onesweep_lookback_stateEbbT6_jjT7_P12ihipStream_tbENKUlT_T0_SN_SS_E_clIPjSG_PS9_SI_EEDaS16_S17_SN_SS_EUlS16_E_NS1_11comp_targetILNS1_3genE10ELNS1_11target_archE1201ELNS1_3gpuE5ELNS1_3repE0EEENS1_47radix_sort_onesweep_sort_config_static_selectorELNS0_4arch9wavefront6targetE0EEEvSN_.numbered_sgpr, 0
	.set _ZN7rocprim17ROCPRIM_400000_NS6detail17trampoline_kernelINS0_14default_configENS1_35radix_sort_onesweep_config_selectorIjN6thrust23THRUST_200600_302600_NS5tupleIffNS6_9null_typeES8_S8_S8_S8_S8_S8_S8_EEEEZZNS1_29radix_sort_onesweep_iterationIS3_Lb0ENS6_6detail15normal_iteratorINS6_10device_ptrIjEEEESG_NSD_INSE_IS9_EEEESI_jNS0_19identity_decomposerENS1_16block_id_wrapperIjLb1EEEEE10hipError_tT1_PNSt15iterator_traitsISN_E10value_typeET2_T3_PNSO_IST_E10value_typeET4_T5_PSY_SZ_PNS1_23onesweep_lookback_stateEbbT6_jjT7_P12ihipStream_tbENKUlT_T0_SN_SS_E_clIPjSG_PS9_SI_EEDaS16_S17_SN_SS_EUlS16_E_NS1_11comp_targetILNS1_3genE10ELNS1_11target_archE1201ELNS1_3gpuE5ELNS1_3repE0EEENS1_47radix_sort_onesweep_sort_config_static_selectorELNS0_4arch9wavefront6targetE0EEEvSN_.num_named_barrier, 0
	.set _ZN7rocprim17ROCPRIM_400000_NS6detail17trampoline_kernelINS0_14default_configENS1_35radix_sort_onesweep_config_selectorIjN6thrust23THRUST_200600_302600_NS5tupleIffNS6_9null_typeES8_S8_S8_S8_S8_S8_S8_EEEEZZNS1_29radix_sort_onesweep_iterationIS3_Lb0ENS6_6detail15normal_iteratorINS6_10device_ptrIjEEEESG_NSD_INSE_IS9_EEEESI_jNS0_19identity_decomposerENS1_16block_id_wrapperIjLb1EEEEE10hipError_tT1_PNSt15iterator_traitsISN_E10value_typeET2_T3_PNSO_IST_E10value_typeET4_T5_PSY_SZ_PNS1_23onesweep_lookback_stateEbbT6_jjT7_P12ihipStream_tbENKUlT_T0_SN_SS_E_clIPjSG_PS9_SI_EEDaS16_S17_SN_SS_EUlS16_E_NS1_11comp_targetILNS1_3genE10ELNS1_11target_archE1201ELNS1_3gpuE5ELNS1_3repE0EEENS1_47radix_sort_onesweep_sort_config_static_selectorELNS0_4arch9wavefront6targetE0EEEvSN_.private_seg_size, 0
	.set _ZN7rocprim17ROCPRIM_400000_NS6detail17trampoline_kernelINS0_14default_configENS1_35radix_sort_onesweep_config_selectorIjN6thrust23THRUST_200600_302600_NS5tupleIffNS6_9null_typeES8_S8_S8_S8_S8_S8_S8_EEEEZZNS1_29radix_sort_onesweep_iterationIS3_Lb0ENS6_6detail15normal_iteratorINS6_10device_ptrIjEEEESG_NSD_INSE_IS9_EEEESI_jNS0_19identity_decomposerENS1_16block_id_wrapperIjLb1EEEEE10hipError_tT1_PNSt15iterator_traitsISN_E10value_typeET2_T3_PNSO_IST_E10value_typeET4_T5_PSY_SZ_PNS1_23onesweep_lookback_stateEbbT6_jjT7_P12ihipStream_tbENKUlT_T0_SN_SS_E_clIPjSG_PS9_SI_EEDaS16_S17_SN_SS_EUlS16_E_NS1_11comp_targetILNS1_3genE10ELNS1_11target_archE1201ELNS1_3gpuE5ELNS1_3repE0EEENS1_47radix_sort_onesweep_sort_config_static_selectorELNS0_4arch9wavefront6targetE0EEEvSN_.uses_vcc, 0
	.set _ZN7rocprim17ROCPRIM_400000_NS6detail17trampoline_kernelINS0_14default_configENS1_35radix_sort_onesweep_config_selectorIjN6thrust23THRUST_200600_302600_NS5tupleIffNS6_9null_typeES8_S8_S8_S8_S8_S8_S8_EEEEZZNS1_29radix_sort_onesweep_iterationIS3_Lb0ENS6_6detail15normal_iteratorINS6_10device_ptrIjEEEESG_NSD_INSE_IS9_EEEESI_jNS0_19identity_decomposerENS1_16block_id_wrapperIjLb1EEEEE10hipError_tT1_PNSt15iterator_traitsISN_E10value_typeET2_T3_PNSO_IST_E10value_typeET4_T5_PSY_SZ_PNS1_23onesweep_lookback_stateEbbT6_jjT7_P12ihipStream_tbENKUlT_T0_SN_SS_E_clIPjSG_PS9_SI_EEDaS16_S17_SN_SS_EUlS16_E_NS1_11comp_targetILNS1_3genE10ELNS1_11target_archE1201ELNS1_3gpuE5ELNS1_3repE0EEENS1_47radix_sort_onesweep_sort_config_static_selectorELNS0_4arch9wavefront6targetE0EEEvSN_.uses_flat_scratch, 0
	.set _ZN7rocprim17ROCPRIM_400000_NS6detail17trampoline_kernelINS0_14default_configENS1_35radix_sort_onesweep_config_selectorIjN6thrust23THRUST_200600_302600_NS5tupleIffNS6_9null_typeES8_S8_S8_S8_S8_S8_S8_EEEEZZNS1_29radix_sort_onesweep_iterationIS3_Lb0ENS6_6detail15normal_iteratorINS6_10device_ptrIjEEEESG_NSD_INSE_IS9_EEEESI_jNS0_19identity_decomposerENS1_16block_id_wrapperIjLb1EEEEE10hipError_tT1_PNSt15iterator_traitsISN_E10value_typeET2_T3_PNSO_IST_E10value_typeET4_T5_PSY_SZ_PNS1_23onesweep_lookback_stateEbbT6_jjT7_P12ihipStream_tbENKUlT_T0_SN_SS_E_clIPjSG_PS9_SI_EEDaS16_S17_SN_SS_EUlS16_E_NS1_11comp_targetILNS1_3genE10ELNS1_11target_archE1201ELNS1_3gpuE5ELNS1_3repE0EEENS1_47radix_sort_onesweep_sort_config_static_selectorELNS0_4arch9wavefront6targetE0EEEvSN_.has_dyn_sized_stack, 0
	.set _ZN7rocprim17ROCPRIM_400000_NS6detail17trampoline_kernelINS0_14default_configENS1_35radix_sort_onesweep_config_selectorIjN6thrust23THRUST_200600_302600_NS5tupleIffNS6_9null_typeES8_S8_S8_S8_S8_S8_S8_EEEEZZNS1_29radix_sort_onesweep_iterationIS3_Lb0ENS6_6detail15normal_iteratorINS6_10device_ptrIjEEEESG_NSD_INSE_IS9_EEEESI_jNS0_19identity_decomposerENS1_16block_id_wrapperIjLb1EEEEE10hipError_tT1_PNSt15iterator_traitsISN_E10value_typeET2_T3_PNSO_IST_E10value_typeET4_T5_PSY_SZ_PNS1_23onesweep_lookback_stateEbbT6_jjT7_P12ihipStream_tbENKUlT_T0_SN_SS_E_clIPjSG_PS9_SI_EEDaS16_S17_SN_SS_EUlS16_E_NS1_11comp_targetILNS1_3genE10ELNS1_11target_archE1201ELNS1_3gpuE5ELNS1_3repE0EEENS1_47radix_sort_onesweep_sort_config_static_selectorELNS0_4arch9wavefront6targetE0EEEvSN_.has_recursion, 0
	.set _ZN7rocprim17ROCPRIM_400000_NS6detail17trampoline_kernelINS0_14default_configENS1_35radix_sort_onesweep_config_selectorIjN6thrust23THRUST_200600_302600_NS5tupleIffNS6_9null_typeES8_S8_S8_S8_S8_S8_S8_EEEEZZNS1_29radix_sort_onesweep_iterationIS3_Lb0ENS6_6detail15normal_iteratorINS6_10device_ptrIjEEEESG_NSD_INSE_IS9_EEEESI_jNS0_19identity_decomposerENS1_16block_id_wrapperIjLb1EEEEE10hipError_tT1_PNSt15iterator_traitsISN_E10value_typeET2_T3_PNSO_IST_E10value_typeET4_T5_PSY_SZ_PNS1_23onesweep_lookback_stateEbbT6_jjT7_P12ihipStream_tbENKUlT_T0_SN_SS_E_clIPjSG_PS9_SI_EEDaS16_S17_SN_SS_EUlS16_E_NS1_11comp_targetILNS1_3genE10ELNS1_11target_archE1201ELNS1_3gpuE5ELNS1_3repE0EEENS1_47radix_sort_onesweep_sort_config_static_selectorELNS0_4arch9wavefront6targetE0EEEvSN_.has_indirect_call, 0
	.section	.AMDGPU.csdata,"",@progbits
; Kernel info:
; codeLenInByte = 0
; TotalNumSgprs: 0
; NumVgprs: 0
; ScratchSize: 0
; MemoryBound: 0
; FloatMode: 240
; IeeeMode: 1
; LDSByteSize: 0 bytes/workgroup (compile time only)
; SGPRBlocks: 0
; VGPRBlocks: 0
; NumSGPRsForWavesPerEU: 1
; NumVGPRsForWavesPerEU: 1
; Occupancy: 16
; WaveLimiterHint : 0
; COMPUTE_PGM_RSRC2:SCRATCH_EN: 0
; COMPUTE_PGM_RSRC2:USER_SGPR: 6
; COMPUTE_PGM_RSRC2:TRAP_HANDLER: 0
; COMPUTE_PGM_RSRC2:TGID_X_EN: 1
; COMPUTE_PGM_RSRC2:TGID_Y_EN: 0
; COMPUTE_PGM_RSRC2:TGID_Z_EN: 0
; COMPUTE_PGM_RSRC2:TIDIG_COMP_CNT: 0
	.section	.text._ZN7rocprim17ROCPRIM_400000_NS6detail17trampoline_kernelINS0_14default_configENS1_35radix_sort_onesweep_config_selectorIjN6thrust23THRUST_200600_302600_NS5tupleIffNS6_9null_typeES8_S8_S8_S8_S8_S8_S8_EEEEZZNS1_29radix_sort_onesweep_iterationIS3_Lb0ENS6_6detail15normal_iteratorINS6_10device_ptrIjEEEESG_NSD_INSE_IS9_EEEESI_jNS0_19identity_decomposerENS1_16block_id_wrapperIjLb1EEEEE10hipError_tT1_PNSt15iterator_traitsISN_E10value_typeET2_T3_PNSO_IST_E10value_typeET4_T5_PSY_SZ_PNS1_23onesweep_lookback_stateEbbT6_jjT7_P12ihipStream_tbENKUlT_T0_SN_SS_E_clIPjSG_PS9_SI_EEDaS16_S17_SN_SS_EUlS16_E_NS1_11comp_targetILNS1_3genE9ELNS1_11target_archE1100ELNS1_3gpuE3ELNS1_3repE0EEENS1_47radix_sort_onesweep_sort_config_static_selectorELNS0_4arch9wavefront6targetE0EEEvSN_,"axG",@progbits,_ZN7rocprim17ROCPRIM_400000_NS6detail17trampoline_kernelINS0_14default_configENS1_35radix_sort_onesweep_config_selectorIjN6thrust23THRUST_200600_302600_NS5tupleIffNS6_9null_typeES8_S8_S8_S8_S8_S8_S8_EEEEZZNS1_29radix_sort_onesweep_iterationIS3_Lb0ENS6_6detail15normal_iteratorINS6_10device_ptrIjEEEESG_NSD_INSE_IS9_EEEESI_jNS0_19identity_decomposerENS1_16block_id_wrapperIjLb1EEEEE10hipError_tT1_PNSt15iterator_traitsISN_E10value_typeET2_T3_PNSO_IST_E10value_typeET4_T5_PSY_SZ_PNS1_23onesweep_lookback_stateEbbT6_jjT7_P12ihipStream_tbENKUlT_T0_SN_SS_E_clIPjSG_PS9_SI_EEDaS16_S17_SN_SS_EUlS16_E_NS1_11comp_targetILNS1_3genE9ELNS1_11target_archE1100ELNS1_3gpuE3ELNS1_3repE0EEENS1_47radix_sort_onesweep_sort_config_static_selectorELNS0_4arch9wavefront6targetE0EEEvSN_,comdat
	.protected	_ZN7rocprim17ROCPRIM_400000_NS6detail17trampoline_kernelINS0_14default_configENS1_35radix_sort_onesweep_config_selectorIjN6thrust23THRUST_200600_302600_NS5tupleIffNS6_9null_typeES8_S8_S8_S8_S8_S8_S8_EEEEZZNS1_29radix_sort_onesweep_iterationIS3_Lb0ENS6_6detail15normal_iteratorINS6_10device_ptrIjEEEESG_NSD_INSE_IS9_EEEESI_jNS0_19identity_decomposerENS1_16block_id_wrapperIjLb1EEEEE10hipError_tT1_PNSt15iterator_traitsISN_E10value_typeET2_T3_PNSO_IST_E10value_typeET4_T5_PSY_SZ_PNS1_23onesweep_lookback_stateEbbT6_jjT7_P12ihipStream_tbENKUlT_T0_SN_SS_E_clIPjSG_PS9_SI_EEDaS16_S17_SN_SS_EUlS16_E_NS1_11comp_targetILNS1_3genE9ELNS1_11target_archE1100ELNS1_3gpuE3ELNS1_3repE0EEENS1_47radix_sort_onesweep_sort_config_static_selectorELNS0_4arch9wavefront6targetE0EEEvSN_ ; -- Begin function _ZN7rocprim17ROCPRIM_400000_NS6detail17trampoline_kernelINS0_14default_configENS1_35radix_sort_onesweep_config_selectorIjN6thrust23THRUST_200600_302600_NS5tupleIffNS6_9null_typeES8_S8_S8_S8_S8_S8_S8_EEEEZZNS1_29radix_sort_onesweep_iterationIS3_Lb0ENS6_6detail15normal_iteratorINS6_10device_ptrIjEEEESG_NSD_INSE_IS9_EEEESI_jNS0_19identity_decomposerENS1_16block_id_wrapperIjLb1EEEEE10hipError_tT1_PNSt15iterator_traitsISN_E10value_typeET2_T3_PNSO_IST_E10value_typeET4_T5_PSY_SZ_PNS1_23onesweep_lookback_stateEbbT6_jjT7_P12ihipStream_tbENKUlT_T0_SN_SS_E_clIPjSG_PS9_SI_EEDaS16_S17_SN_SS_EUlS16_E_NS1_11comp_targetILNS1_3genE9ELNS1_11target_archE1100ELNS1_3gpuE3ELNS1_3repE0EEENS1_47radix_sort_onesweep_sort_config_static_selectorELNS0_4arch9wavefront6targetE0EEEvSN_
	.globl	_ZN7rocprim17ROCPRIM_400000_NS6detail17trampoline_kernelINS0_14default_configENS1_35radix_sort_onesweep_config_selectorIjN6thrust23THRUST_200600_302600_NS5tupleIffNS6_9null_typeES8_S8_S8_S8_S8_S8_S8_EEEEZZNS1_29radix_sort_onesweep_iterationIS3_Lb0ENS6_6detail15normal_iteratorINS6_10device_ptrIjEEEESG_NSD_INSE_IS9_EEEESI_jNS0_19identity_decomposerENS1_16block_id_wrapperIjLb1EEEEE10hipError_tT1_PNSt15iterator_traitsISN_E10value_typeET2_T3_PNSO_IST_E10value_typeET4_T5_PSY_SZ_PNS1_23onesweep_lookback_stateEbbT6_jjT7_P12ihipStream_tbENKUlT_T0_SN_SS_E_clIPjSG_PS9_SI_EEDaS16_S17_SN_SS_EUlS16_E_NS1_11comp_targetILNS1_3genE9ELNS1_11target_archE1100ELNS1_3gpuE3ELNS1_3repE0EEENS1_47radix_sort_onesweep_sort_config_static_selectorELNS0_4arch9wavefront6targetE0EEEvSN_
	.p2align	8
	.type	_ZN7rocprim17ROCPRIM_400000_NS6detail17trampoline_kernelINS0_14default_configENS1_35radix_sort_onesweep_config_selectorIjN6thrust23THRUST_200600_302600_NS5tupleIffNS6_9null_typeES8_S8_S8_S8_S8_S8_S8_EEEEZZNS1_29radix_sort_onesweep_iterationIS3_Lb0ENS6_6detail15normal_iteratorINS6_10device_ptrIjEEEESG_NSD_INSE_IS9_EEEESI_jNS0_19identity_decomposerENS1_16block_id_wrapperIjLb1EEEEE10hipError_tT1_PNSt15iterator_traitsISN_E10value_typeET2_T3_PNSO_IST_E10value_typeET4_T5_PSY_SZ_PNS1_23onesweep_lookback_stateEbbT6_jjT7_P12ihipStream_tbENKUlT_T0_SN_SS_E_clIPjSG_PS9_SI_EEDaS16_S17_SN_SS_EUlS16_E_NS1_11comp_targetILNS1_3genE9ELNS1_11target_archE1100ELNS1_3gpuE3ELNS1_3repE0EEENS1_47radix_sort_onesweep_sort_config_static_selectorELNS0_4arch9wavefront6targetE0EEEvSN_,@function
_ZN7rocprim17ROCPRIM_400000_NS6detail17trampoline_kernelINS0_14default_configENS1_35radix_sort_onesweep_config_selectorIjN6thrust23THRUST_200600_302600_NS5tupleIffNS6_9null_typeES8_S8_S8_S8_S8_S8_S8_EEEEZZNS1_29radix_sort_onesweep_iterationIS3_Lb0ENS6_6detail15normal_iteratorINS6_10device_ptrIjEEEESG_NSD_INSE_IS9_EEEESI_jNS0_19identity_decomposerENS1_16block_id_wrapperIjLb1EEEEE10hipError_tT1_PNSt15iterator_traitsISN_E10value_typeET2_T3_PNSO_IST_E10value_typeET4_T5_PSY_SZ_PNS1_23onesweep_lookback_stateEbbT6_jjT7_P12ihipStream_tbENKUlT_T0_SN_SS_E_clIPjSG_PS9_SI_EEDaS16_S17_SN_SS_EUlS16_E_NS1_11comp_targetILNS1_3genE9ELNS1_11target_archE1100ELNS1_3gpuE3ELNS1_3repE0EEENS1_47radix_sort_onesweep_sort_config_static_selectorELNS0_4arch9wavefront6targetE0EEEvSN_: ; @_ZN7rocprim17ROCPRIM_400000_NS6detail17trampoline_kernelINS0_14default_configENS1_35radix_sort_onesweep_config_selectorIjN6thrust23THRUST_200600_302600_NS5tupleIffNS6_9null_typeES8_S8_S8_S8_S8_S8_S8_EEEEZZNS1_29radix_sort_onesweep_iterationIS3_Lb0ENS6_6detail15normal_iteratorINS6_10device_ptrIjEEEESG_NSD_INSE_IS9_EEEESI_jNS0_19identity_decomposerENS1_16block_id_wrapperIjLb1EEEEE10hipError_tT1_PNSt15iterator_traitsISN_E10value_typeET2_T3_PNSO_IST_E10value_typeET4_T5_PSY_SZ_PNS1_23onesweep_lookback_stateEbbT6_jjT7_P12ihipStream_tbENKUlT_T0_SN_SS_E_clIPjSG_PS9_SI_EEDaS16_S17_SN_SS_EUlS16_E_NS1_11comp_targetILNS1_3genE9ELNS1_11target_archE1100ELNS1_3gpuE3ELNS1_3repE0EEENS1_47radix_sort_onesweep_sort_config_static_selectorELNS0_4arch9wavefront6targetE0EEEvSN_
; %bb.0:
	.section	.rodata,"a",@progbits
	.p2align	6, 0x0
	.amdhsa_kernel _ZN7rocprim17ROCPRIM_400000_NS6detail17trampoline_kernelINS0_14default_configENS1_35radix_sort_onesweep_config_selectorIjN6thrust23THRUST_200600_302600_NS5tupleIffNS6_9null_typeES8_S8_S8_S8_S8_S8_S8_EEEEZZNS1_29radix_sort_onesweep_iterationIS3_Lb0ENS6_6detail15normal_iteratorINS6_10device_ptrIjEEEESG_NSD_INSE_IS9_EEEESI_jNS0_19identity_decomposerENS1_16block_id_wrapperIjLb1EEEEE10hipError_tT1_PNSt15iterator_traitsISN_E10value_typeET2_T3_PNSO_IST_E10value_typeET4_T5_PSY_SZ_PNS1_23onesweep_lookback_stateEbbT6_jjT7_P12ihipStream_tbENKUlT_T0_SN_SS_E_clIPjSG_PS9_SI_EEDaS16_S17_SN_SS_EUlS16_E_NS1_11comp_targetILNS1_3genE9ELNS1_11target_archE1100ELNS1_3gpuE3ELNS1_3repE0EEENS1_47radix_sort_onesweep_sort_config_static_selectorELNS0_4arch9wavefront6targetE0EEEvSN_
		.amdhsa_group_segment_fixed_size 0
		.amdhsa_private_segment_fixed_size 0
		.amdhsa_kernarg_size 88
		.amdhsa_user_sgpr_count 6
		.amdhsa_user_sgpr_private_segment_buffer 1
		.amdhsa_user_sgpr_dispatch_ptr 0
		.amdhsa_user_sgpr_queue_ptr 0
		.amdhsa_user_sgpr_kernarg_segment_ptr 1
		.amdhsa_user_sgpr_dispatch_id 0
		.amdhsa_user_sgpr_flat_scratch_init 0
		.amdhsa_user_sgpr_private_segment_size 0
		.amdhsa_wavefront_size32 1
		.amdhsa_uses_dynamic_stack 0
		.amdhsa_system_sgpr_private_segment_wavefront_offset 0
		.amdhsa_system_sgpr_workgroup_id_x 1
		.amdhsa_system_sgpr_workgroup_id_y 0
		.amdhsa_system_sgpr_workgroup_id_z 0
		.amdhsa_system_sgpr_workgroup_info 0
		.amdhsa_system_vgpr_workitem_id 0
		.amdhsa_next_free_vgpr 1
		.amdhsa_next_free_sgpr 1
		.amdhsa_reserve_vcc 0
		.amdhsa_reserve_flat_scratch 0
		.amdhsa_float_round_mode_32 0
		.amdhsa_float_round_mode_16_64 0
		.amdhsa_float_denorm_mode_32 3
		.amdhsa_float_denorm_mode_16_64 3
		.amdhsa_dx10_clamp 1
		.amdhsa_ieee_mode 1
		.amdhsa_fp16_overflow 0
		.amdhsa_workgroup_processor_mode 1
		.amdhsa_memory_ordered 1
		.amdhsa_forward_progress 1
		.amdhsa_shared_vgpr_count 0
		.amdhsa_exception_fp_ieee_invalid_op 0
		.amdhsa_exception_fp_denorm_src 0
		.amdhsa_exception_fp_ieee_div_zero 0
		.amdhsa_exception_fp_ieee_overflow 0
		.amdhsa_exception_fp_ieee_underflow 0
		.amdhsa_exception_fp_ieee_inexact 0
		.amdhsa_exception_int_div_zero 0
	.end_amdhsa_kernel
	.section	.text._ZN7rocprim17ROCPRIM_400000_NS6detail17trampoline_kernelINS0_14default_configENS1_35radix_sort_onesweep_config_selectorIjN6thrust23THRUST_200600_302600_NS5tupleIffNS6_9null_typeES8_S8_S8_S8_S8_S8_S8_EEEEZZNS1_29radix_sort_onesweep_iterationIS3_Lb0ENS6_6detail15normal_iteratorINS6_10device_ptrIjEEEESG_NSD_INSE_IS9_EEEESI_jNS0_19identity_decomposerENS1_16block_id_wrapperIjLb1EEEEE10hipError_tT1_PNSt15iterator_traitsISN_E10value_typeET2_T3_PNSO_IST_E10value_typeET4_T5_PSY_SZ_PNS1_23onesweep_lookback_stateEbbT6_jjT7_P12ihipStream_tbENKUlT_T0_SN_SS_E_clIPjSG_PS9_SI_EEDaS16_S17_SN_SS_EUlS16_E_NS1_11comp_targetILNS1_3genE9ELNS1_11target_archE1100ELNS1_3gpuE3ELNS1_3repE0EEENS1_47radix_sort_onesweep_sort_config_static_selectorELNS0_4arch9wavefront6targetE0EEEvSN_,"axG",@progbits,_ZN7rocprim17ROCPRIM_400000_NS6detail17trampoline_kernelINS0_14default_configENS1_35radix_sort_onesweep_config_selectorIjN6thrust23THRUST_200600_302600_NS5tupleIffNS6_9null_typeES8_S8_S8_S8_S8_S8_S8_EEEEZZNS1_29radix_sort_onesweep_iterationIS3_Lb0ENS6_6detail15normal_iteratorINS6_10device_ptrIjEEEESG_NSD_INSE_IS9_EEEESI_jNS0_19identity_decomposerENS1_16block_id_wrapperIjLb1EEEEE10hipError_tT1_PNSt15iterator_traitsISN_E10value_typeET2_T3_PNSO_IST_E10value_typeET4_T5_PSY_SZ_PNS1_23onesweep_lookback_stateEbbT6_jjT7_P12ihipStream_tbENKUlT_T0_SN_SS_E_clIPjSG_PS9_SI_EEDaS16_S17_SN_SS_EUlS16_E_NS1_11comp_targetILNS1_3genE9ELNS1_11target_archE1100ELNS1_3gpuE3ELNS1_3repE0EEENS1_47radix_sort_onesweep_sort_config_static_selectorELNS0_4arch9wavefront6targetE0EEEvSN_,comdat
.Lfunc_end200:
	.size	_ZN7rocprim17ROCPRIM_400000_NS6detail17trampoline_kernelINS0_14default_configENS1_35radix_sort_onesweep_config_selectorIjN6thrust23THRUST_200600_302600_NS5tupleIffNS6_9null_typeES8_S8_S8_S8_S8_S8_S8_EEEEZZNS1_29radix_sort_onesweep_iterationIS3_Lb0ENS6_6detail15normal_iteratorINS6_10device_ptrIjEEEESG_NSD_INSE_IS9_EEEESI_jNS0_19identity_decomposerENS1_16block_id_wrapperIjLb1EEEEE10hipError_tT1_PNSt15iterator_traitsISN_E10value_typeET2_T3_PNSO_IST_E10value_typeET4_T5_PSY_SZ_PNS1_23onesweep_lookback_stateEbbT6_jjT7_P12ihipStream_tbENKUlT_T0_SN_SS_E_clIPjSG_PS9_SI_EEDaS16_S17_SN_SS_EUlS16_E_NS1_11comp_targetILNS1_3genE9ELNS1_11target_archE1100ELNS1_3gpuE3ELNS1_3repE0EEENS1_47radix_sort_onesweep_sort_config_static_selectorELNS0_4arch9wavefront6targetE0EEEvSN_, .Lfunc_end200-_ZN7rocprim17ROCPRIM_400000_NS6detail17trampoline_kernelINS0_14default_configENS1_35radix_sort_onesweep_config_selectorIjN6thrust23THRUST_200600_302600_NS5tupleIffNS6_9null_typeES8_S8_S8_S8_S8_S8_S8_EEEEZZNS1_29radix_sort_onesweep_iterationIS3_Lb0ENS6_6detail15normal_iteratorINS6_10device_ptrIjEEEESG_NSD_INSE_IS9_EEEESI_jNS0_19identity_decomposerENS1_16block_id_wrapperIjLb1EEEEE10hipError_tT1_PNSt15iterator_traitsISN_E10value_typeET2_T3_PNSO_IST_E10value_typeET4_T5_PSY_SZ_PNS1_23onesweep_lookback_stateEbbT6_jjT7_P12ihipStream_tbENKUlT_T0_SN_SS_E_clIPjSG_PS9_SI_EEDaS16_S17_SN_SS_EUlS16_E_NS1_11comp_targetILNS1_3genE9ELNS1_11target_archE1100ELNS1_3gpuE3ELNS1_3repE0EEENS1_47radix_sort_onesweep_sort_config_static_selectorELNS0_4arch9wavefront6targetE0EEEvSN_
                                        ; -- End function
	.set _ZN7rocprim17ROCPRIM_400000_NS6detail17trampoline_kernelINS0_14default_configENS1_35radix_sort_onesweep_config_selectorIjN6thrust23THRUST_200600_302600_NS5tupleIffNS6_9null_typeES8_S8_S8_S8_S8_S8_S8_EEEEZZNS1_29radix_sort_onesweep_iterationIS3_Lb0ENS6_6detail15normal_iteratorINS6_10device_ptrIjEEEESG_NSD_INSE_IS9_EEEESI_jNS0_19identity_decomposerENS1_16block_id_wrapperIjLb1EEEEE10hipError_tT1_PNSt15iterator_traitsISN_E10value_typeET2_T3_PNSO_IST_E10value_typeET4_T5_PSY_SZ_PNS1_23onesweep_lookback_stateEbbT6_jjT7_P12ihipStream_tbENKUlT_T0_SN_SS_E_clIPjSG_PS9_SI_EEDaS16_S17_SN_SS_EUlS16_E_NS1_11comp_targetILNS1_3genE9ELNS1_11target_archE1100ELNS1_3gpuE3ELNS1_3repE0EEENS1_47radix_sort_onesweep_sort_config_static_selectorELNS0_4arch9wavefront6targetE0EEEvSN_.num_vgpr, 0
	.set _ZN7rocprim17ROCPRIM_400000_NS6detail17trampoline_kernelINS0_14default_configENS1_35radix_sort_onesweep_config_selectorIjN6thrust23THRUST_200600_302600_NS5tupleIffNS6_9null_typeES8_S8_S8_S8_S8_S8_S8_EEEEZZNS1_29radix_sort_onesweep_iterationIS3_Lb0ENS6_6detail15normal_iteratorINS6_10device_ptrIjEEEESG_NSD_INSE_IS9_EEEESI_jNS0_19identity_decomposerENS1_16block_id_wrapperIjLb1EEEEE10hipError_tT1_PNSt15iterator_traitsISN_E10value_typeET2_T3_PNSO_IST_E10value_typeET4_T5_PSY_SZ_PNS1_23onesweep_lookback_stateEbbT6_jjT7_P12ihipStream_tbENKUlT_T0_SN_SS_E_clIPjSG_PS9_SI_EEDaS16_S17_SN_SS_EUlS16_E_NS1_11comp_targetILNS1_3genE9ELNS1_11target_archE1100ELNS1_3gpuE3ELNS1_3repE0EEENS1_47radix_sort_onesweep_sort_config_static_selectorELNS0_4arch9wavefront6targetE0EEEvSN_.num_agpr, 0
	.set _ZN7rocprim17ROCPRIM_400000_NS6detail17trampoline_kernelINS0_14default_configENS1_35radix_sort_onesweep_config_selectorIjN6thrust23THRUST_200600_302600_NS5tupleIffNS6_9null_typeES8_S8_S8_S8_S8_S8_S8_EEEEZZNS1_29radix_sort_onesweep_iterationIS3_Lb0ENS6_6detail15normal_iteratorINS6_10device_ptrIjEEEESG_NSD_INSE_IS9_EEEESI_jNS0_19identity_decomposerENS1_16block_id_wrapperIjLb1EEEEE10hipError_tT1_PNSt15iterator_traitsISN_E10value_typeET2_T3_PNSO_IST_E10value_typeET4_T5_PSY_SZ_PNS1_23onesweep_lookback_stateEbbT6_jjT7_P12ihipStream_tbENKUlT_T0_SN_SS_E_clIPjSG_PS9_SI_EEDaS16_S17_SN_SS_EUlS16_E_NS1_11comp_targetILNS1_3genE9ELNS1_11target_archE1100ELNS1_3gpuE3ELNS1_3repE0EEENS1_47radix_sort_onesweep_sort_config_static_selectorELNS0_4arch9wavefront6targetE0EEEvSN_.numbered_sgpr, 0
	.set _ZN7rocprim17ROCPRIM_400000_NS6detail17trampoline_kernelINS0_14default_configENS1_35radix_sort_onesweep_config_selectorIjN6thrust23THRUST_200600_302600_NS5tupleIffNS6_9null_typeES8_S8_S8_S8_S8_S8_S8_EEEEZZNS1_29radix_sort_onesweep_iterationIS3_Lb0ENS6_6detail15normal_iteratorINS6_10device_ptrIjEEEESG_NSD_INSE_IS9_EEEESI_jNS0_19identity_decomposerENS1_16block_id_wrapperIjLb1EEEEE10hipError_tT1_PNSt15iterator_traitsISN_E10value_typeET2_T3_PNSO_IST_E10value_typeET4_T5_PSY_SZ_PNS1_23onesweep_lookback_stateEbbT6_jjT7_P12ihipStream_tbENKUlT_T0_SN_SS_E_clIPjSG_PS9_SI_EEDaS16_S17_SN_SS_EUlS16_E_NS1_11comp_targetILNS1_3genE9ELNS1_11target_archE1100ELNS1_3gpuE3ELNS1_3repE0EEENS1_47radix_sort_onesweep_sort_config_static_selectorELNS0_4arch9wavefront6targetE0EEEvSN_.num_named_barrier, 0
	.set _ZN7rocprim17ROCPRIM_400000_NS6detail17trampoline_kernelINS0_14default_configENS1_35radix_sort_onesweep_config_selectorIjN6thrust23THRUST_200600_302600_NS5tupleIffNS6_9null_typeES8_S8_S8_S8_S8_S8_S8_EEEEZZNS1_29radix_sort_onesweep_iterationIS3_Lb0ENS6_6detail15normal_iteratorINS6_10device_ptrIjEEEESG_NSD_INSE_IS9_EEEESI_jNS0_19identity_decomposerENS1_16block_id_wrapperIjLb1EEEEE10hipError_tT1_PNSt15iterator_traitsISN_E10value_typeET2_T3_PNSO_IST_E10value_typeET4_T5_PSY_SZ_PNS1_23onesweep_lookback_stateEbbT6_jjT7_P12ihipStream_tbENKUlT_T0_SN_SS_E_clIPjSG_PS9_SI_EEDaS16_S17_SN_SS_EUlS16_E_NS1_11comp_targetILNS1_3genE9ELNS1_11target_archE1100ELNS1_3gpuE3ELNS1_3repE0EEENS1_47radix_sort_onesweep_sort_config_static_selectorELNS0_4arch9wavefront6targetE0EEEvSN_.private_seg_size, 0
	.set _ZN7rocprim17ROCPRIM_400000_NS6detail17trampoline_kernelINS0_14default_configENS1_35radix_sort_onesweep_config_selectorIjN6thrust23THRUST_200600_302600_NS5tupleIffNS6_9null_typeES8_S8_S8_S8_S8_S8_S8_EEEEZZNS1_29radix_sort_onesweep_iterationIS3_Lb0ENS6_6detail15normal_iteratorINS6_10device_ptrIjEEEESG_NSD_INSE_IS9_EEEESI_jNS0_19identity_decomposerENS1_16block_id_wrapperIjLb1EEEEE10hipError_tT1_PNSt15iterator_traitsISN_E10value_typeET2_T3_PNSO_IST_E10value_typeET4_T5_PSY_SZ_PNS1_23onesweep_lookback_stateEbbT6_jjT7_P12ihipStream_tbENKUlT_T0_SN_SS_E_clIPjSG_PS9_SI_EEDaS16_S17_SN_SS_EUlS16_E_NS1_11comp_targetILNS1_3genE9ELNS1_11target_archE1100ELNS1_3gpuE3ELNS1_3repE0EEENS1_47radix_sort_onesweep_sort_config_static_selectorELNS0_4arch9wavefront6targetE0EEEvSN_.uses_vcc, 0
	.set _ZN7rocprim17ROCPRIM_400000_NS6detail17trampoline_kernelINS0_14default_configENS1_35radix_sort_onesweep_config_selectorIjN6thrust23THRUST_200600_302600_NS5tupleIffNS6_9null_typeES8_S8_S8_S8_S8_S8_S8_EEEEZZNS1_29radix_sort_onesweep_iterationIS3_Lb0ENS6_6detail15normal_iteratorINS6_10device_ptrIjEEEESG_NSD_INSE_IS9_EEEESI_jNS0_19identity_decomposerENS1_16block_id_wrapperIjLb1EEEEE10hipError_tT1_PNSt15iterator_traitsISN_E10value_typeET2_T3_PNSO_IST_E10value_typeET4_T5_PSY_SZ_PNS1_23onesweep_lookback_stateEbbT6_jjT7_P12ihipStream_tbENKUlT_T0_SN_SS_E_clIPjSG_PS9_SI_EEDaS16_S17_SN_SS_EUlS16_E_NS1_11comp_targetILNS1_3genE9ELNS1_11target_archE1100ELNS1_3gpuE3ELNS1_3repE0EEENS1_47radix_sort_onesweep_sort_config_static_selectorELNS0_4arch9wavefront6targetE0EEEvSN_.uses_flat_scratch, 0
	.set _ZN7rocprim17ROCPRIM_400000_NS6detail17trampoline_kernelINS0_14default_configENS1_35radix_sort_onesweep_config_selectorIjN6thrust23THRUST_200600_302600_NS5tupleIffNS6_9null_typeES8_S8_S8_S8_S8_S8_S8_EEEEZZNS1_29radix_sort_onesweep_iterationIS3_Lb0ENS6_6detail15normal_iteratorINS6_10device_ptrIjEEEESG_NSD_INSE_IS9_EEEESI_jNS0_19identity_decomposerENS1_16block_id_wrapperIjLb1EEEEE10hipError_tT1_PNSt15iterator_traitsISN_E10value_typeET2_T3_PNSO_IST_E10value_typeET4_T5_PSY_SZ_PNS1_23onesweep_lookback_stateEbbT6_jjT7_P12ihipStream_tbENKUlT_T0_SN_SS_E_clIPjSG_PS9_SI_EEDaS16_S17_SN_SS_EUlS16_E_NS1_11comp_targetILNS1_3genE9ELNS1_11target_archE1100ELNS1_3gpuE3ELNS1_3repE0EEENS1_47radix_sort_onesweep_sort_config_static_selectorELNS0_4arch9wavefront6targetE0EEEvSN_.has_dyn_sized_stack, 0
	.set _ZN7rocprim17ROCPRIM_400000_NS6detail17trampoline_kernelINS0_14default_configENS1_35radix_sort_onesweep_config_selectorIjN6thrust23THRUST_200600_302600_NS5tupleIffNS6_9null_typeES8_S8_S8_S8_S8_S8_S8_EEEEZZNS1_29radix_sort_onesweep_iterationIS3_Lb0ENS6_6detail15normal_iteratorINS6_10device_ptrIjEEEESG_NSD_INSE_IS9_EEEESI_jNS0_19identity_decomposerENS1_16block_id_wrapperIjLb1EEEEE10hipError_tT1_PNSt15iterator_traitsISN_E10value_typeET2_T3_PNSO_IST_E10value_typeET4_T5_PSY_SZ_PNS1_23onesweep_lookback_stateEbbT6_jjT7_P12ihipStream_tbENKUlT_T0_SN_SS_E_clIPjSG_PS9_SI_EEDaS16_S17_SN_SS_EUlS16_E_NS1_11comp_targetILNS1_3genE9ELNS1_11target_archE1100ELNS1_3gpuE3ELNS1_3repE0EEENS1_47radix_sort_onesweep_sort_config_static_selectorELNS0_4arch9wavefront6targetE0EEEvSN_.has_recursion, 0
	.set _ZN7rocprim17ROCPRIM_400000_NS6detail17trampoline_kernelINS0_14default_configENS1_35radix_sort_onesweep_config_selectorIjN6thrust23THRUST_200600_302600_NS5tupleIffNS6_9null_typeES8_S8_S8_S8_S8_S8_S8_EEEEZZNS1_29radix_sort_onesweep_iterationIS3_Lb0ENS6_6detail15normal_iteratorINS6_10device_ptrIjEEEESG_NSD_INSE_IS9_EEEESI_jNS0_19identity_decomposerENS1_16block_id_wrapperIjLb1EEEEE10hipError_tT1_PNSt15iterator_traitsISN_E10value_typeET2_T3_PNSO_IST_E10value_typeET4_T5_PSY_SZ_PNS1_23onesweep_lookback_stateEbbT6_jjT7_P12ihipStream_tbENKUlT_T0_SN_SS_E_clIPjSG_PS9_SI_EEDaS16_S17_SN_SS_EUlS16_E_NS1_11comp_targetILNS1_3genE9ELNS1_11target_archE1100ELNS1_3gpuE3ELNS1_3repE0EEENS1_47radix_sort_onesweep_sort_config_static_selectorELNS0_4arch9wavefront6targetE0EEEvSN_.has_indirect_call, 0
	.section	.AMDGPU.csdata,"",@progbits
; Kernel info:
; codeLenInByte = 0
; TotalNumSgprs: 0
; NumVgprs: 0
; ScratchSize: 0
; MemoryBound: 0
; FloatMode: 240
; IeeeMode: 1
; LDSByteSize: 0 bytes/workgroup (compile time only)
; SGPRBlocks: 0
; VGPRBlocks: 0
; NumSGPRsForWavesPerEU: 1
; NumVGPRsForWavesPerEU: 1
; Occupancy: 16
; WaveLimiterHint : 0
; COMPUTE_PGM_RSRC2:SCRATCH_EN: 0
; COMPUTE_PGM_RSRC2:USER_SGPR: 6
; COMPUTE_PGM_RSRC2:TRAP_HANDLER: 0
; COMPUTE_PGM_RSRC2:TGID_X_EN: 1
; COMPUTE_PGM_RSRC2:TGID_Y_EN: 0
; COMPUTE_PGM_RSRC2:TGID_Z_EN: 0
; COMPUTE_PGM_RSRC2:TIDIG_COMP_CNT: 0
	.section	.text._ZN7rocprim17ROCPRIM_400000_NS6detail17trampoline_kernelINS0_14default_configENS1_35radix_sort_onesweep_config_selectorIjN6thrust23THRUST_200600_302600_NS5tupleIffNS6_9null_typeES8_S8_S8_S8_S8_S8_S8_EEEEZZNS1_29radix_sort_onesweep_iterationIS3_Lb0ENS6_6detail15normal_iteratorINS6_10device_ptrIjEEEESG_NSD_INSE_IS9_EEEESI_jNS0_19identity_decomposerENS1_16block_id_wrapperIjLb1EEEEE10hipError_tT1_PNSt15iterator_traitsISN_E10value_typeET2_T3_PNSO_IST_E10value_typeET4_T5_PSY_SZ_PNS1_23onesweep_lookback_stateEbbT6_jjT7_P12ihipStream_tbENKUlT_T0_SN_SS_E_clIPjSG_PS9_SI_EEDaS16_S17_SN_SS_EUlS16_E_NS1_11comp_targetILNS1_3genE8ELNS1_11target_archE1030ELNS1_3gpuE2ELNS1_3repE0EEENS1_47radix_sort_onesweep_sort_config_static_selectorELNS0_4arch9wavefront6targetE0EEEvSN_,"axG",@progbits,_ZN7rocprim17ROCPRIM_400000_NS6detail17trampoline_kernelINS0_14default_configENS1_35radix_sort_onesweep_config_selectorIjN6thrust23THRUST_200600_302600_NS5tupleIffNS6_9null_typeES8_S8_S8_S8_S8_S8_S8_EEEEZZNS1_29radix_sort_onesweep_iterationIS3_Lb0ENS6_6detail15normal_iteratorINS6_10device_ptrIjEEEESG_NSD_INSE_IS9_EEEESI_jNS0_19identity_decomposerENS1_16block_id_wrapperIjLb1EEEEE10hipError_tT1_PNSt15iterator_traitsISN_E10value_typeET2_T3_PNSO_IST_E10value_typeET4_T5_PSY_SZ_PNS1_23onesweep_lookback_stateEbbT6_jjT7_P12ihipStream_tbENKUlT_T0_SN_SS_E_clIPjSG_PS9_SI_EEDaS16_S17_SN_SS_EUlS16_E_NS1_11comp_targetILNS1_3genE8ELNS1_11target_archE1030ELNS1_3gpuE2ELNS1_3repE0EEENS1_47radix_sort_onesweep_sort_config_static_selectorELNS0_4arch9wavefront6targetE0EEEvSN_,comdat
	.protected	_ZN7rocprim17ROCPRIM_400000_NS6detail17trampoline_kernelINS0_14default_configENS1_35radix_sort_onesweep_config_selectorIjN6thrust23THRUST_200600_302600_NS5tupleIffNS6_9null_typeES8_S8_S8_S8_S8_S8_S8_EEEEZZNS1_29radix_sort_onesweep_iterationIS3_Lb0ENS6_6detail15normal_iteratorINS6_10device_ptrIjEEEESG_NSD_INSE_IS9_EEEESI_jNS0_19identity_decomposerENS1_16block_id_wrapperIjLb1EEEEE10hipError_tT1_PNSt15iterator_traitsISN_E10value_typeET2_T3_PNSO_IST_E10value_typeET4_T5_PSY_SZ_PNS1_23onesweep_lookback_stateEbbT6_jjT7_P12ihipStream_tbENKUlT_T0_SN_SS_E_clIPjSG_PS9_SI_EEDaS16_S17_SN_SS_EUlS16_E_NS1_11comp_targetILNS1_3genE8ELNS1_11target_archE1030ELNS1_3gpuE2ELNS1_3repE0EEENS1_47radix_sort_onesweep_sort_config_static_selectorELNS0_4arch9wavefront6targetE0EEEvSN_ ; -- Begin function _ZN7rocprim17ROCPRIM_400000_NS6detail17trampoline_kernelINS0_14default_configENS1_35radix_sort_onesweep_config_selectorIjN6thrust23THRUST_200600_302600_NS5tupleIffNS6_9null_typeES8_S8_S8_S8_S8_S8_S8_EEEEZZNS1_29radix_sort_onesweep_iterationIS3_Lb0ENS6_6detail15normal_iteratorINS6_10device_ptrIjEEEESG_NSD_INSE_IS9_EEEESI_jNS0_19identity_decomposerENS1_16block_id_wrapperIjLb1EEEEE10hipError_tT1_PNSt15iterator_traitsISN_E10value_typeET2_T3_PNSO_IST_E10value_typeET4_T5_PSY_SZ_PNS1_23onesweep_lookback_stateEbbT6_jjT7_P12ihipStream_tbENKUlT_T0_SN_SS_E_clIPjSG_PS9_SI_EEDaS16_S17_SN_SS_EUlS16_E_NS1_11comp_targetILNS1_3genE8ELNS1_11target_archE1030ELNS1_3gpuE2ELNS1_3repE0EEENS1_47radix_sort_onesweep_sort_config_static_selectorELNS0_4arch9wavefront6targetE0EEEvSN_
	.globl	_ZN7rocprim17ROCPRIM_400000_NS6detail17trampoline_kernelINS0_14default_configENS1_35radix_sort_onesweep_config_selectorIjN6thrust23THRUST_200600_302600_NS5tupleIffNS6_9null_typeES8_S8_S8_S8_S8_S8_S8_EEEEZZNS1_29radix_sort_onesweep_iterationIS3_Lb0ENS6_6detail15normal_iteratorINS6_10device_ptrIjEEEESG_NSD_INSE_IS9_EEEESI_jNS0_19identity_decomposerENS1_16block_id_wrapperIjLb1EEEEE10hipError_tT1_PNSt15iterator_traitsISN_E10value_typeET2_T3_PNSO_IST_E10value_typeET4_T5_PSY_SZ_PNS1_23onesweep_lookback_stateEbbT6_jjT7_P12ihipStream_tbENKUlT_T0_SN_SS_E_clIPjSG_PS9_SI_EEDaS16_S17_SN_SS_EUlS16_E_NS1_11comp_targetILNS1_3genE8ELNS1_11target_archE1030ELNS1_3gpuE2ELNS1_3repE0EEENS1_47radix_sort_onesweep_sort_config_static_selectorELNS0_4arch9wavefront6targetE0EEEvSN_
	.p2align	8
	.type	_ZN7rocprim17ROCPRIM_400000_NS6detail17trampoline_kernelINS0_14default_configENS1_35radix_sort_onesweep_config_selectorIjN6thrust23THRUST_200600_302600_NS5tupleIffNS6_9null_typeES8_S8_S8_S8_S8_S8_S8_EEEEZZNS1_29radix_sort_onesweep_iterationIS3_Lb0ENS6_6detail15normal_iteratorINS6_10device_ptrIjEEEESG_NSD_INSE_IS9_EEEESI_jNS0_19identity_decomposerENS1_16block_id_wrapperIjLb1EEEEE10hipError_tT1_PNSt15iterator_traitsISN_E10value_typeET2_T3_PNSO_IST_E10value_typeET4_T5_PSY_SZ_PNS1_23onesweep_lookback_stateEbbT6_jjT7_P12ihipStream_tbENKUlT_T0_SN_SS_E_clIPjSG_PS9_SI_EEDaS16_S17_SN_SS_EUlS16_E_NS1_11comp_targetILNS1_3genE8ELNS1_11target_archE1030ELNS1_3gpuE2ELNS1_3repE0EEENS1_47radix_sort_onesweep_sort_config_static_selectorELNS0_4arch9wavefront6targetE0EEEvSN_,@function
_ZN7rocprim17ROCPRIM_400000_NS6detail17trampoline_kernelINS0_14default_configENS1_35radix_sort_onesweep_config_selectorIjN6thrust23THRUST_200600_302600_NS5tupleIffNS6_9null_typeES8_S8_S8_S8_S8_S8_S8_EEEEZZNS1_29radix_sort_onesweep_iterationIS3_Lb0ENS6_6detail15normal_iteratorINS6_10device_ptrIjEEEESG_NSD_INSE_IS9_EEEESI_jNS0_19identity_decomposerENS1_16block_id_wrapperIjLb1EEEEE10hipError_tT1_PNSt15iterator_traitsISN_E10value_typeET2_T3_PNSO_IST_E10value_typeET4_T5_PSY_SZ_PNS1_23onesweep_lookback_stateEbbT6_jjT7_P12ihipStream_tbENKUlT_T0_SN_SS_E_clIPjSG_PS9_SI_EEDaS16_S17_SN_SS_EUlS16_E_NS1_11comp_targetILNS1_3genE8ELNS1_11target_archE1030ELNS1_3gpuE2ELNS1_3repE0EEENS1_47radix_sort_onesweep_sort_config_static_selectorELNS0_4arch9wavefront6targetE0EEEvSN_: ; @_ZN7rocprim17ROCPRIM_400000_NS6detail17trampoline_kernelINS0_14default_configENS1_35radix_sort_onesweep_config_selectorIjN6thrust23THRUST_200600_302600_NS5tupleIffNS6_9null_typeES8_S8_S8_S8_S8_S8_S8_EEEEZZNS1_29radix_sort_onesweep_iterationIS3_Lb0ENS6_6detail15normal_iteratorINS6_10device_ptrIjEEEESG_NSD_INSE_IS9_EEEESI_jNS0_19identity_decomposerENS1_16block_id_wrapperIjLb1EEEEE10hipError_tT1_PNSt15iterator_traitsISN_E10value_typeET2_T3_PNSO_IST_E10value_typeET4_T5_PSY_SZ_PNS1_23onesweep_lookback_stateEbbT6_jjT7_P12ihipStream_tbENKUlT_T0_SN_SS_E_clIPjSG_PS9_SI_EEDaS16_S17_SN_SS_EUlS16_E_NS1_11comp_targetILNS1_3genE8ELNS1_11target_archE1030ELNS1_3gpuE2ELNS1_3repE0EEENS1_47radix_sort_onesweep_sort_config_static_selectorELNS0_4arch9wavefront6targetE0EEEvSN_
; %bb.0:
	s_clause 0x2
	s_load_dwordx4 s[24:27], s[4:5], 0x28
	s_load_dwordx2 s[14:15], s[4:5], 0x38
	s_load_dwordx4 s[28:31], s[4:5], 0x44
	v_cmp_eq_u32_e64 s0, 0, v0
	s_and_saveexec_b32 s1, s0
	s_cbranch_execz .LBB201_4
; %bb.1:
	s_mov_b32 s3, exec_lo
	s_mov_b32 s2, exec_lo
	v_mbcnt_lo_u32_b32 v3, s3, 0
                                        ; implicit-def: $vgpr4
	v_cmpx_eq_u32_e32 0, v3
	s_cbranch_execz .LBB201_3
; %bb.2:
	s_load_dwordx2 s[8:9], s[4:5], 0x50
	s_bcnt1_i32_b32 s3, s3
	v_mov_b32_e32 v4, 0
	v_mov_b32_e32 v5, s3
	s_waitcnt lgkmcnt(0)
	global_atomic_add v4, v4, v5, s[8:9] glc
.LBB201_3:
	s_or_b32 exec_lo, exec_lo, s2
	s_waitcnt vmcnt(0)
	v_readfirstlane_b32 s2, v4
	v_mov_b32_e32 v4, 0
	v_add_nc_u32_e32 v3, s2, v3
	ds_write_b32 v4, v3 offset:36992
.LBB201_4:
	s_or_b32 exec_lo, exec_lo, s1
	v_mov_b32_e32 v3, 0
	s_clause 0x1
	s_load_dwordx8 s[16:23], s[4:5], 0x0
	s_load_dword s1, s[4:5], 0x20
	s_waitcnt lgkmcnt(0)
	s_barrier
	buffer_gl0_inv
	ds_read_b32 v3, v3 offset:36992
	v_mbcnt_lo_u32_b32 v18, -1, 0
	v_lshlrev_b32_e32 v17, 2, v0
	s_mov_b32 s2, -1
	s_waitcnt lgkmcnt(0)
	s_barrier
	buffer_gl0_inv
	v_cmp_le_u32_e32 vcc_lo, s30, v3
	v_readfirstlane_b32 s33, v3
	s_cbranch_vccz .LBB201_68
; %bb.5:
	s_lshl_b32 s2, s30, 12
	s_lshl_b32 s30, s33, 12
	s_mov_b32 s31, 0
	v_and_b32_e32 v11, 0xf80, v17
	v_lshlrev_b32_e32 v3, 2, v18
	s_sub_i32 s35, s1, s2
	s_lshl_b64 s[2:3], s[30:31], 2
	v_mov_b32_e32 v12, -1
	s_add_u32 s1, s16, s2
	s_addc_u32 s2, s17, s3
	v_lshlrev_b32_e32 v4, 2, v11
	v_add_co_u32 v3, s1, s1, v3
	v_add_co_ci_u32_e64 v6, null, s2, 0, s1
	v_or_b32_e32 v5, v18, v11
	v_add_co_u32 v3, vcc_lo, v3, v4
	v_add_co_ci_u32_e64 v4, null, 0, v6, vcc_lo
	v_cmp_gt_u32_e64 s3, s35, v5
	v_mov_b32_e32 v13, -1
	s_and_saveexec_b32 s1, s3
	s_cbranch_execz .LBB201_7
; %bb.6:
	global_load_dword v13, v[3:4], off
.LBB201_7:
	s_or_b32 exec_lo, exec_lo, s1
	v_or_b32_e32 v6, 32, v5
	v_cmp_gt_u32_e64 s2, s35, v6
	s_and_saveexec_b32 s1, s2
	s_cbranch_execz .LBB201_9
; %bb.8:
	global_load_dword v12, v[3:4], off offset:128
.LBB201_9:
	s_or_b32 exec_lo, exec_lo, s1
	v_or_b32_e32 v6, 64, v5
	v_mov_b32_e32 v14, -1
	v_mov_b32_e32 v15, -1
	v_cmp_gt_u32_e64 s1, s35, v6
	s_and_saveexec_b32 s7, s1
	s_cbranch_execz .LBB201_11
; %bb.10:
	global_load_dword v15, v[3:4], off offset:256
.LBB201_11:
	s_or_b32 exec_lo, exec_lo, s7
	v_or_b32_e32 v5, 0x60, v5
	v_cmp_gt_u32_e32 vcc_lo, s35, v5
	s_and_saveexec_b32 s7, vcc_lo
	s_cbranch_execz .LBB201_13
; %bb.12:
	global_load_dword v14, v[3:4], off offset:384
.LBB201_13:
	s_or_b32 exec_lo, exec_lo, s7
	s_clause 0x1
	s_load_dword s7, s[4:5], 0x64
	s_load_dword s34, s[4:5], 0x58
	s_add_u32 s8, s4, 0x58
	s_addc_u32 s9, s5, 0
	v_mov_b32_e32 v5, 0
	s_waitcnt vmcnt(0)
	v_lshrrev_b32_e32 v4, s28, v13
	s_waitcnt lgkmcnt(0)
	s_lshr_b32 s10, s7, 16
	s_cmp_lt_u32 s6, s34
	s_cselect_b32 s7, 12, 18
	s_add_u32 s8, s8, s7
	s_addc_u32 s9, s9, 0
	s_lshl_b32 s7, -1, s29
	global_load_ushort v3, v5, s[8:9]
	s_not_b32 s36, s7
	v_and_b32_e32 v6, s36, v4
	v_and_b32_e32 v4, 1, v6
	v_lshlrev_b32_e32 v7, 30, v6
	v_lshlrev_b32_e32 v8, 29, v6
	v_lshlrev_b32_e32 v10, 28, v6
	v_lshlrev_b32_e32 v16, 27, v6
	v_add_co_u32 v4, s7, v4, -1
	v_cndmask_b32_e64 v9, 0, 1, s7
	v_not_b32_e32 v20, v7
	v_cmp_gt_i32_e64 s8, 0, v7
	v_not_b32_e32 v7, v8
	v_lshlrev_b32_e32 v19, 26, v6
	v_cmp_ne_u32_e64 s7, 0, v9
	v_ashrrev_i32_e32 v20, 31, v20
	v_lshlrev_b32_e32 v9, 25, v6
	v_ashrrev_i32_e32 v7, 31, v7
	v_xor_b32_e32 v4, s7, v4
	v_cmp_gt_i32_e64 s7, 0, v8
	v_not_b32_e32 v8, v10
	v_xor_b32_e32 v20, s8, v20
	v_cmp_gt_i32_e64 s8, 0, v10
	v_and_b32_e32 v4, exec_lo, v4
	v_not_b32_e32 v10, v16
	v_ashrrev_i32_e32 v8, 31, v8
	v_xor_b32_e32 v7, s7, v7
	v_cmp_gt_i32_e64 s7, 0, v16
	v_and_b32_e32 v4, v4, v20
	v_not_b32_e32 v16, v19
	v_ashrrev_i32_e32 v10, 31, v10
	v_xor_b32_e32 v8, s8, v8
	v_cmp_gt_i32_e64 s8, 0, v19
	v_and_b32_e32 v4, v4, v7
	;; [unrolled: 5-line block ×3, first 2 shown]
	v_lshlrev_b32_e32 v8, 24, v6
	v_ashrrev_i32_e32 v7, 31, v7
	v_xor_b32_e32 v9, s8, v16
	v_mul_lo_u32 v6, 0x84, v6
	v_and_b32_e32 v4, v4, v10
	v_not_b32_e32 v10, v8
	v_xor_b32_e32 v7, s7, v7
	v_cmp_gt_i32_e64 s7, 0, v8
	v_mul_u32_u24_e32 v19, 36, v0
	v_and_b32_e32 v4, v4, v9
	v_mad_u32_u24 v9, v2, s10, v1
	v_ashrrev_i32_e32 v8, 31, v10
	ds_write2_b32 v19, v5, v5 offset0:32 offset1:33
	v_and_b32_e32 v7, v4, v7
	ds_write2_b32 v19, v5, v5 offset0:34 offset1:35
	ds_write2_b32 v19, v5, v5 offset0:36 offset1:37
	;; [unrolled: 1-line block ×3, first 2 shown]
	ds_write_b32 v19, v5 offset:160
	s_waitcnt vmcnt(0) lgkmcnt(0)
	s_barrier
	buffer_gl0_inv
	; wave barrier
	v_mad_u64_u32 v[3:4], null, v9, v3, v[0:1]
	v_xor_b32_e32 v4, s7, v8
	v_and_b32_e32 v4, v7, v4
	v_lshrrev_b32_e32 v3, 3, v3
	v_mbcnt_lo_u32_b32 v16, v4, 0
	v_and_b32_e32 v3, 0x1ffffffc, v3
	v_cmp_ne_u32_e64 s8, 0, v4
	v_cmp_eq_u32_e64 s7, 0, v16
	v_add_nc_u32_e32 v20, v3, v6
	s_and_b32 s8, s8, s7
	s_and_saveexec_b32 s7, s8
; %bb.14:
	v_bcnt_u32_b32 v4, v4, 0
	ds_write_b32 v20, v4 offset:128
; %bb.15:
	s_or_b32 exec_lo, exec_lo, s7
	v_lshrrev_b32_e32 v4, s28, v12
	; wave barrier
	v_and_b32_e32 v4, s36, v4
	v_and_b32_e32 v6, 1, v4
	v_lshlrev_b32_e32 v7, 30, v4
	v_lshlrev_b32_e32 v8, 29, v4
	;; [unrolled: 1-line block ×4, first 2 shown]
	v_add_co_u32 v6, s7, v6, -1
	v_cndmask_b32_e64 v10, 0, 1, s7
	v_not_b32_e32 v24, v7
	v_cmp_gt_i32_e64 s8, 0, v7
	v_not_b32_e32 v7, v8
	v_lshlrev_b32_e32 v22, 26, v4
	v_cmp_ne_u32_e64 s7, 0, v10
	v_ashrrev_i32_e32 v10, 31, v24
	v_lshlrev_b32_e32 v23, 25, v4
	v_ashrrev_i32_e32 v7, 31, v7
	v_mul_lo_u32 v5, 0x84, v4
	v_xor_b32_e32 v6, s7, v6
	v_cmp_gt_i32_e64 s7, 0, v8
	v_not_b32_e32 v8, v9
	v_xor_b32_e32 v10, s8, v10
	v_cmp_gt_i32_e64 s8, 0, v9
	v_and_b32_e32 v6, exec_lo, v6
	v_not_b32_e32 v9, v21
	v_ashrrev_i32_e32 v8, 31, v8
	v_xor_b32_e32 v7, s7, v7
	v_cmp_gt_i32_e64 s7, 0, v21
	v_and_b32_e32 v6, v6, v10
	v_not_b32_e32 v10, v22
	v_ashrrev_i32_e32 v9, 31, v9
	v_xor_b32_e32 v8, s8, v8
	v_lshlrev_b32_e32 v4, 24, v4
	v_and_b32_e32 v6, v6, v7
	v_cmp_gt_i32_e64 s8, 0, v22
	v_not_b32_e32 v7, v23
	v_ashrrev_i32_e32 v10, 31, v10
	v_xor_b32_e32 v9, s7, v9
	v_and_b32_e32 v6, v6, v8
	v_cmp_gt_i32_e64 s7, 0, v23
	v_not_b32_e32 v8, v4
	v_ashrrev_i32_e32 v7, 31, v7
	v_xor_b32_e32 v10, s8, v10
	v_and_b32_e32 v6, v6, v9
	v_cmp_gt_i32_e64 s8, 0, v4
	v_ashrrev_i32_e32 v4, 31, v8
	v_xor_b32_e32 v7, s7, v7
	v_add_nc_u32_e32 v23, v3, v5
	v_and_b32_e32 v6, v6, v10
	v_xor_b32_e32 v4, s8, v4
	ds_read_b32 v21, v23 offset:128
	v_and_b32_e32 v5, v6, v7
	; wave barrier
	v_and_b32_e32 v4, v5, v4
	v_mbcnt_lo_u32_b32 v22, v4, 0
	v_cmp_ne_u32_e64 s8, 0, v4
	v_cmp_eq_u32_e64 s7, 0, v22
	s_and_b32 s8, s8, s7
	s_and_saveexec_b32 s7, s8
	s_cbranch_execz .LBB201_17
; %bb.16:
	s_waitcnt lgkmcnt(0)
	v_bcnt_u32_b32 v4, v4, v21
	ds_write_b32 v23, v4 offset:128
.LBB201_17:
	s_or_b32 exec_lo, exec_lo, s7
	v_lshrrev_b32_e32 v4, s28, v15
	; wave barrier
	v_and_b32_e32 v4, s36, v4
	v_and_b32_e32 v6, 1, v4
	v_lshlrev_b32_e32 v7, 30, v4
	v_lshlrev_b32_e32 v8, 29, v4
	;; [unrolled: 1-line block ×4, first 2 shown]
	v_add_co_u32 v6, s7, v6, -1
	v_cndmask_b32_e64 v10, 0, 1, s7
	v_not_b32_e32 v27, v7
	v_cmp_gt_i32_e64 s8, 0, v7
	v_not_b32_e32 v7, v8
	v_lshlrev_b32_e32 v25, 26, v4
	v_cmp_ne_u32_e64 s7, 0, v10
	v_ashrrev_i32_e32 v10, 31, v27
	v_lshlrev_b32_e32 v26, 25, v4
	v_ashrrev_i32_e32 v7, 31, v7
	v_mul_lo_u32 v5, 0x84, v4
	v_xor_b32_e32 v6, s7, v6
	v_cmp_gt_i32_e64 s7, 0, v8
	v_not_b32_e32 v8, v9
	v_xor_b32_e32 v10, s8, v10
	v_cmp_gt_i32_e64 s8, 0, v9
	v_and_b32_e32 v6, exec_lo, v6
	v_not_b32_e32 v9, v24
	v_ashrrev_i32_e32 v8, 31, v8
	v_xor_b32_e32 v7, s7, v7
	v_cmp_gt_i32_e64 s7, 0, v24
	v_and_b32_e32 v6, v6, v10
	v_not_b32_e32 v10, v25
	v_ashrrev_i32_e32 v9, 31, v9
	v_xor_b32_e32 v8, s8, v8
	v_lshlrev_b32_e32 v4, 24, v4
	v_and_b32_e32 v6, v6, v7
	v_cmp_gt_i32_e64 s8, 0, v25
	v_not_b32_e32 v7, v26
	v_ashrrev_i32_e32 v10, 31, v10
	v_xor_b32_e32 v9, s7, v9
	v_and_b32_e32 v6, v6, v8
	v_cmp_gt_i32_e64 s7, 0, v26
	v_not_b32_e32 v8, v4
	v_ashrrev_i32_e32 v7, 31, v7
	v_xor_b32_e32 v10, s8, v10
	v_and_b32_e32 v6, v6, v9
	v_cmp_gt_i32_e64 s8, 0, v4
	v_ashrrev_i32_e32 v4, 31, v8
	v_xor_b32_e32 v7, s7, v7
	v_add_nc_u32_e32 v24, v3, v5
	v_and_b32_e32 v6, v6, v10
	v_xor_b32_e32 v4, s8, v4
	ds_read_b32 v25, v24 offset:128
	v_and_b32_e32 v5, v6, v7
	; wave barrier
	v_and_b32_e32 v4, v5, v4
	v_mbcnt_lo_u32_b32 v26, v4, 0
	v_cmp_ne_u32_e64 s8, 0, v4
	v_cmp_eq_u32_e64 s7, 0, v26
	s_and_b32 s8, s8, s7
	s_and_saveexec_b32 s7, s8
	s_cbranch_execz .LBB201_19
; %bb.18:
	s_waitcnt lgkmcnt(0)
	v_bcnt_u32_b32 v4, v4, v25
	ds_write_b32 v24, v4 offset:128
.LBB201_19:
	s_or_b32 exec_lo, exec_lo, s7
	v_lshrrev_b32_e32 v4, s28, v14
	; wave barrier
	v_and_b32_e32 v4, s36, v4
	v_and_b32_e32 v6, 1, v4
	v_lshlrev_b32_e32 v7, 30, v4
	v_lshlrev_b32_e32 v8, 29, v4
	;; [unrolled: 1-line block ×4, first 2 shown]
	v_add_co_u32 v6, s7, v6, -1
	v_cndmask_b32_e64 v10, 0, 1, s7
	v_not_b32_e32 v30, v7
	v_cmp_gt_i32_e64 s8, 0, v7
	v_not_b32_e32 v7, v8
	v_lshlrev_b32_e32 v28, 26, v4
	v_cmp_ne_u32_e64 s7, 0, v10
	v_ashrrev_i32_e32 v10, 31, v30
	v_lshlrev_b32_e32 v29, 25, v4
	v_ashrrev_i32_e32 v7, 31, v7
	v_mul_lo_u32 v5, 0x84, v4
	v_xor_b32_e32 v6, s7, v6
	v_cmp_gt_i32_e64 s7, 0, v8
	v_not_b32_e32 v8, v9
	v_xor_b32_e32 v10, s8, v10
	v_cmp_gt_i32_e64 s8, 0, v9
	v_and_b32_e32 v6, exec_lo, v6
	v_not_b32_e32 v9, v27
	v_ashrrev_i32_e32 v8, 31, v8
	v_xor_b32_e32 v7, s7, v7
	v_cmp_gt_i32_e64 s7, 0, v27
	v_and_b32_e32 v6, v6, v10
	v_not_b32_e32 v10, v28
	v_ashrrev_i32_e32 v9, 31, v9
	v_xor_b32_e32 v8, s8, v8
	v_lshlrev_b32_e32 v4, 24, v4
	v_and_b32_e32 v6, v6, v7
	v_cmp_gt_i32_e64 s8, 0, v28
	v_not_b32_e32 v7, v29
	v_ashrrev_i32_e32 v10, 31, v10
	v_xor_b32_e32 v9, s7, v9
	v_and_b32_e32 v6, v6, v8
	v_cmp_gt_i32_e64 s7, 0, v29
	v_not_b32_e32 v8, v4
	v_ashrrev_i32_e32 v7, 31, v7
	v_xor_b32_e32 v10, s8, v10
	v_and_b32_e32 v6, v6, v9
	v_cmp_gt_i32_e64 s8, 0, v4
	v_ashrrev_i32_e32 v4, 31, v8
	v_xor_b32_e32 v7, s7, v7
	v_add_nc_u32_e32 v29, v3, v5
	v_and_b32_e32 v6, v6, v10
	v_xor_b32_e32 v3, s8, v4
	ds_read_b32 v27, v29 offset:128
	v_and_b32_e32 v4, v6, v7
	; wave barrier
	v_and_b32_e32 v3, v4, v3
	v_mbcnt_lo_u32_b32 v28, v3, 0
	v_cmp_ne_u32_e64 s8, 0, v3
	v_cmp_eq_u32_e64 s7, 0, v28
	s_and_b32 s8, s8, s7
	s_and_saveexec_b32 s7, s8
	s_cbranch_execz .LBB201_21
; %bb.20:
	s_waitcnt lgkmcnt(0)
	v_bcnt_u32_b32 v3, v3, v27
	ds_write_b32 v29, v3 offset:128
.LBB201_21:
	s_or_b32 exec_lo, exec_lo, s7
	; wave barrier
	s_waitcnt lgkmcnt(0)
	s_barrier
	buffer_gl0_inv
	ds_read2_b32 v[9:10], v19 offset0:32 offset1:33
	ds_read2_b32 v[7:8], v19 offset0:34 offset1:35
	;; [unrolled: 1-line block ×4, first 2 shown]
	ds_read_b32 v30, v19 offset:160
	v_and_b32_e32 v33, 16, v18
	v_and_b32_e32 v34, 31, v0
	s_mov_b32 s13, exec_lo
	v_cmp_eq_u32_e64 s11, 0, v33
	s_waitcnt lgkmcnt(3)
	v_add3_u32 v31, v10, v9, v7
	s_waitcnt lgkmcnt(2)
	v_add3_u32 v31, v31, v8, v5
	;; [unrolled: 2-line block ×4, first 2 shown]
	v_and_b32_e32 v31, 15, v18
	v_mov_b32_dpp v32, v30 row_shr:1 row_mask:0xf bank_mask:0xf
	v_cmp_eq_u32_e64 s7, 0, v31
	v_cmp_lt_u32_e64 s8, 1, v31
	v_cmp_lt_u32_e64 s9, 3, v31
	;; [unrolled: 1-line block ×3, first 2 shown]
	v_cndmask_b32_e64 v32, v32, 0, s7
	v_add_nc_u32_e32 v30, v32, v30
	v_mov_b32_dpp v32, v30 row_shr:2 row_mask:0xf bank_mask:0xf
	v_cndmask_b32_e64 v32, 0, v32, s8
	v_add_nc_u32_e32 v30, v30, v32
	v_mov_b32_dpp v32, v30 row_shr:4 row_mask:0xf bank_mask:0xf
	v_cndmask_b32_e64 v32, 0, v32, s9
	v_add_nc_u32_e32 v30, v30, v32
	v_mov_b32_dpp v32, v30 row_shr:8 row_mask:0xf bank_mask:0xf
	v_cndmask_b32_e64 v31, 0, v32, s10
	v_bfe_i32 v32, v18, 4, 1
	v_add_nc_u32_e32 v30, v30, v31
	ds_swizzle_b32 v31, v30 offset:swizzle(BROADCAST,32,15)
	s_waitcnt lgkmcnt(0)
	v_and_b32_e32 v32, v32, v31
	v_lshrrev_b32_e32 v31, 5, v0
	v_add_nc_u32_e32 v30, v30, v32
	v_cmpx_eq_u32_e32 31, v34
; %bb.22:
	v_lshlrev_b32_e32 v32, 2, v31
	ds_write_b32 v32, v30
; %bb.23:
	s_or_b32 exec_lo, exec_lo, s13
	v_cmp_lt_u32_e64 s12, 31, v0
	s_mov_b32 s37, exec_lo
	s_waitcnt lgkmcnt(0)
	s_barrier
	buffer_gl0_inv
	v_cmpx_gt_u32_e32 32, v0
	s_cbranch_execz .LBB201_25
; %bb.24:
	ds_read_b32 v32, v17
	s_waitcnt lgkmcnt(0)
	v_mov_b32_dpp v33, v32 row_shr:1 row_mask:0xf bank_mask:0xf
	v_cndmask_b32_e64 v33, v33, 0, s7
	v_add_nc_u32_e32 v32, v33, v32
	v_mov_b32_dpp v33, v32 row_shr:2 row_mask:0xf bank_mask:0xf
	v_cndmask_b32_e64 v33, 0, v33, s8
	v_add_nc_u32_e32 v32, v32, v33
	;; [unrolled: 3-line block ×4, first 2 shown]
	ds_swizzle_b32 v33, v32 offset:swizzle(BROADCAST,32,15)
	s_waitcnt lgkmcnt(0)
	v_cndmask_b32_e64 v33, v33, 0, s11
	v_add_nc_u32_e32 v32, v32, v33
	ds_write_b32 v17, v32
.LBB201_25:
	s_or_b32 exec_lo, exec_lo, s37
	v_mov_b32_e32 v32, 0
	s_waitcnt lgkmcnt(0)
	s_barrier
	buffer_gl0_inv
	s_and_saveexec_b32 s7, s12
; %bb.26:
	v_lshl_add_u32 v31, v31, 2, -4
	ds_read_b32 v32, v31
; %bb.27:
	s_or_b32 exec_lo, exec_lo, s7
	v_sub_co_u32 v31, s7, v18, 1
	s_waitcnt lgkmcnt(0)
	v_add_nc_u32_e32 v30, v32, v30
	v_cmp_gt_i32_e64 s8, 0, v31
	v_cndmask_b32_e64 v31, v31, v18, s8
	v_cmp_gt_u32_e64 s8, 0x100, v0
	v_lshlrev_b32_e32 v31, 2, v31
	ds_bpermute_b32 v30, v31, v30
	s_waitcnt lgkmcnt(0)
	v_cndmask_b32_e64 v30, v30, v32, s7
	v_cmp_lt_u32_e64 s7, 0xff, v0
	v_cndmask_b32_e64 v30, v30, 0, s0
	v_add_nc_u32_e32 v9, v30, v9
	v_add_nc_u32_e32 v10, v9, v10
	;; [unrolled: 1-line block ×8, first 2 shown]
	ds_write2_b32 v19, v30, v9 offset0:32 offset1:33
	ds_write2_b32 v19, v10, v7 offset0:34 offset1:35
	;; [unrolled: 1-line block ×4, first 2 shown]
	ds_write_b32 v19, v4 offset:160
	s_waitcnt lgkmcnt(0)
	s_barrier
	buffer_gl0_inv
	ds_read_b32 v3, v20 offset:128
	ds_read_b32 v4, v23 offset:128
	;; [unrolled: 1-line block ×4, first 2 shown]
                                        ; implicit-def: $vgpr19
                                        ; implicit-def: $vgpr20
	s_and_saveexec_b32 s10, s8
	s_cbranch_execz .LBB201_31
; %bb.28:
	v_mul_u32_u24_e32 v7, 0x84, v0
	v_add_nc_u32_e32 v8, 1, v0
	s_mov_b32 s11, exec_lo
	ds_read_b32 v19, v7 offset:128
	v_mov_b32_e32 v7, 0x1000
	v_cmpx_ne_u32_e32 0x100, v8
; %bb.29:
	v_mul_u32_u24_e32 v7, 0x84, v8
	ds_read_b32 v7, v7 offset:128
; %bb.30:
	s_or_b32 exec_lo, exec_lo, s11
	s_waitcnt lgkmcnt(0)
	v_sub_nc_u32_e32 v20, v7, v19
.LBB201_31:
	s_or_b32 exec_lo, exec_lo, s10
	s_waitcnt lgkmcnt(3)
	v_add_nc_u32_e32 v24, v3, v16
	s_waitcnt lgkmcnt(2)
	v_add3_u32 v23, v22, v21, v4
	s_waitcnt lgkmcnt(1)
	v_add3_u32 v22, v26, v25, v5
	;; [unrolled: 2-line block ×3, first 2 shown]
	v_mov_b32_e32 v4, 0
	v_lshlrev_b32_e32 v3, 2, v24
	v_lshlrev_b32_e32 v5, 2, v23
	;; [unrolled: 1-line block ×4, first 2 shown]
	s_barrier
	buffer_gl0_inv
	ds_write_b32 v3, v13 offset:1024
	ds_write_b32 v5, v12 offset:1024
	;; [unrolled: 1-line block ×4, first 2 shown]
	s_and_saveexec_b32 s9, s8
	s_cbranch_execz .LBB201_41
; %bb.32:
	v_lshl_add_u32 v3, s33, 8, v0
	v_mov_b32_e32 v9, 0
	s_mov_b32 s10, 0
	s_mov_b32 s11, s33
	v_lshlrev_b64 v[5:6], 2, v[3:4]
	v_or_b32_e32 v3, 2.0, v20
	v_add_co_u32 v5, s8, s14, v5
	v_add_co_ci_u32_e64 v6, null, s15, v6, s8
                                        ; implicit-def: $sgpr8
	global_store_dword v[5:6], v3, off
	s_branch .LBB201_35
	.p2align	6
.LBB201_33:                             ;   in Loop: Header=BB201_35 Depth=1
	s_or_b32 exec_lo, exec_lo, s13
.LBB201_34:                             ;   in Loop: Header=BB201_35 Depth=1
	s_or_b32 exec_lo, exec_lo, s12
	v_and_b32_e32 v7, 0x3fffffff, v3
	v_cmp_gt_i32_e64 s8, -2.0, v3
	v_add_nc_u32_e32 v9, v7, v9
	s_and_b32 s12, exec_lo, s8
	s_or_b32 s10, s12, s10
	s_andn2_b32 exec_lo, exec_lo, s10
	s_cbranch_execz .LBB201_40
.LBB201_35:                             ; =>This Loop Header: Depth=1
                                        ;     Child Loop BB201_38 Depth 2
	s_or_b32 s8, s8, exec_lo
	s_cmp_eq_u32 s11, 0
	s_cbranch_scc1 .LBB201_39
; %bb.36:                               ;   in Loop: Header=BB201_35 Depth=1
	s_add_i32 s11, s11, -1
	s_mov_b32 s12, exec_lo
	v_lshl_or_b32 v3, s11, 8, v0
	v_lshlrev_b64 v[7:8], 2, v[3:4]
	v_add_co_u32 v7, s8, s14, v7
	v_add_co_ci_u32_e64 v8, null, s15, v8, s8
	global_load_dword v3, v[7:8], off glc dlc
	s_waitcnt vmcnt(0)
	v_cmpx_gt_u32_e32 2.0, v3
	s_cbranch_execz .LBB201_34
; %bb.37:                               ;   in Loop: Header=BB201_35 Depth=1
	s_mov_b32 s13, 0
.LBB201_38:                             ;   Parent Loop BB201_35 Depth=1
                                        ; =>  This Inner Loop Header: Depth=2
	global_load_dword v3, v[7:8], off glc dlc
	s_waitcnt vmcnt(0)
	v_cmp_lt_u32_e64 s8, 0x3fffffff, v3
	s_or_b32 s13, s8, s13
	s_andn2_b32 exec_lo, exec_lo, s13
	s_cbranch_execnz .LBB201_38
	s_branch .LBB201_33
.LBB201_39:                             ;   in Loop: Header=BB201_35 Depth=1
                                        ; implicit-def: $sgpr11
	s_and_b32 s12, exec_lo, s8
	s_or_b32 s10, s12, s10
	s_andn2_b32 exec_lo, exec_lo, s10
	s_cbranch_execnz .LBB201_35
.LBB201_40:
	s_or_b32 exec_lo, exec_lo, s10
	v_add_nc_u32_e32 v3, v9, v20
	v_sub_nc_u32_e32 v4, v9, v19
	v_or_b32_e32 v3, 0x80000000, v3
	global_store_dword v[5:6], v3, off
	global_load_dword v3, v17, s[24:25]
	s_waitcnt vmcnt(0)
	v_add_nc_u32_e32 v3, v4, v3
	ds_write_b32 v17, v3
.LBB201_41:
	s_or_b32 exec_lo, exec_lo, s9
	v_mov_b32_e32 v3, 0
	v_cmp_gt_u32_e64 s8, s35, v0
	s_waitcnt lgkmcnt(0)
	s_waitcnt_vscnt null, 0x0
	s_barrier
	buffer_gl0_inv
	v_mov_b32_e32 v4, v3
	v_mov_b32_e32 v5, v3
	;; [unrolled: 1-line block ×3, first 2 shown]
	s_and_saveexec_b32 s10, s8
	s_cbranch_execz .LBB201_43
; %bb.42:
	ds_read_b32 v10, v17 offset:1024
	v_mov_b32_e32 v6, v3
	v_mov_b32_e32 v7, v3
	s_waitcnt lgkmcnt(0)
	v_lshrrev_b32_e32 v4, s28, v10
	v_and_b32_e32 v4, s36, v4
	v_lshlrev_b32_e32 v5, 2, v4
	ds_read_b32 v5, v5
	s_waitcnt lgkmcnt(0)
	v_add_nc_u32_e32 v5, v5, v0
	v_lshlrev_b64 v[8:9], 2, v[5:6]
	v_mov_b32_e32 v5, v3
	v_mov_b32_e32 v3, v4
	;; [unrolled: 1-line block ×5, first 2 shown]
	v_add_co_u32 v8, s9, s18, v8
	v_add_co_ci_u32_e64 v9, null, s19, v9, s9
	global_store_dword v[8:9], v10, off
.LBB201_43:
	s_or_b32 exec_lo, exec_lo, s10
	v_or_b32_e32 v25, 0x400, v0
	v_cmp_gt_u32_e64 s9, s35, v25
	s_and_saveexec_b32 s11, s9
	s_cbranch_execz .LBB201_45
; %bb.44:
	ds_read_b32 v9, v17 offset:5120
	v_mov_b32_e32 v8, 0
	s_waitcnt lgkmcnt(0)
	v_lshrrev_b32_e32 v4, s28, v9
	v_and_b32_e32 v4, s36, v4
	v_lshlrev_b32_e32 v7, 2, v4
	ds_read_b32 v7, v7
	s_waitcnt lgkmcnt(0)
	v_add_nc_u32_e32 v7, v7, v25
	v_lshlrev_b64 v[7:8], 2, v[7:8]
	v_add_co_u32 v7, s10, s18, v7
	v_add_co_ci_u32_e64 v8, null, s19, v8, s10
	global_store_dword v[7:8], v9, off
.LBB201_45:
	s_or_b32 exec_lo, exec_lo, s11
	v_or_b32_e32 v26, 0x800, v0
	v_cmp_gt_u32_e64 s10, s35, v26
	s_and_saveexec_b32 s12, s10
	s_cbranch_execz .LBB201_47
; %bb.46:
	ds_read_b32 v9, v17 offset:9216
	v_mov_b32_e32 v8, 0
	s_waitcnt lgkmcnt(0)
	v_lshrrev_b32_e32 v5, s28, v9
	v_and_b32_e32 v5, s36, v5
	v_lshlrev_b32_e32 v7, 2, v5
	ds_read_b32 v7, v7
	s_waitcnt lgkmcnt(0)
	v_add_nc_u32_e32 v7, v7, v26
	v_lshlrev_b64 v[7:8], 2, v[7:8]
	v_add_co_u32 v7, s11, s18, v7
	v_add_co_ci_u32_e64 v8, null, s19, v8, s11
	global_store_dword v[7:8], v9, off
.LBB201_47:
	;; [unrolled: 20-line block ×3, first 2 shown]
	s_or_b32 exec_lo, exec_lo, s13
	v_lshlrev_b32_e32 v7, 3, v18
	s_lshl_b64 s[12:13], s[30:31], 3
	v_lshlrev_b32_e32 v9, 3, v11
	s_add_u32 s12, s20, s12
	s_addc_u32 s13, s21, s13
	v_add_co_u32 v7, s12, s12, v7
	v_add_co_ci_u32_e64 v10, null, s13, 0, s12
	v_mov_b32_e32 v8, 0
	v_add_co_u32 v13, s12, v7, v9
	v_add_co_ci_u32_e64 v14, null, 0, v10, s12
	v_mov_b32_e32 v10, 0
	v_mov_b32_e32 v9, 0
	s_and_saveexec_b32 s12, s3
	s_cbranch_execz .LBB201_51
; %bb.50:
	global_load_dwordx2 v[9:10], v[13:14], off
.LBB201_51:
	s_or_b32 exec_lo, exec_lo, s12
	v_mov_b32_e32 v7, 0
	s_and_saveexec_b32 s3, s2
	s_cbranch_execz .LBB201_53
; %bb.52:
	global_load_dwordx2 v[7:8], v[13:14], off offset:256
.LBB201_53:
	s_or_b32 exec_lo, exec_lo, s3
	v_mov_b32_e32 v12, 0
	v_mov_b32_e32 v16, 0
	;; [unrolled: 1-line block ×3, first 2 shown]
	s_and_saveexec_b32 s2, s1
	s_cbranch_execz .LBB201_55
; %bb.54:
	global_load_dwordx2 v[15:16], v[13:14], off offset:512
.LBB201_55:
	s_or_b32 exec_lo, exec_lo, s2
	v_mov_b32_e32 v11, 0
	s_and_saveexec_b32 s1, vcc_lo
	s_cbranch_execz .LBB201_57
; %bb.56:
	global_load_dwordx2 v[11:12], v[13:14], off offset:768
.LBB201_57:
	s_or_b32 exec_lo, exec_lo, s1
	v_min_u32_e32 v13, 0x1000, v24
	v_min_u32_e32 v14, 0x1000, v23
	;; [unrolled: 1-line block ×4, first 2 shown]
	s_waitcnt vmcnt(0)
	s_waitcnt_vscnt null, 0x0
	v_lshlrev_b32_e32 v13, 3, v13
	v_lshlrev_b32_e32 v14, 3, v14
	;; [unrolled: 1-line block ×3, first 2 shown]
	s_barrier
	buffer_gl0_inv
	v_lshlrev_b32_e32 v21, 3, v21
	ds_write_b64 v13, v[9:10] offset:1024
	ds_write_b64 v14, v[7:8] offset:1024
	ds_write_b64 v22, v[15:16] offset:1024
	v_lshlrev_b32_e32 v7, 3, v0
	ds_write_b64 v21, v[11:12] offset:1024
	s_waitcnt lgkmcnt(0)
	s_barrier
	buffer_gl0_inv
	s_and_saveexec_b32 s1, s8
	s_cbranch_execz .LBB201_61
; %bb.58:
	v_lshlrev_b32_e32 v3, 2, v3
	v_mov_b32_e32 v11, 0
	ds_read_b32 v3, v3
	ds_read_b64 v[8:9], v7 offset:1024
	s_waitcnt lgkmcnt(1)
	v_add_nc_u32_e32 v10, v3, v0
	v_lshlrev_b64 v[10:11], 3, v[10:11]
	v_add_co_u32 v10, vcc_lo, s22, v10
	v_add_co_ci_u32_e64 v11, null, s23, v11, vcc_lo
	s_waitcnt lgkmcnt(0)
	global_store_dwordx2 v[10:11], v[8:9], off
	s_or_b32 exec_lo, exec_lo, s1
	s_and_saveexec_b32 s1, s9
	s_cbranch_execnz .LBB201_62
.LBB201_59:
	s_or_b32 exec_lo, exec_lo, s1
	s_and_saveexec_b32 s1, s10
	s_cbranch_execz .LBB201_63
.LBB201_60:
	v_lshlrev_b32_e32 v3, 2, v5
	v_mov_b32_e32 v9, 0
	ds_read_b32 v5, v3
	ds_read_b64 v[3:4], v7 offset:17408
	s_waitcnt lgkmcnt(1)
	v_add_nc_u32_e32 v8, v5, v26
	v_lshlrev_b64 v[8:9], 3, v[8:9]
	v_add_co_u32 v8, vcc_lo, s22, v8
	v_add_co_ci_u32_e64 v9, null, s23, v9, vcc_lo
	s_waitcnt lgkmcnt(0)
	global_store_dwordx2 v[8:9], v[3:4], off
	s_or_b32 exec_lo, exec_lo, s1
	s_and_saveexec_b32 s1, s11
	s_cbranch_execnz .LBB201_64
	s_branch .LBB201_65
.LBB201_61:
	s_or_b32 exec_lo, exec_lo, s1
	s_and_saveexec_b32 s1, s9
	s_cbranch_execz .LBB201_59
.LBB201_62:
	v_lshlrev_b32_e32 v3, 2, v4
	v_mov_b32_e32 v9, 0
	ds_read_b32 v8, v3
	ds_read_b64 v[3:4], v7 offset:9216
	s_waitcnt lgkmcnt(1)
	v_add_nc_u32_e32 v8, v8, v25
	v_lshlrev_b64 v[8:9], 3, v[8:9]
	v_add_co_u32 v8, vcc_lo, s22, v8
	v_add_co_ci_u32_e64 v9, null, s23, v9, vcc_lo
	s_waitcnt lgkmcnt(0)
	global_store_dwordx2 v[8:9], v[3:4], off
	s_or_b32 exec_lo, exec_lo, s1
	s_and_saveexec_b32 s1, s10
	s_cbranch_execnz .LBB201_60
.LBB201_63:
	s_or_b32 exec_lo, exec_lo, s1
	s_and_saveexec_b32 s1, s11
	s_cbranch_execz .LBB201_65
.LBB201_64:
	v_lshlrev_b32_e32 v3, 2, v6
	v_mov_b32_e32 v6, 0
	ds_read_b32 v5, v3
	ds_read_b64 v[3:4], v7 offset:25600
	s_waitcnt lgkmcnt(1)
	v_add_nc_u32_e32 v5, v5, v27
	v_lshlrev_b64 v[5:6], 3, v[5:6]
	v_add_co_u32 v5, vcc_lo, s22, v5
	v_add_co_ci_u32_e64 v6, null, s23, v6, vcc_lo
	s_waitcnt lgkmcnt(0)
	global_store_dwordx2 v[5:6], v[3:4], off
.LBB201_65:
	s_or_b32 exec_lo, exec_lo, s1
	s_add_i32 s34, s34, -1
	s_cmp_eq_u32 s33, s34
	s_cselect_b32 s1, -1, 0
	s_xor_b32 s2, s7, -1
	s_and_b32 s2, s2, s1
	s_and_saveexec_b32 s1, s2
	s_cbranch_execz .LBB201_67
; %bb.66:
	ds_read_b32 v3, v17
	s_waitcnt lgkmcnt(0)
	v_add3_u32 v3, v19, v20, v3
	global_store_dword v17, v3, s[26:27]
.LBB201_67:
	s_or_b32 exec_lo, exec_lo, s1
	s_mov_b32 s2, 0
.LBB201_68:
	s_and_b32 vcc_lo, exec_lo, s2
	s_cbranch_vccz .LBB201_99
; %bb.69:
	s_lshl_b32 s8, s33, 12
	s_mov_b32 s9, 0
	v_and_b32_e32 v9, 0xf80, v17
	v_lshlrev_b32_e32 v3, 2, v18
	s_lshl_b64 s[2:3], s[8:9], 2
	s_add_u32 s1, s16, s2
	s_addc_u32 s2, s17, s3
	v_lshlrev_b32_e32 v4, 2, v9
	v_add_co_u32 v3, s1, s1, v3
	v_add_co_ci_u32_e64 v5, null, s2, 0, s1
	s_add_u32 s2, s4, 0x58
	v_add_co_u32 v3, vcc_lo, v3, v4
	v_add_co_ci_u32_e64 v4, null, 0, v5, vcc_lo
	s_addc_u32 s3, s5, 0
	v_mov_b32_e32 v5, 0
	global_load_dword v10, v[3:4], off
	s_clause 0x1
	s_load_dword s1, s[4:5], 0x64
	s_load_dword s7, s[4:5], 0x58
	s_waitcnt lgkmcnt(0)
	s_lshr_b32 s4, s1, 16
	s_cmp_lt_u32 s6, s7
	v_mad_u32_u24 v1, v2, s4, v1
	s_cselect_b32 s1, 12, 18
	s_add_u32 s2, s2, s1
	s_addc_u32 s3, s3, 0
	global_load_ushort v6, v5, s[2:3]
	s_clause 0x2
	global_load_dword v11, v[3:4], off offset:128
	global_load_dword v12, v[3:4], off offset:256
	;; [unrolled: 1-line block ×3, first 2 shown]
	s_lshl_b32 s1, -1, s29
	s_not_b32 s10, s1
	s_waitcnt vmcnt(4)
	v_lshrrev_b32_e32 v3, s28, v10
	v_and_b32_e32 v3, s10, v3
	v_and_b32_e32 v4, 1, v3
	v_lshlrev_b32_e32 v7, 30, v3
	v_lshlrev_b32_e32 v8, 29, v3
	;; [unrolled: 1-line block ×4, first 2 shown]
	v_add_co_u32 v4, s1, v4, -1
	v_cndmask_b32_e64 v15, 0, 1, s1
	v_not_b32_e32 v21, v7
	v_cmp_gt_i32_e64 s1, 0, v7
	v_not_b32_e32 v7, v8
	v_lshlrev_b32_e32 v19, 26, v3
	v_cmp_ne_u32_e32 vcc_lo, 0, v15
	v_ashrrev_i32_e32 v21, 31, v21
	v_lshlrev_b32_e32 v20, 25, v3
	v_ashrrev_i32_e32 v7, 31, v7
	v_lshlrev_b32_e32 v15, 24, v3
	v_xor_b32_e32 v4, vcc_lo, v4
	v_cmp_gt_i32_e32 vcc_lo, 0, v8
	v_not_b32_e32 v8, v14
	v_xor_b32_e32 v21, s1, v21
	v_cmp_gt_i32_e64 s1, 0, v14
	v_and_b32_e32 v4, exec_lo, v4
	v_not_b32_e32 v14, v16
	v_ashrrev_i32_e32 v8, 31, v8
	v_xor_b32_e32 v7, vcc_lo, v7
	v_cmp_gt_i32_e32 vcc_lo, 0, v16
	v_and_b32_e32 v4, v4, v21
	v_not_b32_e32 v16, v19
	v_ashrrev_i32_e32 v14, 31, v14
	v_xor_b32_e32 v8, s1, v8
	v_cmp_gt_i32_e64 s1, 0, v19
	v_and_b32_e32 v4, v4, v7
	v_not_b32_e32 v7, v20
	v_ashrrev_i32_e32 v16, 31, v16
	v_xor_b32_e32 v14, vcc_lo, v14
	v_cmp_gt_i32_e32 vcc_lo, 0, v20
	v_and_b32_e32 v4, v4, v8
	v_not_b32_e32 v8, v15
	v_ashrrev_i32_e32 v7, 31, v7
	v_xor_b32_e32 v16, s1, v16
	v_cmp_gt_i32_e64 s1, 0, v15
	v_and_b32_e32 v4, v4, v14
	v_ashrrev_i32_e32 v8, 31, v8
	v_xor_b32_e32 v7, vcc_lo, v7
	s_waitcnt vmcnt(3)
	v_mad_u64_u32 v[1:2], null, v1, v6, v[0:1]
	v_and_b32_e32 v4, v4, v16
	v_xor_b32_e32 v2, s1, v8
	v_mul_lo_u32 v3, 0x84, v3
	v_mul_u32_u24_e32 v15, 36, v0
	v_and_b32_e32 v4, v4, v7
	v_lshrrev_b32_e32 v1, 3, v1
	ds_write2_b32 v15, v5, v5 offset0:32 offset1:33
	ds_write2_b32 v15, v5, v5 offset0:34 offset1:35
	;; [unrolled: 1-line block ×3, first 2 shown]
	v_and_b32_e32 v2, v4, v2
	v_and_b32_e32 v1, 0x1ffffffc, v1
	ds_write2_b32 v15, v5, v5 offset0:38 offset1:39
	ds_write_b32 v15, v5 offset:160
	s_waitcnt vmcnt(0) lgkmcnt(0)
	s_waitcnt_vscnt null, 0x0
	s_barrier
	v_mbcnt_lo_u32_b32 v14, v2, 0
	v_cmp_ne_u32_e64 s1, 0, v2
	v_add_nc_u32_e32 v16, v1, v3
	buffer_gl0_inv
	v_cmp_eq_u32_e32 vcc_lo, 0, v14
	; wave barrier
	s_and_b32 s2, s1, vcc_lo
	s_and_saveexec_b32 s1, s2
; %bb.70:
	v_bcnt_u32_b32 v2, v2, 0
	ds_write_b32 v16, v2 offset:128
; %bb.71:
	s_or_b32 exec_lo, exec_lo, s1
	v_lshrrev_b32_e32 v2, s28, v11
	; wave barrier
	v_and_b32_e32 v2, s10, v2
	v_and_b32_e32 v4, 1, v2
	v_lshlrev_b32_e32 v5, 30, v2
	v_lshlrev_b32_e32 v6, 29, v2
	;; [unrolled: 1-line block ×4, first 2 shown]
	v_add_co_u32 v4, s1, v4, -1
	v_cndmask_b32_e64 v8, 0, 1, s1
	v_not_b32_e32 v22, v5
	v_cmp_gt_i32_e64 s1, 0, v5
	v_not_b32_e32 v5, v6
	v_lshlrev_b32_e32 v20, 26, v2
	v_cmp_ne_u32_e32 vcc_lo, 0, v8
	v_ashrrev_i32_e32 v8, 31, v22
	v_lshlrev_b32_e32 v21, 25, v2
	v_ashrrev_i32_e32 v5, 31, v5
	v_mul_lo_u32 v3, 0x84, v2
	v_xor_b32_e32 v4, vcc_lo, v4
	v_cmp_gt_i32_e32 vcc_lo, 0, v6
	v_not_b32_e32 v6, v7
	v_xor_b32_e32 v8, s1, v8
	v_cmp_gt_i32_e64 s1, 0, v7
	v_and_b32_e32 v4, exec_lo, v4
	v_not_b32_e32 v7, v19
	v_ashrrev_i32_e32 v6, 31, v6
	v_xor_b32_e32 v5, vcc_lo, v5
	v_cmp_gt_i32_e32 vcc_lo, 0, v19
	v_and_b32_e32 v4, v4, v8
	v_not_b32_e32 v8, v20
	v_ashrrev_i32_e32 v7, 31, v7
	v_xor_b32_e32 v6, s1, v6
	v_lshlrev_b32_e32 v2, 24, v2
	v_and_b32_e32 v4, v4, v5
	v_cmp_gt_i32_e64 s1, 0, v20
	v_not_b32_e32 v5, v21
	v_ashrrev_i32_e32 v8, 31, v8
	v_xor_b32_e32 v7, vcc_lo, v7
	v_and_b32_e32 v4, v4, v6
	v_cmp_gt_i32_e32 vcc_lo, 0, v21
	v_not_b32_e32 v6, v2
	v_ashrrev_i32_e32 v5, 31, v5
	v_xor_b32_e32 v8, s1, v8
	v_and_b32_e32 v4, v4, v7
	v_cmp_gt_i32_e64 s1, 0, v2
	v_ashrrev_i32_e32 v2, 31, v6
	v_xor_b32_e32 v5, vcc_lo, v5
	v_add_nc_u32_e32 v21, v1, v3
	v_and_b32_e32 v4, v4, v8
	v_xor_b32_e32 v2, s1, v2
	ds_read_b32 v19, v21 offset:128
	v_and_b32_e32 v3, v4, v5
	; wave barrier
	v_and_b32_e32 v2, v3, v2
	v_mbcnt_lo_u32_b32 v20, v2, 0
	v_cmp_ne_u32_e64 s1, 0, v2
	v_cmp_eq_u32_e32 vcc_lo, 0, v20
	s_and_b32 s2, s1, vcc_lo
	s_and_saveexec_b32 s1, s2
	s_cbranch_execz .LBB201_73
; %bb.72:
	s_waitcnt lgkmcnt(0)
	v_bcnt_u32_b32 v2, v2, v19
	ds_write_b32 v21, v2 offset:128
.LBB201_73:
	s_or_b32 exec_lo, exec_lo, s1
	v_lshrrev_b32_e32 v2, s28, v12
	; wave barrier
	v_and_b32_e32 v2, s10, v2
	v_and_b32_e32 v4, 1, v2
	v_lshlrev_b32_e32 v5, 30, v2
	v_lshlrev_b32_e32 v6, 29, v2
	v_lshlrev_b32_e32 v7, 28, v2
	v_lshlrev_b32_e32 v22, 27, v2
	v_add_co_u32 v4, s1, v4, -1
	v_cndmask_b32_e64 v8, 0, 1, s1
	v_not_b32_e32 v25, v5
	v_cmp_gt_i32_e64 s1, 0, v5
	v_not_b32_e32 v5, v6
	v_lshlrev_b32_e32 v23, 26, v2
	v_cmp_ne_u32_e32 vcc_lo, 0, v8
	v_ashrrev_i32_e32 v8, 31, v25
	v_lshlrev_b32_e32 v24, 25, v2
	v_ashrrev_i32_e32 v5, 31, v5
	v_mul_lo_u32 v3, 0x84, v2
	v_xor_b32_e32 v4, vcc_lo, v4
	v_cmp_gt_i32_e32 vcc_lo, 0, v6
	v_not_b32_e32 v6, v7
	v_xor_b32_e32 v8, s1, v8
	v_cmp_gt_i32_e64 s1, 0, v7
	v_and_b32_e32 v4, exec_lo, v4
	v_not_b32_e32 v7, v22
	v_ashrrev_i32_e32 v6, 31, v6
	v_xor_b32_e32 v5, vcc_lo, v5
	v_cmp_gt_i32_e32 vcc_lo, 0, v22
	v_and_b32_e32 v4, v4, v8
	v_not_b32_e32 v8, v23
	v_ashrrev_i32_e32 v7, 31, v7
	v_xor_b32_e32 v6, s1, v6
	v_lshlrev_b32_e32 v2, 24, v2
	v_and_b32_e32 v4, v4, v5
	v_cmp_gt_i32_e64 s1, 0, v23
	v_not_b32_e32 v5, v24
	v_ashrrev_i32_e32 v8, 31, v8
	v_xor_b32_e32 v7, vcc_lo, v7
	v_and_b32_e32 v4, v4, v6
	v_cmp_gt_i32_e32 vcc_lo, 0, v24
	v_not_b32_e32 v6, v2
	v_ashrrev_i32_e32 v5, 31, v5
	v_xor_b32_e32 v8, s1, v8
	v_and_b32_e32 v4, v4, v7
	v_cmp_gt_i32_e64 s1, 0, v2
	v_ashrrev_i32_e32 v2, 31, v6
	v_xor_b32_e32 v5, vcc_lo, v5
	v_add_nc_u32_e32 v24, v1, v3
	v_and_b32_e32 v4, v4, v8
	v_xor_b32_e32 v2, s1, v2
	ds_read_b32 v22, v24 offset:128
	v_and_b32_e32 v3, v4, v5
	; wave barrier
	v_and_b32_e32 v2, v3, v2
	v_mbcnt_lo_u32_b32 v23, v2, 0
	v_cmp_ne_u32_e64 s1, 0, v2
	v_cmp_eq_u32_e32 vcc_lo, 0, v23
	s_and_b32 s2, s1, vcc_lo
	s_and_saveexec_b32 s1, s2
	s_cbranch_execz .LBB201_75
; %bb.74:
	s_waitcnt lgkmcnt(0)
	v_bcnt_u32_b32 v2, v2, v22
	ds_write_b32 v24, v2 offset:128
.LBB201_75:
	s_or_b32 exec_lo, exec_lo, s1
	v_lshrrev_b32_e32 v2, s28, v13
	; wave barrier
	v_and_b32_e32 v2, s10, v2
	v_and_b32_e32 v4, 1, v2
	v_lshlrev_b32_e32 v5, 30, v2
	v_lshlrev_b32_e32 v6, 29, v2
	;; [unrolled: 1-line block ×4, first 2 shown]
	v_add_co_u32 v4, s1, v4, -1
	v_cndmask_b32_e64 v8, 0, 1, s1
	v_not_b32_e32 v28, v5
	v_cmp_gt_i32_e64 s1, 0, v5
	v_not_b32_e32 v5, v6
	v_lshlrev_b32_e32 v26, 26, v2
	v_cmp_ne_u32_e32 vcc_lo, 0, v8
	v_ashrrev_i32_e32 v8, 31, v28
	v_lshlrev_b32_e32 v27, 25, v2
	v_ashrrev_i32_e32 v5, 31, v5
	v_mul_lo_u32 v3, 0x84, v2
	v_xor_b32_e32 v4, vcc_lo, v4
	v_cmp_gt_i32_e32 vcc_lo, 0, v6
	v_not_b32_e32 v6, v7
	v_xor_b32_e32 v8, s1, v8
	v_cmp_gt_i32_e64 s1, 0, v7
	v_and_b32_e32 v4, exec_lo, v4
	v_not_b32_e32 v7, v25
	v_ashrrev_i32_e32 v6, 31, v6
	v_xor_b32_e32 v5, vcc_lo, v5
	v_cmp_gt_i32_e32 vcc_lo, 0, v25
	v_and_b32_e32 v4, v4, v8
	v_not_b32_e32 v8, v26
	v_ashrrev_i32_e32 v7, 31, v7
	v_xor_b32_e32 v6, s1, v6
	v_lshlrev_b32_e32 v2, 24, v2
	v_and_b32_e32 v4, v4, v5
	v_cmp_gt_i32_e64 s1, 0, v26
	v_not_b32_e32 v5, v27
	v_ashrrev_i32_e32 v8, 31, v8
	v_xor_b32_e32 v7, vcc_lo, v7
	v_and_b32_e32 v4, v4, v6
	v_cmp_gt_i32_e32 vcc_lo, 0, v27
	v_not_b32_e32 v6, v2
	v_ashrrev_i32_e32 v5, 31, v5
	v_xor_b32_e32 v8, s1, v8
	v_and_b32_e32 v4, v4, v7
	v_cmp_gt_i32_e64 s1, 0, v2
	v_ashrrev_i32_e32 v2, 31, v6
	v_xor_b32_e32 v5, vcc_lo, v5
	v_add_nc_u32_e32 v27, v1, v3
	v_and_b32_e32 v4, v4, v8
	v_xor_b32_e32 v1, s1, v2
	ds_read_b32 v25, v27 offset:128
	v_and_b32_e32 v2, v4, v5
	; wave barrier
	v_and_b32_e32 v1, v2, v1
	v_mbcnt_lo_u32_b32 v26, v1, 0
	v_cmp_ne_u32_e64 s1, 0, v1
	v_cmp_eq_u32_e32 vcc_lo, 0, v26
	s_and_b32 s2, s1, vcc_lo
	s_and_saveexec_b32 s1, s2
	s_cbranch_execz .LBB201_77
; %bb.76:
	s_waitcnt lgkmcnt(0)
	v_bcnt_u32_b32 v1, v1, v25
	ds_write_b32 v27, v1 offset:128
.LBB201_77:
	s_or_b32 exec_lo, exec_lo, s1
	; wave barrier
	s_waitcnt lgkmcnt(0)
	s_barrier
	buffer_gl0_inv
	ds_read2_b32 v[7:8], v15 offset0:32 offset1:33
	ds_read2_b32 v[5:6], v15 offset0:34 offset1:35
	;; [unrolled: 1-line block ×4, first 2 shown]
	ds_read_b32 v28, v15 offset:160
	v_and_b32_e32 v31, 16, v18
	v_and_b32_e32 v32, 31, v0
	s_mov_b32 s6, exec_lo
	v_cmp_eq_u32_e64 s4, 0, v31
	s_waitcnt lgkmcnt(3)
	v_add3_u32 v29, v8, v7, v5
	s_waitcnt lgkmcnt(2)
	v_add3_u32 v29, v29, v6, v3
	;; [unrolled: 2-line block ×4, first 2 shown]
	v_and_b32_e32 v29, 15, v18
	v_mov_b32_dpp v30, v28 row_shr:1 row_mask:0xf bank_mask:0xf
	v_cmp_eq_u32_e32 vcc_lo, 0, v29
	v_cmp_lt_u32_e64 s1, 1, v29
	v_cmp_lt_u32_e64 s2, 3, v29
	;; [unrolled: 1-line block ×3, first 2 shown]
	v_cndmask_b32_e64 v30, v30, 0, vcc_lo
	v_add_nc_u32_e32 v28, v30, v28
	v_mov_b32_dpp v30, v28 row_shr:2 row_mask:0xf bank_mask:0xf
	v_cndmask_b32_e64 v30, 0, v30, s1
	v_add_nc_u32_e32 v28, v28, v30
	v_mov_b32_dpp v30, v28 row_shr:4 row_mask:0xf bank_mask:0xf
	v_cndmask_b32_e64 v30, 0, v30, s2
	v_add_nc_u32_e32 v28, v28, v30
	v_mov_b32_dpp v30, v28 row_shr:8 row_mask:0xf bank_mask:0xf
	v_cndmask_b32_e64 v29, 0, v30, s3
	v_bfe_i32 v30, v18, 4, 1
	v_add_nc_u32_e32 v28, v28, v29
	ds_swizzle_b32 v29, v28 offset:swizzle(BROADCAST,32,15)
	s_waitcnt lgkmcnt(0)
	v_and_b32_e32 v30, v30, v29
	v_lshrrev_b32_e32 v29, 5, v0
	v_add_nc_u32_e32 v28, v28, v30
	v_cmpx_eq_u32_e32 31, v32
; %bb.78:
	v_lshlrev_b32_e32 v30, 2, v29
	ds_write_b32 v30, v28
; %bb.79:
	s_or_b32 exec_lo, exec_lo, s6
	v_cmp_lt_u32_e64 s5, 31, v0
	s_mov_b32 s11, exec_lo
	s_waitcnt lgkmcnt(0)
	s_barrier
	buffer_gl0_inv
	v_cmpx_gt_u32_e32 32, v0
	s_cbranch_execz .LBB201_81
; %bb.80:
	ds_read_b32 v30, v17
	s_waitcnt lgkmcnt(0)
	v_mov_b32_dpp v31, v30 row_shr:1 row_mask:0xf bank_mask:0xf
	v_cndmask_b32_e64 v31, v31, 0, vcc_lo
	v_add_nc_u32_e32 v30, v31, v30
	v_mov_b32_dpp v31, v30 row_shr:2 row_mask:0xf bank_mask:0xf
	v_cndmask_b32_e64 v31, 0, v31, s1
	v_add_nc_u32_e32 v30, v30, v31
	v_mov_b32_dpp v31, v30 row_shr:4 row_mask:0xf bank_mask:0xf
	v_cndmask_b32_e64 v31, 0, v31, s2
	;; [unrolled: 3-line block ×3, first 2 shown]
	v_add_nc_u32_e32 v30, v30, v31
	ds_swizzle_b32 v31, v30 offset:swizzle(BROADCAST,32,15)
	s_waitcnt lgkmcnt(0)
	v_cndmask_b32_e64 v31, v31, 0, s4
	v_add_nc_u32_e32 v30, v30, v31
	ds_write_b32 v17, v30
.LBB201_81:
	s_or_b32 exec_lo, exec_lo, s11
	v_mov_b32_e32 v30, 0
	s_waitcnt lgkmcnt(0)
	s_barrier
	buffer_gl0_inv
	s_and_saveexec_b32 s1, s5
; %bb.82:
	v_lshl_add_u32 v29, v29, 2, -4
	ds_read_b32 v30, v29
; %bb.83:
	s_or_b32 exec_lo, exec_lo, s1
	v_sub_co_u32 v29, vcc_lo, v18, 1
	s_waitcnt lgkmcnt(0)
	v_add_nc_u32_e32 v28, v30, v28
	v_cmp_gt_i32_e64 s1, 0, v29
	v_cndmask_b32_e64 v29, v29, v18, s1
	v_lshlrev_b32_e32 v29, 2, v29
	ds_bpermute_b32 v28, v29, v28
	s_waitcnt lgkmcnt(0)
	v_cndmask_b32_e32 v28, v28, v30, vcc_lo
	v_cmp_lt_u32_e32 vcc_lo, 0xff, v0
	v_cndmask_b32_e64 v28, v28, 0, s0
	v_cmp_gt_u32_e64 s0, 0x100, v0
	v_add_nc_u32_e32 v7, v28, v7
	v_add_nc_u32_e32 v8, v7, v8
	;; [unrolled: 1-line block ×8, first 2 shown]
	ds_write2_b32 v15, v28, v7 offset0:32 offset1:33
	ds_write2_b32 v15, v8, v5 offset0:34 offset1:35
	ds_write2_b32 v15, v6, v3 offset0:36 offset1:37
	ds_write2_b32 v15, v4, v1 offset0:38 offset1:39
	ds_write_b32 v15, v2 offset:160
	s_waitcnt lgkmcnt(0)
	s_barrier
	buffer_gl0_inv
	ds_read_b32 v1, v16 offset:128
	ds_read_b32 v2, v21 offset:128
	ds_read_b32 v3, v24 offset:128
	ds_read_b32 v4, v27 offset:128
                                        ; implicit-def: $vgpr7
                                        ; implicit-def: $vgpr8
	s_and_saveexec_b32 s2, s0
	s_cbranch_execz .LBB201_87
; %bb.84:
	v_mul_u32_u24_e32 v5, 0x84, v0
	v_add_nc_u32_e32 v6, 1, v0
	s_mov_b32 s3, exec_lo
	ds_read_b32 v7, v5 offset:128
	v_mov_b32_e32 v5, 0x1000
	v_cmpx_ne_u32_e32 0x100, v6
; %bb.85:
	v_mul_u32_u24_e32 v5, 0x84, v6
	ds_read_b32 v5, v5 offset:128
; %bb.86:
	s_or_b32 exec_lo, exec_lo, s3
	s_waitcnt lgkmcnt(0)
	v_sub_nc_u32_e32 v8, v5, v7
.LBB201_87:
	s_or_b32 exec_lo, exec_lo, s2
	s_waitcnt lgkmcnt(3)
	v_add_nc_u32_e32 v21, v1, v14
	s_waitcnt lgkmcnt(2)
	v_add3_u32 v16, v20, v19, v2
	s_waitcnt lgkmcnt(1)
	v_add3_u32 v15, v23, v22, v3
	;; [unrolled: 2-line block ×3, first 2 shown]
	v_mov_b32_e32 v2, 0
	v_lshlrev_b32_e32 v1, 2, v21
	v_lshlrev_b32_e32 v3, 2, v16
	;; [unrolled: 1-line block ×4, first 2 shown]
	s_barrier
	buffer_gl0_inv
	ds_write_b32 v1, v10 offset:1024
	ds_write_b32 v3, v11 offset:1024
	;; [unrolled: 1-line block ×4, first 2 shown]
	s_and_saveexec_b32 s1, s0
	s_cbranch_execz .LBB201_97
; %bb.88:
	v_lshl_add_u32 v1, s33, 8, v0
	v_mov_b32_e32 v10, 0
	s_mov_b32 s2, 0
	s_mov_b32 s3, s33
	v_lshlrev_b64 v[3:4], 2, v[1:2]
	v_or_b32_e32 v1, 2.0, v8
	v_add_co_u32 v3, s0, s14, v3
	v_add_co_ci_u32_e64 v4, null, s15, v4, s0
                                        ; implicit-def: $sgpr0
	global_store_dword v[3:4], v1, off
	s_branch .LBB201_91
	.p2align	6
.LBB201_89:                             ;   in Loop: Header=BB201_91 Depth=1
	s_or_b32 exec_lo, exec_lo, s5
.LBB201_90:                             ;   in Loop: Header=BB201_91 Depth=1
	s_or_b32 exec_lo, exec_lo, s4
	v_and_b32_e32 v5, 0x3fffffff, v1
	v_cmp_gt_i32_e64 s0, -2.0, v1
	v_add_nc_u32_e32 v10, v5, v10
	s_and_b32 s4, exec_lo, s0
	s_or_b32 s2, s4, s2
	s_andn2_b32 exec_lo, exec_lo, s2
	s_cbranch_execz .LBB201_96
.LBB201_91:                             ; =>This Loop Header: Depth=1
                                        ;     Child Loop BB201_94 Depth 2
	s_or_b32 s0, s0, exec_lo
	s_cmp_eq_u32 s3, 0
	s_cbranch_scc1 .LBB201_95
; %bb.92:                               ;   in Loop: Header=BB201_91 Depth=1
	s_add_i32 s3, s3, -1
	s_mov_b32 s4, exec_lo
	v_lshl_or_b32 v1, s3, 8, v0
	v_lshlrev_b64 v[5:6], 2, v[1:2]
	v_add_co_u32 v5, s0, s14, v5
	v_add_co_ci_u32_e64 v6, null, s15, v6, s0
	global_load_dword v1, v[5:6], off glc dlc
	s_waitcnt vmcnt(0)
	v_cmpx_gt_u32_e32 2.0, v1
	s_cbranch_execz .LBB201_90
; %bb.93:                               ;   in Loop: Header=BB201_91 Depth=1
	s_mov_b32 s5, 0
.LBB201_94:                             ;   Parent Loop BB201_91 Depth=1
                                        ; =>  This Inner Loop Header: Depth=2
	global_load_dword v1, v[5:6], off glc dlc
	s_waitcnt vmcnt(0)
	v_cmp_lt_u32_e64 s0, 0x3fffffff, v1
	s_or_b32 s5, s0, s5
	s_andn2_b32 exec_lo, exec_lo, s5
	s_cbranch_execnz .LBB201_94
	s_branch .LBB201_89
.LBB201_95:                             ;   in Loop: Header=BB201_91 Depth=1
                                        ; implicit-def: $sgpr3
	s_and_b32 s4, exec_lo, s0
	s_or_b32 s2, s4, s2
	s_andn2_b32 exec_lo, exec_lo, s2
	s_cbranch_execnz .LBB201_91
.LBB201_96:
	s_or_b32 exec_lo, exec_lo, s2
	v_add_nc_u32_e32 v1, v10, v8
	v_sub_nc_u32_e32 v2, v10, v7
	v_or_b32_e32 v1, 0x80000000, v1
	global_store_dword v[3:4], v1, off
	global_load_dword v1, v17, s[24:25]
	s_waitcnt vmcnt(0)
	v_add_nc_u32_e32 v1, v2, v1
	ds_write_b32 v17, v1
.LBB201_97:
	s_or_b32 exec_lo, exec_lo, s1
	v_lshlrev_b32_e32 v1, 3, v18
	s_lshl_b64 s[0:1], s[8:9], 3
	v_lshlrev_b32_e32 v2, 3, v9
	s_add_u32 s0, s20, s0
	s_addc_u32 s1, s21, s1
	v_add_co_u32 v1, s0, s0, v1
	v_add_co_ci_u32_e64 v3, null, s1, 0, s0
	s_waitcnt lgkmcnt(0)
	s_waitcnt_vscnt null, 0x0
	v_add_co_u32 v1, s0, v1, v2
	v_add_co_ci_u32_e64 v2, null, 0, v3, s0
	s_barrier
	buffer_gl0_inv
	v_mov_b32_e32 v23, 0
	s_clause 0x3
	global_load_dwordx2 v[3:4], v[1:2], off
	global_load_dwordx2 v[5:6], v[1:2], off offset:256
	global_load_dwordx2 v[9:10], v[1:2], off offset:512
	;; [unrolled: 1-line block ×3, first 2 shown]
	ds_read2st64_b32 v[11:12], v17 offset0:4 offset1:20
	ds_read2st64_b32 v[18:19], v17 offset0:36 offset1:52
	v_or_b32_e32 v30, 0x400, v0
	v_or_b32_e32 v31, 0x800, v0
	v_min_u32_e32 v33, 0x1000, v15
	v_or_b32_e32 v32, 0xc00, v0
	v_min_u32_e32 v34, 0x1000, v14
	s_add_i32 s7, s7, -1
	v_lshlrev_b32_e32 v33, 3, v33
	s_cmp_eq_u32 s33, s7
	s_waitcnt lgkmcnt(1)
	v_lshrrev_b32_e32 v13, s28, v11
	v_lshrrev_b32_e32 v20, s28, v12
	v_and_b32_e32 v13, s10, v13
	v_lshlrev_b32_e32 v26, 2, v13
	v_and_b32_e32 v13, s10, v20
	s_waitcnt lgkmcnt(0)
	v_lshrrev_b32_e32 v20, s28, v18
	ds_read_b32 v22, v26
	v_lshlrev_b32_e32 v27, 2, v13
	v_and_b32_e32 v13, s10, v20
	v_lshrrev_b32_e32 v20, s28, v19
	ds_read_b32 v24, v27
	v_lshlrev_b32_e32 v28, 2, v13
	v_and_b32_e32 v13, s10, v20
	ds_read_b32 v20, v28
	v_lshlrev_b32_e32 v29, 2, v13
	v_min_u32_e32 v13, 0x1000, v21
	v_min_u32_e32 v21, 0x1000, v16
	ds_read_b32 v25, v29
	v_lshlrev_b32_e32 v35, 3, v13
	s_waitcnt lgkmcnt(3)
	v_add_nc_u32_e32 v22, v22, v0
	v_lshlrev_b32_e32 v36, 3, v21
	v_lshlrev_b64 v[15:16], 2, v[22:23]
	s_waitcnt lgkmcnt(2)
	v_add_nc_u32_e32 v22, v24, v30
	v_lshlrev_b64 v[13:14], 2, v[22:23]
	s_waitcnt lgkmcnt(1)
	v_add_nc_u32_e32 v22, v20, v31
	v_add_co_u32 v15, s0, s18, v15
	v_add_co_ci_u32_e64 v16, null, s19, v16, s0
	v_lshlrev_b64 v[20:21], 2, v[22:23]
	s_waitcnt lgkmcnt(0)
	v_add_nc_u32_e32 v22, v25, v32
	v_add_co_u32 v13, s0, s18, v13
	v_add_co_ci_u32_e64 v14, null, s19, v14, s0
	v_lshlrev_b64 v[24:25], 2, v[22:23]
	v_add_co_u32 v20, s0, s18, v20
	v_add_co_ci_u32_e64 v21, null, s19, v21, s0
	v_lshlrev_b32_e32 v22, 3, v34
	v_add_co_u32 v24, s0, s18, v24
	v_add_co_ci_u32_e64 v25, null, s19, v25, s0
	global_store_dword v[15:16], v11, off
	global_store_dword v[13:14], v12, off
	global_store_dword v[20:21], v18, off
	global_store_dword v[24:25], v19, off
	s_waitcnt vmcnt(0)
	s_waitcnt_vscnt null, 0x0
	s_barrier
	buffer_gl0_inv
	ds_write_b64 v35, v[3:4] offset:1024
	ds_write_b64 v36, v[5:6] offset:1024
	;; [unrolled: 1-line block ×4, first 2 shown]
	s_waitcnt lgkmcnt(0)
	s_barrier
	buffer_gl0_inv
	ds_read_b32 v1, v26
	ds_read_b32 v6, v27
	;; [unrolled: 1-line block ×4, first 2 shown]
	v_add_nc_u32_e32 v9, v17, v17
	s_waitcnt lgkmcnt(3)
	v_add_nc_u32_e32 v22, v1, v0
	ds_read2st64_b64 v[0:3], v9 offset0:2 offset1:18
	ds_read2st64_b64 v[9:12], v9 offset0:34 offset1:50
	v_lshlrev_b64 v[4:5], 3, v[22:23]
	s_waitcnt lgkmcnt(4)
	v_add_nc_u32_e32 v22, v6, v30
	v_lshlrev_b64 v[13:14], 3, v[22:23]
	s_waitcnt lgkmcnt(3)
	v_add_nc_u32_e32 v22, v15, v31
	v_add_co_u32 v4, s0, s22, v4
	v_add_co_ci_u32_e64 v5, null, s23, v5, s0
	v_lshlrev_b64 v[15:16], 3, v[22:23]
	s_waitcnt lgkmcnt(2)
	v_add_nc_u32_e32 v22, v18, v32
	v_add_co_u32 v13, s0, s22, v13
	v_add_co_ci_u32_e64 v14, null, s23, v14, s0
	s_waitcnt lgkmcnt(1)
	global_store_dwordx2 v[4:5], v[0:1], off
	v_lshlrev_b64 v[0:1], 3, v[22:23]
	global_store_dwordx2 v[13:14], v[2:3], off
	v_add_co_u32 v2, s0, s22, v15
	v_add_co_ci_u32_e64 v3, null, s23, v16, s0
	v_add_co_u32 v0, s0, s22, v0
	v_add_co_ci_u32_e64 v1, null, s23, v1, s0
	s_cselect_b32 s0, -1, 0
	s_xor_b32 s1, vcc_lo, -1
	s_waitcnt lgkmcnt(0)
	global_store_dwordx2 v[2:3], v[9:10], off
	s_and_b32 s0, s1, s0
	global_store_dwordx2 v[0:1], v[11:12], off
	s_and_saveexec_b32 s1, s0
	s_cbranch_execz .LBB201_99
; %bb.98:
	ds_read_b32 v0, v17
	s_waitcnt lgkmcnt(0)
	v_add3_u32 v0, v7, v8, v0
	global_store_dword v17, v0, s[26:27]
.LBB201_99:
	s_endpgm
	.section	.rodata,"a",@progbits
	.p2align	6, 0x0
	.amdhsa_kernel _ZN7rocprim17ROCPRIM_400000_NS6detail17trampoline_kernelINS0_14default_configENS1_35radix_sort_onesweep_config_selectorIjN6thrust23THRUST_200600_302600_NS5tupleIffNS6_9null_typeES8_S8_S8_S8_S8_S8_S8_EEEEZZNS1_29radix_sort_onesweep_iterationIS3_Lb0ENS6_6detail15normal_iteratorINS6_10device_ptrIjEEEESG_NSD_INSE_IS9_EEEESI_jNS0_19identity_decomposerENS1_16block_id_wrapperIjLb1EEEEE10hipError_tT1_PNSt15iterator_traitsISN_E10value_typeET2_T3_PNSO_IST_E10value_typeET4_T5_PSY_SZ_PNS1_23onesweep_lookback_stateEbbT6_jjT7_P12ihipStream_tbENKUlT_T0_SN_SS_E_clIPjSG_PS9_SI_EEDaS16_S17_SN_SS_EUlS16_E_NS1_11comp_targetILNS1_3genE8ELNS1_11target_archE1030ELNS1_3gpuE2ELNS1_3repE0EEENS1_47radix_sort_onesweep_sort_config_static_selectorELNS0_4arch9wavefront6targetE0EEEvSN_
		.amdhsa_group_segment_fixed_size 37000
		.amdhsa_private_segment_fixed_size 0
		.amdhsa_kernarg_size 344
		.amdhsa_user_sgpr_count 6
		.amdhsa_user_sgpr_private_segment_buffer 1
		.amdhsa_user_sgpr_dispatch_ptr 0
		.amdhsa_user_sgpr_queue_ptr 0
		.amdhsa_user_sgpr_kernarg_segment_ptr 1
		.amdhsa_user_sgpr_dispatch_id 0
		.amdhsa_user_sgpr_flat_scratch_init 0
		.amdhsa_user_sgpr_private_segment_size 0
		.amdhsa_wavefront_size32 1
		.amdhsa_uses_dynamic_stack 0
		.amdhsa_system_sgpr_private_segment_wavefront_offset 0
		.amdhsa_system_sgpr_workgroup_id_x 1
		.amdhsa_system_sgpr_workgroup_id_y 0
		.amdhsa_system_sgpr_workgroup_id_z 0
		.amdhsa_system_sgpr_workgroup_info 0
		.amdhsa_system_vgpr_workitem_id 2
		.amdhsa_next_free_vgpr 37
		.amdhsa_next_free_sgpr 38
		.amdhsa_reserve_vcc 1
		.amdhsa_reserve_flat_scratch 0
		.amdhsa_float_round_mode_32 0
		.amdhsa_float_round_mode_16_64 0
		.amdhsa_float_denorm_mode_32 3
		.amdhsa_float_denorm_mode_16_64 3
		.amdhsa_dx10_clamp 1
		.amdhsa_ieee_mode 1
		.amdhsa_fp16_overflow 0
		.amdhsa_workgroup_processor_mode 1
		.amdhsa_memory_ordered 1
		.amdhsa_forward_progress 1
		.amdhsa_shared_vgpr_count 0
		.amdhsa_exception_fp_ieee_invalid_op 0
		.amdhsa_exception_fp_denorm_src 0
		.amdhsa_exception_fp_ieee_div_zero 0
		.amdhsa_exception_fp_ieee_overflow 0
		.amdhsa_exception_fp_ieee_underflow 0
		.amdhsa_exception_fp_ieee_inexact 0
		.amdhsa_exception_int_div_zero 0
	.end_amdhsa_kernel
	.section	.text._ZN7rocprim17ROCPRIM_400000_NS6detail17trampoline_kernelINS0_14default_configENS1_35radix_sort_onesweep_config_selectorIjN6thrust23THRUST_200600_302600_NS5tupleIffNS6_9null_typeES8_S8_S8_S8_S8_S8_S8_EEEEZZNS1_29radix_sort_onesweep_iterationIS3_Lb0ENS6_6detail15normal_iteratorINS6_10device_ptrIjEEEESG_NSD_INSE_IS9_EEEESI_jNS0_19identity_decomposerENS1_16block_id_wrapperIjLb1EEEEE10hipError_tT1_PNSt15iterator_traitsISN_E10value_typeET2_T3_PNSO_IST_E10value_typeET4_T5_PSY_SZ_PNS1_23onesweep_lookback_stateEbbT6_jjT7_P12ihipStream_tbENKUlT_T0_SN_SS_E_clIPjSG_PS9_SI_EEDaS16_S17_SN_SS_EUlS16_E_NS1_11comp_targetILNS1_3genE8ELNS1_11target_archE1030ELNS1_3gpuE2ELNS1_3repE0EEENS1_47radix_sort_onesweep_sort_config_static_selectorELNS0_4arch9wavefront6targetE0EEEvSN_,"axG",@progbits,_ZN7rocprim17ROCPRIM_400000_NS6detail17trampoline_kernelINS0_14default_configENS1_35radix_sort_onesweep_config_selectorIjN6thrust23THRUST_200600_302600_NS5tupleIffNS6_9null_typeES8_S8_S8_S8_S8_S8_S8_EEEEZZNS1_29radix_sort_onesweep_iterationIS3_Lb0ENS6_6detail15normal_iteratorINS6_10device_ptrIjEEEESG_NSD_INSE_IS9_EEEESI_jNS0_19identity_decomposerENS1_16block_id_wrapperIjLb1EEEEE10hipError_tT1_PNSt15iterator_traitsISN_E10value_typeET2_T3_PNSO_IST_E10value_typeET4_T5_PSY_SZ_PNS1_23onesweep_lookback_stateEbbT6_jjT7_P12ihipStream_tbENKUlT_T0_SN_SS_E_clIPjSG_PS9_SI_EEDaS16_S17_SN_SS_EUlS16_E_NS1_11comp_targetILNS1_3genE8ELNS1_11target_archE1030ELNS1_3gpuE2ELNS1_3repE0EEENS1_47radix_sort_onesweep_sort_config_static_selectorELNS0_4arch9wavefront6targetE0EEEvSN_,comdat
.Lfunc_end201:
	.size	_ZN7rocprim17ROCPRIM_400000_NS6detail17trampoline_kernelINS0_14default_configENS1_35radix_sort_onesweep_config_selectorIjN6thrust23THRUST_200600_302600_NS5tupleIffNS6_9null_typeES8_S8_S8_S8_S8_S8_S8_EEEEZZNS1_29radix_sort_onesweep_iterationIS3_Lb0ENS6_6detail15normal_iteratorINS6_10device_ptrIjEEEESG_NSD_INSE_IS9_EEEESI_jNS0_19identity_decomposerENS1_16block_id_wrapperIjLb1EEEEE10hipError_tT1_PNSt15iterator_traitsISN_E10value_typeET2_T3_PNSO_IST_E10value_typeET4_T5_PSY_SZ_PNS1_23onesweep_lookback_stateEbbT6_jjT7_P12ihipStream_tbENKUlT_T0_SN_SS_E_clIPjSG_PS9_SI_EEDaS16_S17_SN_SS_EUlS16_E_NS1_11comp_targetILNS1_3genE8ELNS1_11target_archE1030ELNS1_3gpuE2ELNS1_3repE0EEENS1_47radix_sort_onesweep_sort_config_static_selectorELNS0_4arch9wavefront6targetE0EEEvSN_, .Lfunc_end201-_ZN7rocprim17ROCPRIM_400000_NS6detail17trampoline_kernelINS0_14default_configENS1_35radix_sort_onesweep_config_selectorIjN6thrust23THRUST_200600_302600_NS5tupleIffNS6_9null_typeES8_S8_S8_S8_S8_S8_S8_EEEEZZNS1_29radix_sort_onesweep_iterationIS3_Lb0ENS6_6detail15normal_iteratorINS6_10device_ptrIjEEEESG_NSD_INSE_IS9_EEEESI_jNS0_19identity_decomposerENS1_16block_id_wrapperIjLb1EEEEE10hipError_tT1_PNSt15iterator_traitsISN_E10value_typeET2_T3_PNSO_IST_E10value_typeET4_T5_PSY_SZ_PNS1_23onesweep_lookback_stateEbbT6_jjT7_P12ihipStream_tbENKUlT_T0_SN_SS_E_clIPjSG_PS9_SI_EEDaS16_S17_SN_SS_EUlS16_E_NS1_11comp_targetILNS1_3genE8ELNS1_11target_archE1030ELNS1_3gpuE2ELNS1_3repE0EEENS1_47radix_sort_onesweep_sort_config_static_selectorELNS0_4arch9wavefront6targetE0EEEvSN_
                                        ; -- End function
	.set _ZN7rocprim17ROCPRIM_400000_NS6detail17trampoline_kernelINS0_14default_configENS1_35radix_sort_onesweep_config_selectorIjN6thrust23THRUST_200600_302600_NS5tupleIffNS6_9null_typeES8_S8_S8_S8_S8_S8_S8_EEEEZZNS1_29radix_sort_onesweep_iterationIS3_Lb0ENS6_6detail15normal_iteratorINS6_10device_ptrIjEEEESG_NSD_INSE_IS9_EEEESI_jNS0_19identity_decomposerENS1_16block_id_wrapperIjLb1EEEEE10hipError_tT1_PNSt15iterator_traitsISN_E10value_typeET2_T3_PNSO_IST_E10value_typeET4_T5_PSY_SZ_PNS1_23onesweep_lookback_stateEbbT6_jjT7_P12ihipStream_tbENKUlT_T0_SN_SS_E_clIPjSG_PS9_SI_EEDaS16_S17_SN_SS_EUlS16_E_NS1_11comp_targetILNS1_3genE8ELNS1_11target_archE1030ELNS1_3gpuE2ELNS1_3repE0EEENS1_47radix_sort_onesweep_sort_config_static_selectorELNS0_4arch9wavefront6targetE0EEEvSN_.num_vgpr, 37
	.set _ZN7rocprim17ROCPRIM_400000_NS6detail17trampoline_kernelINS0_14default_configENS1_35radix_sort_onesweep_config_selectorIjN6thrust23THRUST_200600_302600_NS5tupleIffNS6_9null_typeES8_S8_S8_S8_S8_S8_S8_EEEEZZNS1_29radix_sort_onesweep_iterationIS3_Lb0ENS6_6detail15normal_iteratorINS6_10device_ptrIjEEEESG_NSD_INSE_IS9_EEEESI_jNS0_19identity_decomposerENS1_16block_id_wrapperIjLb1EEEEE10hipError_tT1_PNSt15iterator_traitsISN_E10value_typeET2_T3_PNSO_IST_E10value_typeET4_T5_PSY_SZ_PNS1_23onesweep_lookback_stateEbbT6_jjT7_P12ihipStream_tbENKUlT_T0_SN_SS_E_clIPjSG_PS9_SI_EEDaS16_S17_SN_SS_EUlS16_E_NS1_11comp_targetILNS1_3genE8ELNS1_11target_archE1030ELNS1_3gpuE2ELNS1_3repE0EEENS1_47radix_sort_onesweep_sort_config_static_selectorELNS0_4arch9wavefront6targetE0EEEvSN_.num_agpr, 0
	.set _ZN7rocprim17ROCPRIM_400000_NS6detail17trampoline_kernelINS0_14default_configENS1_35radix_sort_onesweep_config_selectorIjN6thrust23THRUST_200600_302600_NS5tupleIffNS6_9null_typeES8_S8_S8_S8_S8_S8_S8_EEEEZZNS1_29radix_sort_onesweep_iterationIS3_Lb0ENS6_6detail15normal_iteratorINS6_10device_ptrIjEEEESG_NSD_INSE_IS9_EEEESI_jNS0_19identity_decomposerENS1_16block_id_wrapperIjLb1EEEEE10hipError_tT1_PNSt15iterator_traitsISN_E10value_typeET2_T3_PNSO_IST_E10value_typeET4_T5_PSY_SZ_PNS1_23onesweep_lookback_stateEbbT6_jjT7_P12ihipStream_tbENKUlT_T0_SN_SS_E_clIPjSG_PS9_SI_EEDaS16_S17_SN_SS_EUlS16_E_NS1_11comp_targetILNS1_3genE8ELNS1_11target_archE1030ELNS1_3gpuE2ELNS1_3repE0EEENS1_47radix_sort_onesweep_sort_config_static_selectorELNS0_4arch9wavefront6targetE0EEEvSN_.numbered_sgpr, 38
	.set _ZN7rocprim17ROCPRIM_400000_NS6detail17trampoline_kernelINS0_14default_configENS1_35radix_sort_onesweep_config_selectorIjN6thrust23THRUST_200600_302600_NS5tupleIffNS6_9null_typeES8_S8_S8_S8_S8_S8_S8_EEEEZZNS1_29radix_sort_onesweep_iterationIS3_Lb0ENS6_6detail15normal_iteratorINS6_10device_ptrIjEEEESG_NSD_INSE_IS9_EEEESI_jNS0_19identity_decomposerENS1_16block_id_wrapperIjLb1EEEEE10hipError_tT1_PNSt15iterator_traitsISN_E10value_typeET2_T3_PNSO_IST_E10value_typeET4_T5_PSY_SZ_PNS1_23onesweep_lookback_stateEbbT6_jjT7_P12ihipStream_tbENKUlT_T0_SN_SS_E_clIPjSG_PS9_SI_EEDaS16_S17_SN_SS_EUlS16_E_NS1_11comp_targetILNS1_3genE8ELNS1_11target_archE1030ELNS1_3gpuE2ELNS1_3repE0EEENS1_47radix_sort_onesweep_sort_config_static_selectorELNS0_4arch9wavefront6targetE0EEEvSN_.num_named_barrier, 0
	.set _ZN7rocprim17ROCPRIM_400000_NS6detail17trampoline_kernelINS0_14default_configENS1_35radix_sort_onesweep_config_selectorIjN6thrust23THRUST_200600_302600_NS5tupleIffNS6_9null_typeES8_S8_S8_S8_S8_S8_S8_EEEEZZNS1_29radix_sort_onesweep_iterationIS3_Lb0ENS6_6detail15normal_iteratorINS6_10device_ptrIjEEEESG_NSD_INSE_IS9_EEEESI_jNS0_19identity_decomposerENS1_16block_id_wrapperIjLb1EEEEE10hipError_tT1_PNSt15iterator_traitsISN_E10value_typeET2_T3_PNSO_IST_E10value_typeET4_T5_PSY_SZ_PNS1_23onesweep_lookback_stateEbbT6_jjT7_P12ihipStream_tbENKUlT_T0_SN_SS_E_clIPjSG_PS9_SI_EEDaS16_S17_SN_SS_EUlS16_E_NS1_11comp_targetILNS1_3genE8ELNS1_11target_archE1030ELNS1_3gpuE2ELNS1_3repE0EEENS1_47radix_sort_onesweep_sort_config_static_selectorELNS0_4arch9wavefront6targetE0EEEvSN_.private_seg_size, 0
	.set _ZN7rocprim17ROCPRIM_400000_NS6detail17trampoline_kernelINS0_14default_configENS1_35radix_sort_onesweep_config_selectorIjN6thrust23THRUST_200600_302600_NS5tupleIffNS6_9null_typeES8_S8_S8_S8_S8_S8_S8_EEEEZZNS1_29radix_sort_onesweep_iterationIS3_Lb0ENS6_6detail15normal_iteratorINS6_10device_ptrIjEEEESG_NSD_INSE_IS9_EEEESI_jNS0_19identity_decomposerENS1_16block_id_wrapperIjLb1EEEEE10hipError_tT1_PNSt15iterator_traitsISN_E10value_typeET2_T3_PNSO_IST_E10value_typeET4_T5_PSY_SZ_PNS1_23onesweep_lookback_stateEbbT6_jjT7_P12ihipStream_tbENKUlT_T0_SN_SS_E_clIPjSG_PS9_SI_EEDaS16_S17_SN_SS_EUlS16_E_NS1_11comp_targetILNS1_3genE8ELNS1_11target_archE1030ELNS1_3gpuE2ELNS1_3repE0EEENS1_47radix_sort_onesweep_sort_config_static_selectorELNS0_4arch9wavefront6targetE0EEEvSN_.uses_vcc, 1
	.set _ZN7rocprim17ROCPRIM_400000_NS6detail17trampoline_kernelINS0_14default_configENS1_35radix_sort_onesweep_config_selectorIjN6thrust23THRUST_200600_302600_NS5tupleIffNS6_9null_typeES8_S8_S8_S8_S8_S8_S8_EEEEZZNS1_29radix_sort_onesweep_iterationIS3_Lb0ENS6_6detail15normal_iteratorINS6_10device_ptrIjEEEESG_NSD_INSE_IS9_EEEESI_jNS0_19identity_decomposerENS1_16block_id_wrapperIjLb1EEEEE10hipError_tT1_PNSt15iterator_traitsISN_E10value_typeET2_T3_PNSO_IST_E10value_typeET4_T5_PSY_SZ_PNS1_23onesweep_lookback_stateEbbT6_jjT7_P12ihipStream_tbENKUlT_T0_SN_SS_E_clIPjSG_PS9_SI_EEDaS16_S17_SN_SS_EUlS16_E_NS1_11comp_targetILNS1_3genE8ELNS1_11target_archE1030ELNS1_3gpuE2ELNS1_3repE0EEENS1_47radix_sort_onesweep_sort_config_static_selectorELNS0_4arch9wavefront6targetE0EEEvSN_.uses_flat_scratch, 0
	.set _ZN7rocprim17ROCPRIM_400000_NS6detail17trampoline_kernelINS0_14default_configENS1_35radix_sort_onesweep_config_selectorIjN6thrust23THRUST_200600_302600_NS5tupleIffNS6_9null_typeES8_S8_S8_S8_S8_S8_S8_EEEEZZNS1_29radix_sort_onesweep_iterationIS3_Lb0ENS6_6detail15normal_iteratorINS6_10device_ptrIjEEEESG_NSD_INSE_IS9_EEEESI_jNS0_19identity_decomposerENS1_16block_id_wrapperIjLb1EEEEE10hipError_tT1_PNSt15iterator_traitsISN_E10value_typeET2_T3_PNSO_IST_E10value_typeET4_T5_PSY_SZ_PNS1_23onesweep_lookback_stateEbbT6_jjT7_P12ihipStream_tbENKUlT_T0_SN_SS_E_clIPjSG_PS9_SI_EEDaS16_S17_SN_SS_EUlS16_E_NS1_11comp_targetILNS1_3genE8ELNS1_11target_archE1030ELNS1_3gpuE2ELNS1_3repE0EEENS1_47radix_sort_onesweep_sort_config_static_selectorELNS0_4arch9wavefront6targetE0EEEvSN_.has_dyn_sized_stack, 0
	.set _ZN7rocprim17ROCPRIM_400000_NS6detail17trampoline_kernelINS0_14default_configENS1_35radix_sort_onesweep_config_selectorIjN6thrust23THRUST_200600_302600_NS5tupleIffNS6_9null_typeES8_S8_S8_S8_S8_S8_S8_EEEEZZNS1_29radix_sort_onesweep_iterationIS3_Lb0ENS6_6detail15normal_iteratorINS6_10device_ptrIjEEEESG_NSD_INSE_IS9_EEEESI_jNS0_19identity_decomposerENS1_16block_id_wrapperIjLb1EEEEE10hipError_tT1_PNSt15iterator_traitsISN_E10value_typeET2_T3_PNSO_IST_E10value_typeET4_T5_PSY_SZ_PNS1_23onesweep_lookback_stateEbbT6_jjT7_P12ihipStream_tbENKUlT_T0_SN_SS_E_clIPjSG_PS9_SI_EEDaS16_S17_SN_SS_EUlS16_E_NS1_11comp_targetILNS1_3genE8ELNS1_11target_archE1030ELNS1_3gpuE2ELNS1_3repE0EEENS1_47radix_sort_onesweep_sort_config_static_selectorELNS0_4arch9wavefront6targetE0EEEvSN_.has_recursion, 0
	.set _ZN7rocprim17ROCPRIM_400000_NS6detail17trampoline_kernelINS0_14default_configENS1_35radix_sort_onesweep_config_selectorIjN6thrust23THRUST_200600_302600_NS5tupleIffNS6_9null_typeES8_S8_S8_S8_S8_S8_S8_EEEEZZNS1_29radix_sort_onesweep_iterationIS3_Lb0ENS6_6detail15normal_iteratorINS6_10device_ptrIjEEEESG_NSD_INSE_IS9_EEEESI_jNS0_19identity_decomposerENS1_16block_id_wrapperIjLb1EEEEE10hipError_tT1_PNSt15iterator_traitsISN_E10value_typeET2_T3_PNSO_IST_E10value_typeET4_T5_PSY_SZ_PNS1_23onesweep_lookback_stateEbbT6_jjT7_P12ihipStream_tbENKUlT_T0_SN_SS_E_clIPjSG_PS9_SI_EEDaS16_S17_SN_SS_EUlS16_E_NS1_11comp_targetILNS1_3genE8ELNS1_11target_archE1030ELNS1_3gpuE2ELNS1_3repE0EEENS1_47radix_sort_onesweep_sort_config_static_selectorELNS0_4arch9wavefront6targetE0EEEvSN_.has_indirect_call, 0
	.section	.AMDGPU.csdata,"",@progbits
; Kernel info:
; codeLenInByte = 7812
; TotalNumSgprs: 40
; NumVgprs: 37
; ScratchSize: 0
; MemoryBound: 0
; FloatMode: 240
; IeeeMode: 1
; LDSByteSize: 37000 bytes/workgroup (compile time only)
; SGPRBlocks: 0
; VGPRBlocks: 4
; NumSGPRsForWavesPerEU: 40
; NumVGPRsForWavesPerEU: 37
; Occupancy: 16
; WaveLimiterHint : 1
; COMPUTE_PGM_RSRC2:SCRATCH_EN: 0
; COMPUTE_PGM_RSRC2:USER_SGPR: 6
; COMPUTE_PGM_RSRC2:TRAP_HANDLER: 0
; COMPUTE_PGM_RSRC2:TGID_X_EN: 1
; COMPUTE_PGM_RSRC2:TGID_Y_EN: 0
; COMPUTE_PGM_RSRC2:TGID_Z_EN: 0
; COMPUTE_PGM_RSRC2:TIDIG_COMP_CNT: 2
	.section	.text._ZN7rocprim17ROCPRIM_400000_NS6detail17trampoline_kernelINS0_14default_configENS1_35radix_sort_onesweep_config_selectorIjN6thrust23THRUST_200600_302600_NS5tupleIffNS6_9null_typeES8_S8_S8_S8_S8_S8_S8_EEEEZZNS1_29radix_sort_onesweep_iterationIS3_Lb0ENS6_6detail15normal_iteratorINS6_10device_ptrIjEEEESG_NSD_INSE_IS9_EEEESI_jNS0_19identity_decomposerENS1_16block_id_wrapperIjLb0EEEEE10hipError_tT1_PNSt15iterator_traitsISN_E10value_typeET2_T3_PNSO_IST_E10value_typeET4_T5_PSY_SZ_PNS1_23onesweep_lookback_stateEbbT6_jjT7_P12ihipStream_tbENKUlT_T0_SN_SS_E_clISG_SG_SI_SI_EEDaS16_S17_SN_SS_EUlS16_E_NS1_11comp_targetILNS1_3genE0ELNS1_11target_archE4294967295ELNS1_3gpuE0ELNS1_3repE0EEENS1_47radix_sort_onesweep_sort_config_static_selectorELNS0_4arch9wavefront6targetE0EEEvSN_,"axG",@progbits,_ZN7rocprim17ROCPRIM_400000_NS6detail17trampoline_kernelINS0_14default_configENS1_35radix_sort_onesweep_config_selectorIjN6thrust23THRUST_200600_302600_NS5tupleIffNS6_9null_typeES8_S8_S8_S8_S8_S8_S8_EEEEZZNS1_29radix_sort_onesweep_iterationIS3_Lb0ENS6_6detail15normal_iteratorINS6_10device_ptrIjEEEESG_NSD_INSE_IS9_EEEESI_jNS0_19identity_decomposerENS1_16block_id_wrapperIjLb0EEEEE10hipError_tT1_PNSt15iterator_traitsISN_E10value_typeET2_T3_PNSO_IST_E10value_typeET4_T5_PSY_SZ_PNS1_23onesweep_lookback_stateEbbT6_jjT7_P12ihipStream_tbENKUlT_T0_SN_SS_E_clISG_SG_SI_SI_EEDaS16_S17_SN_SS_EUlS16_E_NS1_11comp_targetILNS1_3genE0ELNS1_11target_archE4294967295ELNS1_3gpuE0ELNS1_3repE0EEENS1_47radix_sort_onesweep_sort_config_static_selectorELNS0_4arch9wavefront6targetE0EEEvSN_,comdat
	.protected	_ZN7rocprim17ROCPRIM_400000_NS6detail17trampoline_kernelINS0_14default_configENS1_35radix_sort_onesweep_config_selectorIjN6thrust23THRUST_200600_302600_NS5tupleIffNS6_9null_typeES8_S8_S8_S8_S8_S8_S8_EEEEZZNS1_29radix_sort_onesweep_iterationIS3_Lb0ENS6_6detail15normal_iteratorINS6_10device_ptrIjEEEESG_NSD_INSE_IS9_EEEESI_jNS0_19identity_decomposerENS1_16block_id_wrapperIjLb0EEEEE10hipError_tT1_PNSt15iterator_traitsISN_E10value_typeET2_T3_PNSO_IST_E10value_typeET4_T5_PSY_SZ_PNS1_23onesweep_lookback_stateEbbT6_jjT7_P12ihipStream_tbENKUlT_T0_SN_SS_E_clISG_SG_SI_SI_EEDaS16_S17_SN_SS_EUlS16_E_NS1_11comp_targetILNS1_3genE0ELNS1_11target_archE4294967295ELNS1_3gpuE0ELNS1_3repE0EEENS1_47radix_sort_onesweep_sort_config_static_selectorELNS0_4arch9wavefront6targetE0EEEvSN_ ; -- Begin function _ZN7rocprim17ROCPRIM_400000_NS6detail17trampoline_kernelINS0_14default_configENS1_35radix_sort_onesweep_config_selectorIjN6thrust23THRUST_200600_302600_NS5tupleIffNS6_9null_typeES8_S8_S8_S8_S8_S8_S8_EEEEZZNS1_29radix_sort_onesweep_iterationIS3_Lb0ENS6_6detail15normal_iteratorINS6_10device_ptrIjEEEESG_NSD_INSE_IS9_EEEESI_jNS0_19identity_decomposerENS1_16block_id_wrapperIjLb0EEEEE10hipError_tT1_PNSt15iterator_traitsISN_E10value_typeET2_T3_PNSO_IST_E10value_typeET4_T5_PSY_SZ_PNS1_23onesweep_lookback_stateEbbT6_jjT7_P12ihipStream_tbENKUlT_T0_SN_SS_E_clISG_SG_SI_SI_EEDaS16_S17_SN_SS_EUlS16_E_NS1_11comp_targetILNS1_3genE0ELNS1_11target_archE4294967295ELNS1_3gpuE0ELNS1_3repE0EEENS1_47radix_sort_onesweep_sort_config_static_selectorELNS0_4arch9wavefront6targetE0EEEvSN_
	.globl	_ZN7rocprim17ROCPRIM_400000_NS6detail17trampoline_kernelINS0_14default_configENS1_35radix_sort_onesweep_config_selectorIjN6thrust23THRUST_200600_302600_NS5tupleIffNS6_9null_typeES8_S8_S8_S8_S8_S8_S8_EEEEZZNS1_29radix_sort_onesweep_iterationIS3_Lb0ENS6_6detail15normal_iteratorINS6_10device_ptrIjEEEESG_NSD_INSE_IS9_EEEESI_jNS0_19identity_decomposerENS1_16block_id_wrapperIjLb0EEEEE10hipError_tT1_PNSt15iterator_traitsISN_E10value_typeET2_T3_PNSO_IST_E10value_typeET4_T5_PSY_SZ_PNS1_23onesweep_lookback_stateEbbT6_jjT7_P12ihipStream_tbENKUlT_T0_SN_SS_E_clISG_SG_SI_SI_EEDaS16_S17_SN_SS_EUlS16_E_NS1_11comp_targetILNS1_3genE0ELNS1_11target_archE4294967295ELNS1_3gpuE0ELNS1_3repE0EEENS1_47radix_sort_onesweep_sort_config_static_selectorELNS0_4arch9wavefront6targetE0EEEvSN_
	.p2align	8
	.type	_ZN7rocprim17ROCPRIM_400000_NS6detail17trampoline_kernelINS0_14default_configENS1_35radix_sort_onesweep_config_selectorIjN6thrust23THRUST_200600_302600_NS5tupleIffNS6_9null_typeES8_S8_S8_S8_S8_S8_S8_EEEEZZNS1_29radix_sort_onesweep_iterationIS3_Lb0ENS6_6detail15normal_iteratorINS6_10device_ptrIjEEEESG_NSD_INSE_IS9_EEEESI_jNS0_19identity_decomposerENS1_16block_id_wrapperIjLb0EEEEE10hipError_tT1_PNSt15iterator_traitsISN_E10value_typeET2_T3_PNSO_IST_E10value_typeET4_T5_PSY_SZ_PNS1_23onesweep_lookback_stateEbbT6_jjT7_P12ihipStream_tbENKUlT_T0_SN_SS_E_clISG_SG_SI_SI_EEDaS16_S17_SN_SS_EUlS16_E_NS1_11comp_targetILNS1_3genE0ELNS1_11target_archE4294967295ELNS1_3gpuE0ELNS1_3repE0EEENS1_47radix_sort_onesweep_sort_config_static_selectorELNS0_4arch9wavefront6targetE0EEEvSN_,@function
_ZN7rocprim17ROCPRIM_400000_NS6detail17trampoline_kernelINS0_14default_configENS1_35radix_sort_onesweep_config_selectorIjN6thrust23THRUST_200600_302600_NS5tupleIffNS6_9null_typeES8_S8_S8_S8_S8_S8_S8_EEEEZZNS1_29radix_sort_onesweep_iterationIS3_Lb0ENS6_6detail15normal_iteratorINS6_10device_ptrIjEEEESG_NSD_INSE_IS9_EEEESI_jNS0_19identity_decomposerENS1_16block_id_wrapperIjLb0EEEEE10hipError_tT1_PNSt15iterator_traitsISN_E10value_typeET2_T3_PNSO_IST_E10value_typeET4_T5_PSY_SZ_PNS1_23onesweep_lookback_stateEbbT6_jjT7_P12ihipStream_tbENKUlT_T0_SN_SS_E_clISG_SG_SI_SI_EEDaS16_S17_SN_SS_EUlS16_E_NS1_11comp_targetILNS1_3genE0ELNS1_11target_archE4294967295ELNS1_3gpuE0ELNS1_3repE0EEENS1_47radix_sort_onesweep_sort_config_static_selectorELNS0_4arch9wavefront6targetE0EEEvSN_: ; @_ZN7rocprim17ROCPRIM_400000_NS6detail17trampoline_kernelINS0_14default_configENS1_35radix_sort_onesweep_config_selectorIjN6thrust23THRUST_200600_302600_NS5tupleIffNS6_9null_typeES8_S8_S8_S8_S8_S8_S8_EEEEZZNS1_29radix_sort_onesweep_iterationIS3_Lb0ENS6_6detail15normal_iteratorINS6_10device_ptrIjEEEESG_NSD_INSE_IS9_EEEESI_jNS0_19identity_decomposerENS1_16block_id_wrapperIjLb0EEEEE10hipError_tT1_PNSt15iterator_traitsISN_E10value_typeET2_T3_PNSO_IST_E10value_typeET4_T5_PSY_SZ_PNS1_23onesweep_lookback_stateEbbT6_jjT7_P12ihipStream_tbENKUlT_T0_SN_SS_E_clISG_SG_SI_SI_EEDaS16_S17_SN_SS_EUlS16_E_NS1_11comp_targetILNS1_3genE0ELNS1_11target_archE4294967295ELNS1_3gpuE0ELNS1_3repE0EEENS1_47radix_sort_onesweep_sort_config_static_selectorELNS0_4arch9wavefront6targetE0EEEvSN_
; %bb.0:
	.section	.rodata,"a",@progbits
	.p2align	6, 0x0
	.amdhsa_kernel _ZN7rocprim17ROCPRIM_400000_NS6detail17trampoline_kernelINS0_14default_configENS1_35radix_sort_onesweep_config_selectorIjN6thrust23THRUST_200600_302600_NS5tupleIffNS6_9null_typeES8_S8_S8_S8_S8_S8_S8_EEEEZZNS1_29radix_sort_onesweep_iterationIS3_Lb0ENS6_6detail15normal_iteratorINS6_10device_ptrIjEEEESG_NSD_INSE_IS9_EEEESI_jNS0_19identity_decomposerENS1_16block_id_wrapperIjLb0EEEEE10hipError_tT1_PNSt15iterator_traitsISN_E10value_typeET2_T3_PNSO_IST_E10value_typeET4_T5_PSY_SZ_PNS1_23onesweep_lookback_stateEbbT6_jjT7_P12ihipStream_tbENKUlT_T0_SN_SS_E_clISG_SG_SI_SI_EEDaS16_S17_SN_SS_EUlS16_E_NS1_11comp_targetILNS1_3genE0ELNS1_11target_archE4294967295ELNS1_3gpuE0ELNS1_3repE0EEENS1_47radix_sort_onesweep_sort_config_static_selectorELNS0_4arch9wavefront6targetE0EEEvSN_
		.amdhsa_group_segment_fixed_size 0
		.amdhsa_private_segment_fixed_size 0
		.amdhsa_kernarg_size 88
		.amdhsa_user_sgpr_count 6
		.amdhsa_user_sgpr_private_segment_buffer 1
		.amdhsa_user_sgpr_dispatch_ptr 0
		.amdhsa_user_sgpr_queue_ptr 0
		.amdhsa_user_sgpr_kernarg_segment_ptr 1
		.amdhsa_user_sgpr_dispatch_id 0
		.amdhsa_user_sgpr_flat_scratch_init 0
		.amdhsa_user_sgpr_private_segment_size 0
		.amdhsa_wavefront_size32 1
		.amdhsa_uses_dynamic_stack 0
		.amdhsa_system_sgpr_private_segment_wavefront_offset 0
		.amdhsa_system_sgpr_workgroup_id_x 1
		.amdhsa_system_sgpr_workgroup_id_y 0
		.amdhsa_system_sgpr_workgroup_id_z 0
		.amdhsa_system_sgpr_workgroup_info 0
		.amdhsa_system_vgpr_workitem_id 0
		.amdhsa_next_free_vgpr 1
		.amdhsa_next_free_sgpr 1
		.amdhsa_reserve_vcc 0
		.amdhsa_reserve_flat_scratch 0
		.amdhsa_float_round_mode_32 0
		.amdhsa_float_round_mode_16_64 0
		.amdhsa_float_denorm_mode_32 3
		.amdhsa_float_denorm_mode_16_64 3
		.amdhsa_dx10_clamp 1
		.amdhsa_ieee_mode 1
		.amdhsa_fp16_overflow 0
		.amdhsa_workgroup_processor_mode 1
		.amdhsa_memory_ordered 1
		.amdhsa_forward_progress 1
		.amdhsa_shared_vgpr_count 0
		.amdhsa_exception_fp_ieee_invalid_op 0
		.amdhsa_exception_fp_denorm_src 0
		.amdhsa_exception_fp_ieee_div_zero 0
		.amdhsa_exception_fp_ieee_overflow 0
		.amdhsa_exception_fp_ieee_underflow 0
		.amdhsa_exception_fp_ieee_inexact 0
		.amdhsa_exception_int_div_zero 0
	.end_amdhsa_kernel
	.section	.text._ZN7rocprim17ROCPRIM_400000_NS6detail17trampoline_kernelINS0_14default_configENS1_35radix_sort_onesweep_config_selectorIjN6thrust23THRUST_200600_302600_NS5tupleIffNS6_9null_typeES8_S8_S8_S8_S8_S8_S8_EEEEZZNS1_29radix_sort_onesweep_iterationIS3_Lb0ENS6_6detail15normal_iteratorINS6_10device_ptrIjEEEESG_NSD_INSE_IS9_EEEESI_jNS0_19identity_decomposerENS1_16block_id_wrapperIjLb0EEEEE10hipError_tT1_PNSt15iterator_traitsISN_E10value_typeET2_T3_PNSO_IST_E10value_typeET4_T5_PSY_SZ_PNS1_23onesweep_lookback_stateEbbT6_jjT7_P12ihipStream_tbENKUlT_T0_SN_SS_E_clISG_SG_SI_SI_EEDaS16_S17_SN_SS_EUlS16_E_NS1_11comp_targetILNS1_3genE0ELNS1_11target_archE4294967295ELNS1_3gpuE0ELNS1_3repE0EEENS1_47radix_sort_onesweep_sort_config_static_selectorELNS0_4arch9wavefront6targetE0EEEvSN_,"axG",@progbits,_ZN7rocprim17ROCPRIM_400000_NS6detail17trampoline_kernelINS0_14default_configENS1_35radix_sort_onesweep_config_selectorIjN6thrust23THRUST_200600_302600_NS5tupleIffNS6_9null_typeES8_S8_S8_S8_S8_S8_S8_EEEEZZNS1_29radix_sort_onesweep_iterationIS3_Lb0ENS6_6detail15normal_iteratorINS6_10device_ptrIjEEEESG_NSD_INSE_IS9_EEEESI_jNS0_19identity_decomposerENS1_16block_id_wrapperIjLb0EEEEE10hipError_tT1_PNSt15iterator_traitsISN_E10value_typeET2_T3_PNSO_IST_E10value_typeET4_T5_PSY_SZ_PNS1_23onesweep_lookback_stateEbbT6_jjT7_P12ihipStream_tbENKUlT_T0_SN_SS_E_clISG_SG_SI_SI_EEDaS16_S17_SN_SS_EUlS16_E_NS1_11comp_targetILNS1_3genE0ELNS1_11target_archE4294967295ELNS1_3gpuE0ELNS1_3repE0EEENS1_47radix_sort_onesweep_sort_config_static_selectorELNS0_4arch9wavefront6targetE0EEEvSN_,comdat
.Lfunc_end202:
	.size	_ZN7rocprim17ROCPRIM_400000_NS6detail17trampoline_kernelINS0_14default_configENS1_35radix_sort_onesweep_config_selectorIjN6thrust23THRUST_200600_302600_NS5tupleIffNS6_9null_typeES8_S8_S8_S8_S8_S8_S8_EEEEZZNS1_29radix_sort_onesweep_iterationIS3_Lb0ENS6_6detail15normal_iteratorINS6_10device_ptrIjEEEESG_NSD_INSE_IS9_EEEESI_jNS0_19identity_decomposerENS1_16block_id_wrapperIjLb0EEEEE10hipError_tT1_PNSt15iterator_traitsISN_E10value_typeET2_T3_PNSO_IST_E10value_typeET4_T5_PSY_SZ_PNS1_23onesweep_lookback_stateEbbT6_jjT7_P12ihipStream_tbENKUlT_T0_SN_SS_E_clISG_SG_SI_SI_EEDaS16_S17_SN_SS_EUlS16_E_NS1_11comp_targetILNS1_3genE0ELNS1_11target_archE4294967295ELNS1_3gpuE0ELNS1_3repE0EEENS1_47radix_sort_onesweep_sort_config_static_selectorELNS0_4arch9wavefront6targetE0EEEvSN_, .Lfunc_end202-_ZN7rocprim17ROCPRIM_400000_NS6detail17trampoline_kernelINS0_14default_configENS1_35radix_sort_onesweep_config_selectorIjN6thrust23THRUST_200600_302600_NS5tupleIffNS6_9null_typeES8_S8_S8_S8_S8_S8_S8_EEEEZZNS1_29radix_sort_onesweep_iterationIS3_Lb0ENS6_6detail15normal_iteratorINS6_10device_ptrIjEEEESG_NSD_INSE_IS9_EEEESI_jNS0_19identity_decomposerENS1_16block_id_wrapperIjLb0EEEEE10hipError_tT1_PNSt15iterator_traitsISN_E10value_typeET2_T3_PNSO_IST_E10value_typeET4_T5_PSY_SZ_PNS1_23onesweep_lookback_stateEbbT6_jjT7_P12ihipStream_tbENKUlT_T0_SN_SS_E_clISG_SG_SI_SI_EEDaS16_S17_SN_SS_EUlS16_E_NS1_11comp_targetILNS1_3genE0ELNS1_11target_archE4294967295ELNS1_3gpuE0ELNS1_3repE0EEENS1_47radix_sort_onesweep_sort_config_static_selectorELNS0_4arch9wavefront6targetE0EEEvSN_
                                        ; -- End function
	.set _ZN7rocprim17ROCPRIM_400000_NS6detail17trampoline_kernelINS0_14default_configENS1_35radix_sort_onesweep_config_selectorIjN6thrust23THRUST_200600_302600_NS5tupleIffNS6_9null_typeES8_S8_S8_S8_S8_S8_S8_EEEEZZNS1_29radix_sort_onesweep_iterationIS3_Lb0ENS6_6detail15normal_iteratorINS6_10device_ptrIjEEEESG_NSD_INSE_IS9_EEEESI_jNS0_19identity_decomposerENS1_16block_id_wrapperIjLb0EEEEE10hipError_tT1_PNSt15iterator_traitsISN_E10value_typeET2_T3_PNSO_IST_E10value_typeET4_T5_PSY_SZ_PNS1_23onesweep_lookback_stateEbbT6_jjT7_P12ihipStream_tbENKUlT_T0_SN_SS_E_clISG_SG_SI_SI_EEDaS16_S17_SN_SS_EUlS16_E_NS1_11comp_targetILNS1_3genE0ELNS1_11target_archE4294967295ELNS1_3gpuE0ELNS1_3repE0EEENS1_47radix_sort_onesweep_sort_config_static_selectorELNS0_4arch9wavefront6targetE0EEEvSN_.num_vgpr, 0
	.set _ZN7rocprim17ROCPRIM_400000_NS6detail17trampoline_kernelINS0_14default_configENS1_35radix_sort_onesweep_config_selectorIjN6thrust23THRUST_200600_302600_NS5tupleIffNS6_9null_typeES8_S8_S8_S8_S8_S8_S8_EEEEZZNS1_29radix_sort_onesweep_iterationIS3_Lb0ENS6_6detail15normal_iteratorINS6_10device_ptrIjEEEESG_NSD_INSE_IS9_EEEESI_jNS0_19identity_decomposerENS1_16block_id_wrapperIjLb0EEEEE10hipError_tT1_PNSt15iterator_traitsISN_E10value_typeET2_T3_PNSO_IST_E10value_typeET4_T5_PSY_SZ_PNS1_23onesweep_lookback_stateEbbT6_jjT7_P12ihipStream_tbENKUlT_T0_SN_SS_E_clISG_SG_SI_SI_EEDaS16_S17_SN_SS_EUlS16_E_NS1_11comp_targetILNS1_3genE0ELNS1_11target_archE4294967295ELNS1_3gpuE0ELNS1_3repE0EEENS1_47radix_sort_onesweep_sort_config_static_selectorELNS0_4arch9wavefront6targetE0EEEvSN_.num_agpr, 0
	.set _ZN7rocprim17ROCPRIM_400000_NS6detail17trampoline_kernelINS0_14default_configENS1_35radix_sort_onesweep_config_selectorIjN6thrust23THRUST_200600_302600_NS5tupleIffNS6_9null_typeES8_S8_S8_S8_S8_S8_S8_EEEEZZNS1_29radix_sort_onesweep_iterationIS3_Lb0ENS6_6detail15normal_iteratorINS6_10device_ptrIjEEEESG_NSD_INSE_IS9_EEEESI_jNS0_19identity_decomposerENS1_16block_id_wrapperIjLb0EEEEE10hipError_tT1_PNSt15iterator_traitsISN_E10value_typeET2_T3_PNSO_IST_E10value_typeET4_T5_PSY_SZ_PNS1_23onesweep_lookback_stateEbbT6_jjT7_P12ihipStream_tbENKUlT_T0_SN_SS_E_clISG_SG_SI_SI_EEDaS16_S17_SN_SS_EUlS16_E_NS1_11comp_targetILNS1_3genE0ELNS1_11target_archE4294967295ELNS1_3gpuE0ELNS1_3repE0EEENS1_47radix_sort_onesweep_sort_config_static_selectorELNS0_4arch9wavefront6targetE0EEEvSN_.numbered_sgpr, 0
	.set _ZN7rocprim17ROCPRIM_400000_NS6detail17trampoline_kernelINS0_14default_configENS1_35radix_sort_onesweep_config_selectorIjN6thrust23THRUST_200600_302600_NS5tupleIffNS6_9null_typeES8_S8_S8_S8_S8_S8_S8_EEEEZZNS1_29radix_sort_onesweep_iterationIS3_Lb0ENS6_6detail15normal_iteratorINS6_10device_ptrIjEEEESG_NSD_INSE_IS9_EEEESI_jNS0_19identity_decomposerENS1_16block_id_wrapperIjLb0EEEEE10hipError_tT1_PNSt15iterator_traitsISN_E10value_typeET2_T3_PNSO_IST_E10value_typeET4_T5_PSY_SZ_PNS1_23onesweep_lookback_stateEbbT6_jjT7_P12ihipStream_tbENKUlT_T0_SN_SS_E_clISG_SG_SI_SI_EEDaS16_S17_SN_SS_EUlS16_E_NS1_11comp_targetILNS1_3genE0ELNS1_11target_archE4294967295ELNS1_3gpuE0ELNS1_3repE0EEENS1_47radix_sort_onesweep_sort_config_static_selectorELNS0_4arch9wavefront6targetE0EEEvSN_.num_named_barrier, 0
	.set _ZN7rocprim17ROCPRIM_400000_NS6detail17trampoline_kernelINS0_14default_configENS1_35radix_sort_onesweep_config_selectorIjN6thrust23THRUST_200600_302600_NS5tupleIffNS6_9null_typeES8_S8_S8_S8_S8_S8_S8_EEEEZZNS1_29radix_sort_onesweep_iterationIS3_Lb0ENS6_6detail15normal_iteratorINS6_10device_ptrIjEEEESG_NSD_INSE_IS9_EEEESI_jNS0_19identity_decomposerENS1_16block_id_wrapperIjLb0EEEEE10hipError_tT1_PNSt15iterator_traitsISN_E10value_typeET2_T3_PNSO_IST_E10value_typeET4_T5_PSY_SZ_PNS1_23onesweep_lookback_stateEbbT6_jjT7_P12ihipStream_tbENKUlT_T0_SN_SS_E_clISG_SG_SI_SI_EEDaS16_S17_SN_SS_EUlS16_E_NS1_11comp_targetILNS1_3genE0ELNS1_11target_archE4294967295ELNS1_3gpuE0ELNS1_3repE0EEENS1_47radix_sort_onesweep_sort_config_static_selectorELNS0_4arch9wavefront6targetE0EEEvSN_.private_seg_size, 0
	.set _ZN7rocprim17ROCPRIM_400000_NS6detail17trampoline_kernelINS0_14default_configENS1_35radix_sort_onesweep_config_selectorIjN6thrust23THRUST_200600_302600_NS5tupleIffNS6_9null_typeES8_S8_S8_S8_S8_S8_S8_EEEEZZNS1_29radix_sort_onesweep_iterationIS3_Lb0ENS6_6detail15normal_iteratorINS6_10device_ptrIjEEEESG_NSD_INSE_IS9_EEEESI_jNS0_19identity_decomposerENS1_16block_id_wrapperIjLb0EEEEE10hipError_tT1_PNSt15iterator_traitsISN_E10value_typeET2_T3_PNSO_IST_E10value_typeET4_T5_PSY_SZ_PNS1_23onesweep_lookback_stateEbbT6_jjT7_P12ihipStream_tbENKUlT_T0_SN_SS_E_clISG_SG_SI_SI_EEDaS16_S17_SN_SS_EUlS16_E_NS1_11comp_targetILNS1_3genE0ELNS1_11target_archE4294967295ELNS1_3gpuE0ELNS1_3repE0EEENS1_47radix_sort_onesweep_sort_config_static_selectorELNS0_4arch9wavefront6targetE0EEEvSN_.uses_vcc, 0
	.set _ZN7rocprim17ROCPRIM_400000_NS6detail17trampoline_kernelINS0_14default_configENS1_35radix_sort_onesweep_config_selectorIjN6thrust23THRUST_200600_302600_NS5tupleIffNS6_9null_typeES8_S8_S8_S8_S8_S8_S8_EEEEZZNS1_29radix_sort_onesweep_iterationIS3_Lb0ENS6_6detail15normal_iteratorINS6_10device_ptrIjEEEESG_NSD_INSE_IS9_EEEESI_jNS0_19identity_decomposerENS1_16block_id_wrapperIjLb0EEEEE10hipError_tT1_PNSt15iterator_traitsISN_E10value_typeET2_T3_PNSO_IST_E10value_typeET4_T5_PSY_SZ_PNS1_23onesweep_lookback_stateEbbT6_jjT7_P12ihipStream_tbENKUlT_T0_SN_SS_E_clISG_SG_SI_SI_EEDaS16_S17_SN_SS_EUlS16_E_NS1_11comp_targetILNS1_3genE0ELNS1_11target_archE4294967295ELNS1_3gpuE0ELNS1_3repE0EEENS1_47radix_sort_onesweep_sort_config_static_selectorELNS0_4arch9wavefront6targetE0EEEvSN_.uses_flat_scratch, 0
	.set _ZN7rocprim17ROCPRIM_400000_NS6detail17trampoline_kernelINS0_14default_configENS1_35radix_sort_onesweep_config_selectorIjN6thrust23THRUST_200600_302600_NS5tupleIffNS6_9null_typeES8_S8_S8_S8_S8_S8_S8_EEEEZZNS1_29radix_sort_onesweep_iterationIS3_Lb0ENS6_6detail15normal_iteratorINS6_10device_ptrIjEEEESG_NSD_INSE_IS9_EEEESI_jNS0_19identity_decomposerENS1_16block_id_wrapperIjLb0EEEEE10hipError_tT1_PNSt15iterator_traitsISN_E10value_typeET2_T3_PNSO_IST_E10value_typeET4_T5_PSY_SZ_PNS1_23onesweep_lookback_stateEbbT6_jjT7_P12ihipStream_tbENKUlT_T0_SN_SS_E_clISG_SG_SI_SI_EEDaS16_S17_SN_SS_EUlS16_E_NS1_11comp_targetILNS1_3genE0ELNS1_11target_archE4294967295ELNS1_3gpuE0ELNS1_3repE0EEENS1_47radix_sort_onesweep_sort_config_static_selectorELNS0_4arch9wavefront6targetE0EEEvSN_.has_dyn_sized_stack, 0
	.set _ZN7rocprim17ROCPRIM_400000_NS6detail17trampoline_kernelINS0_14default_configENS1_35radix_sort_onesweep_config_selectorIjN6thrust23THRUST_200600_302600_NS5tupleIffNS6_9null_typeES8_S8_S8_S8_S8_S8_S8_EEEEZZNS1_29radix_sort_onesweep_iterationIS3_Lb0ENS6_6detail15normal_iteratorINS6_10device_ptrIjEEEESG_NSD_INSE_IS9_EEEESI_jNS0_19identity_decomposerENS1_16block_id_wrapperIjLb0EEEEE10hipError_tT1_PNSt15iterator_traitsISN_E10value_typeET2_T3_PNSO_IST_E10value_typeET4_T5_PSY_SZ_PNS1_23onesweep_lookback_stateEbbT6_jjT7_P12ihipStream_tbENKUlT_T0_SN_SS_E_clISG_SG_SI_SI_EEDaS16_S17_SN_SS_EUlS16_E_NS1_11comp_targetILNS1_3genE0ELNS1_11target_archE4294967295ELNS1_3gpuE0ELNS1_3repE0EEENS1_47radix_sort_onesweep_sort_config_static_selectorELNS0_4arch9wavefront6targetE0EEEvSN_.has_recursion, 0
	.set _ZN7rocprim17ROCPRIM_400000_NS6detail17trampoline_kernelINS0_14default_configENS1_35radix_sort_onesweep_config_selectorIjN6thrust23THRUST_200600_302600_NS5tupleIffNS6_9null_typeES8_S8_S8_S8_S8_S8_S8_EEEEZZNS1_29radix_sort_onesweep_iterationIS3_Lb0ENS6_6detail15normal_iteratorINS6_10device_ptrIjEEEESG_NSD_INSE_IS9_EEEESI_jNS0_19identity_decomposerENS1_16block_id_wrapperIjLb0EEEEE10hipError_tT1_PNSt15iterator_traitsISN_E10value_typeET2_T3_PNSO_IST_E10value_typeET4_T5_PSY_SZ_PNS1_23onesweep_lookback_stateEbbT6_jjT7_P12ihipStream_tbENKUlT_T0_SN_SS_E_clISG_SG_SI_SI_EEDaS16_S17_SN_SS_EUlS16_E_NS1_11comp_targetILNS1_3genE0ELNS1_11target_archE4294967295ELNS1_3gpuE0ELNS1_3repE0EEENS1_47radix_sort_onesweep_sort_config_static_selectorELNS0_4arch9wavefront6targetE0EEEvSN_.has_indirect_call, 0
	.section	.AMDGPU.csdata,"",@progbits
; Kernel info:
; codeLenInByte = 0
; TotalNumSgprs: 0
; NumVgprs: 0
; ScratchSize: 0
; MemoryBound: 0
; FloatMode: 240
; IeeeMode: 1
; LDSByteSize: 0 bytes/workgroup (compile time only)
; SGPRBlocks: 0
; VGPRBlocks: 0
; NumSGPRsForWavesPerEU: 1
; NumVGPRsForWavesPerEU: 1
; Occupancy: 16
; WaveLimiterHint : 0
; COMPUTE_PGM_RSRC2:SCRATCH_EN: 0
; COMPUTE_PGM_RSRC2:USER_SGPR: 6
; COMPUTE_PGM_RSRC2:TRAP_HANDLER: 0
; COMPUTE_PGM_RSRC2:TGID_X_EN: 1
; COMPUTE_PGM_RSRC2:TGID_Y_EN: 0
; COMPUTE_PGM_RSRC2:TGID_Z_EN: 0
; COMPUTE_PGM_RSRC2:TIDIG_COMP_CNT: 0
	.section	.text._ZN7rocprim17ROCPRIM_400000_NS6detail17trampoline_kernelINS0_14default_configENS1_35radix_sort_onesweep_config_selectorIjN6thrust23THRUST_200600_302600_NS5tupleIffNS6_9null_typeES8_S8_S8_S8_S8_S8_S8_EEEEZZNS1_29radix_sort_onesweep_iterationIS3_Lb0ENS6_6detail15normal_iteratorINS6_10device_ptrIjEEEESG_NSD_INSE_IS9_EEEESI_jNS0_19identity_decomposerENS1_16block_id_wrapperIjLb0EEEEE10hipError_tT1_PNSt15iterator_traitsISN_E10value_typeET2_T3_PNSO_IST_E10value_typeET4_T5_PSY_SZ_PNS1_23onesweep_lookback_stateEbbT6_jjT7_P12ihipStream_tbENKUlT_T0_SN_SS_E_clISG_SG_SI_SI_EEDaS16_S17_SN_SS_EUlS16_E_NS1_11comp_targetILNS1_3genE6ELNS1_11target_archE950ELNS1_3gpuE13ELNS1_3repE0EEENS1_47radix_sort_onesweep_sort_config_static_selectorELNS0_4arch9wavefront6targetE0EEEvSN_,"axG",@progbits,_ZN7rocprim17ROCPRIM_400000_NS6detail17trampoline_kernelINS0_14default_configENS1_35radix_sort_onesweep_config_selectorIjN6thrust23THRUST_200600_302600_NS5tupleIffNS6_9null_typeES8_S8_S8_S8_S8_S8_S8_EEEEZZNS1_29radix_sort_onesweep_iterationIS3_Lb0ENS6_6detail15normal_iteratorINS6_10device_ptrIjEEEESG_NSD_INSE_IS9_EEEESI_jNS0_19identity_decomposerENS1_16block_id_wrapperIjLb0EEEEE10hipError_tT1_PNSt15iterator_traitsISN_E10value_typeET2_T3_PNSO_IST_E10value_typeET4_T5_PSY_SZ_PNS1_23onesweep_lookback_stateEbbT6_jjT7_P12ihipStream_tbENKUlT_T0_SN_SS_E_clISG_SG_SI_SI_EEDaS16_S17_SN_SS_EUlS16_E_NS1_11comp_targetILNS1_3genE6ELNS1_11target_archE950ELNS1_3gpuE13ELNS1_3repE0EEENS1_47radix_sort_onesweep_sort_config_static_selectorELNS0_4arch9wavefront6targetE0EEEvSN_,comdat
	.protected	_ZN7rocprim17ROCPRIM_400000_NS6detail17trampoline_kernelINS0_14default_configENS1_35radix_sort_onesweep_config_selectorIjN6thrust23THRUST_200600_302600_NS5tupleIffNS6_9null_typeES8_S8_S8_S8_S8_S8_S8_EEEEZZNS1_29radix_sort_onesweep_iterationIS3_Lb0ENS6_6detail15normal_iteratorINS6_10device_ptrIjEEEESG_NSD_INSE_IS9_EEEESI_jNS0_19identity_decomposerENS1_16block_id_wrapperIjLb0EEEEE10hipError_tT1_PNSt15iterator_traitsISN_E10value_typeET2_T3_PNSO_IST_E10value_typeET4_T5_PSY_SZ_PNS1_23onesweep_lookback_stateEbbT6_jjT7_P12ihipStream_tbENKUlT_T0_SN_SS_E_clISG_SG_SI_SI_EEDaS16_S17_SN_SS_EUlS16_E_NS1_11comp_targetILNS1_3genE6ELNS1_11target_archE950ELNS1_3gpuE13ELNS1_3repE0EEENS1_47radix_sort_onesweep_sort_config_static_selectorELNS0_4arch9wavefront6targetE0EEEvSN_ ; -- Begin function _ZN7rocprim17ROCPRIM_400000_NS6detail17trampoline_kernelINS0_14default_configENS1_35radix_sort_onesweep_config_selectorIjN6thrust23THRUST_200600_302600_NS5tupleIffNS6_9null_typeES8_S8_S8_S8_S8_S8_S8_EEEEZZNS1_29radix_sort_onesweep_iterationIS3_Lb0ENS6_6detail15normal_iteratorINS6_10device_ptrIjEEEESG_NSD_INSE_IS9_EEEESI_jNS0_19identity_decomposerENS1_16block_id_wrapperIjLb0EEEEE10hipError_tT1_PNSt15iterator_traitsISN_E10value_typeET2_T3_PNSO_IST_E10value_typeET4_T5_PSY_SZ_PNS1_23onesweep_lookback_stateEbbT6_jjT7_P12ihipStream_tbENKUlT_T0_SN_SS_E_clISG_SG_SI_SI_EEDaS16_S17_SN_SS_EUlS16_E_NS1_11comp_targetILNS1_3genE6ELNS1_11target_archE950ELNS1_3gpuE13ELNS1_3repE0EEENS1_47radix_sort_onesweep_sort_config_static_selectorELNS0_4arch9wavefront6targetE0EEEvSN_
	.globl	_ZN7rocprim17ROCPRIM_400000_NS6detail17trampoline_kernelINS0_14default_configENS1_35radix_sort_onesweep_config_selectorIjN6thrust23THRUST_200600_302600_NS5tupleIffNS6_9null_typeES8_S8_S8_S8_S8_S8_S8_EEEEZZNS1_29radix_sort_onesweep_iterationIS3_Lb0ENS6_6detail15normal_iteratorINS6_10device_ptrIjEEEESG_NSD_INSE_IS9_EEEESI_jNS0_19identity_decomposerENS1_16block_id_wrapperIjLb0EEEEE10hipError_tT1_PNSt15iterator_traitsISN_E10value_typeET2_T3_PNSO_IST_E10value_typeET4_T5_PSY_SZ_PNS1_23onesweep_lookback_stateEbbT6_jjT7_P12ihipStream_tbENKUlT_T0_SN_SS_E_clISG_SG_SI_SI_EEDaS16_S17_SN_SS_EUlS16_E_NS1_11comp_targetILNS1_3genE6ELNS1_11target_archE950ELNS1_3gpuE13ELNS1_3repE0EEENS1_47radix_sort_onesweep_sort_config_static_selectorELNS0_4arch9wavefront6targetE0EEEvSN_
	.p2align	8
	.type	_ZN7rocprim17ROCPRIM_400000_NS6detail17trampoline_kernelINS0_14default_configENS1_35radix_sort_onesweep_config_selectorIjN6thrust23THRUST_200600_302600_NS5tupleIffNS6_9null_typeES8_S8_S8_S8_S8_S8_S8_EEEEZZNS1_29radix_sort_onesweep_iterationIS3_Lb0ENS6_6detail15normal_iteratorINS6_10device_ptrIjEEEESG_NSD_INSE_IS9_EEEESI_jNS0_19identity_decomposerENS1_16block_id_wrapperIjLb0EEEEE10hipError_tT1_PNSt15iterator_traitsISN_E10value_typeET2_T3_PNSO_IST_E10value_typeET4_T5_PSY_SZ_PNS1_23onesweep_lookback_stateEbbT6_jjT7_P12ihipStream_tbENKUlT_T0_SN_SS_E_clISG_SG_SI_SI_EEDaS16_S17_SN_SS_EUlS16_E_NS1_11comp_targetILNS1_3genE6ELNS1_11target_archE950ELNS1_3gpuE13ELNS1_3repE0EEENS1_47radix_sort_onesweep_sort_config_static_selectorELNS0_4arch9wavefront6targetE0EEEvSN_,@function
_ZN7rocprim17ROCPRIM_400000_NS6detail17trampoline_kernelINS0_14default_configENS1_35radix_sort_onesweep_config_selectorIjN6thrust23THRUST_200600_302600_NS5tupleIffNS6_9null_typeES8_S8_S8_S8_S8_S8_S8_EEEEZZNS1_29radix_sort_onesweep_iterationIS3_Lb0ENS6_6detail15normal_iteratorINS6_10device_ptrIjEEEESG_NSD_INSE_IS9_EEEESI_jNS0_19identity_decomposerENS1_16block_id_wrapperIjLb0EEEEE10hipError_tT1_PNSt15iterator_traitsISN_E10value_typeET2_T3_PNSO_IST_E10value_typeET4_T5_PSY_SZ_PNS1_23onesweep_lookback_stateEbbT6_jjT7_P12ihipStream_tbENKUlT_T0_SN_SS_E_clISG_SG_SI_SI_EEDaS16_S17_SN_SS_EUlS16_E_NS1_11comp_targetILNS1_3genE6ELNS1_11target_archE950ELNS1_3gpuE13ELNS1_3repE0EEENS1_47radix_sort_onesweep_sort_config_static_selectorELNS0_4arch9wavefront6targetE0EEEvSN_: ; @_ZN7rocprim17ROCPRIM_400000_NS6detail17trampoline_kernelINS0_14default_configENS1_35radix_sort_onesweep_config_selectorIjN6thrust23THRUST_200600_302600_NS5tupleIffNS6_9null_typeES8_S8_S8_S8_S8_S8_S8_EEEEZZNS1_29radix_sort_onesweep_iterationIS3_Lb0ENS6_6detail15normal_iteratorINS6_10device_ptrIjEEEESG_NSD_INSE_IS9_EEEESI_jNS0_19identity_decomposerENS1_16block_id_wrapperIjLb0EEEEE10hipError_tT1_PNSt15iterator_traitsISN_E10value_typeET2_T3_PNSO_IST_E10value_typeET4_T5_PSY_SZ_PNS1_23onesweep_lookback_stateEbbT6_jjT7_P12ihipStream_tbENKUlT_T0_SN_SS_E_clISG_SG_SI_SI_EEDaS16_S17_SN_SS_EUlS16_E_NS1_11comp_targetILNS1_3genE6ELNS1_11target_archE950ELNS1_3gpuE13ELNS1_3repE0EEENS1_47radix_sort_onesweep_sort_config_static_selectorELNS0_4arch9wavefront6targetE0EEEvSN_
; %bb.0:
	.section	.rodata,"a",@progbits
	.p2align	6, 0x0
	.amdhsa_kernel _ZN7rocprim17ROCPRIM_400000_NS6detail17trampoline_kernelINS0_14default_configENS1_35radix_sort_onesweep_config_selectorIjN6thrust23THRUST_200600_302600_NS5tupleIffNS6_9null_typeES8_S8_S8_S8_S8_S8_S8_EEEEZZNS1_29radix_sort_onesweep_iterationIS3_Lb0ENS6_6detail15normal_iteratorINS6_10device_ptrIjEEEESG_NSD_INSE_IS9_EEEESI_jNS0_19identity_decomposerENS1_16block_id_wrapperIjLb0EEEEE10hipError_tT1_PNSt15iterator_traitsISN_E10value_typeET2_T3_PNSO_IST_E10value_typeET4_T5_PSY_SZ_PNS1_23onesweep_lookback_stateEbbT6_jjT7_P12ihipStream_tbENKUlT_T0_SN_SS_E_clISG_SG_SI_SI_EEDaS16_S17_SN_SS_EUlS16_E_NS1_11comp_targetILNS1_3genE6ELNS1_11target_archE950ELNS1_3gpuE13ELNS1_3repE0EEENS1_47radix_sort_onesweep_sort_config_static_selectorELNS0_4arch9wavefront6targetE0EEEvSN_
		.amdhsa_group_segment_fixed_size 0
		.amdhsa_private_segment_fixed_size 0
		.amdhsa_kernarg_size 88
		.amdhsa_user_sgpr_count 6
		.amdhsa_user_sgpr_private_segment_buffer 1
		.amdhsa_user_sgpr_dispatch_ptr 0
		.amdhsa_user_sgpr_queue_ptr 0
		.amdhsa_user_sgpr_kernarg_segment_ptr 1
		.amdhsa_user_sgpr_dispatch_id 0
		.amdhsa_user_sgpr_flat_scratch_init 0
		.amdhsa_user_sgpr_private_segment_size 0
		.amdhsa_wavefront_size32 1
		.amdhsa_uses_dynamic_stack 0
		.amdhsa_system_sgpr_private_segment_wavefront_offset 0
		.amdhsa_system_sgpr_workgroup_id_x 1
		.amdhsa_system_sgpr_workgroup_id_y 0
		.amdhsa_system_sgpr_workgroup_id_z 0
		.amdhsa_system_sgpr_workgroup_info 0
		.amdhsa_system_vgpr_workitem_id 0
		.amdhsa_next_free_vgpr 1
		.amdhsa_next_free_sgpr 1
		.amdhsa_reserve_vcc 0
		.amdhsa_reserve_flat_scratch 0
		.amdhsa_float_round_mode_32 0
		.amdhsa_float_round_mode_16_64 0
		.amdhsa_float_denorm_mode_32 3
		.amdhsa_float_denorm_mode_16_64 3
		.amdhsa_dx10_clamp 1
		.amdhsa_ieee_mode 1
		.amdhsa_fp16_overflow 0
		.amdhsa_workgroup_processor_mode 1
		.amdhsa_memory_ordered 1
		.amdhsa_forward_progress 1
		.amdhsa_shared_vgpr_count 0
		.amdhsa_exception_fp_ieee_invalid_op 0
		.amdhsa_exception_fp_denorm_src 0
		.amdhsa_exception_fp_ieee_div_zero 0
		.amdhsa_exception_fp_ieee_overflow 0
		.amdhsa_exception_fp_ieee_underflow 0
		.amdhsa_exception_fp_ieee_inexact 0
		.amdhsa_exception_int_div_zero 0
	.end_amdhsa_kernel
	.section	.text._ZN7rocprim17ROCPRIM_400000_NS6detail17trampoline_kernelINS0_14default_configENS1_35radix_sort_onesweep_config_selectorIjN6thrust23THRUST_200600_302600_NS5tupleIffNS6_9null_typeES8_S8_S8_S8_S8_S8_S8_EEEEZZNS1_29radix_sort_onesweep_iterationIS3_Lb0ENS6_6detail15normal_iteratorINS6_10device_ptrIjEEEESG_NSD_INSE_IS9_EEEESI_jNS0_19identity_decomposerENS1_16block_id_wrapperIjLb0EEEEE10hipError_tT1_PNSt15iterator_traitsISN_E10value_typeET2_T3_PNSO_IST_E10value_typeET4_T5_PSY_SZ_PNS1_23onesweep_lookback_stateEbbT6_jjT7_P12ihipStream_tbENKUlT_T0_SN_SS_E_clISG_SG_SI_SI_EEDaS16_S17_SN_SS_EUlS16_E_NS1_11comp_targetILNS1_3genE6ELNS1_11target_archE950ELNS1_3gpuE13ELNS1_3repE0EEENS1_47radix_sort_onesweep_sort_config_static_selectorELNS0_4arch9wavefront6targetE0EEEvSN_,"axG",@progbits,_ZN7rocprim17ROCPRIM_400000_NS6detail17trampoline_kernelINS0_14default_configENS1_35radix_sort_onesweep_config_selectorIjN6thrust23THRUST_200600_302600_NS5tupleIffNS6_9null_typeES8_S8_S8_S8_S8_S8_S8_EEEEZZNS1_29radix_sort_onesweep_iterationIS3_Lb0ENS6_6detail15normal_iteratorINS6_10device_ptrIjEEEESG_NSD_INSE_IS9_EEEESI_jNS0_19identity_decomposerENS1_16block_id_wrapperIjLb0EEEEE10hipError_tT1_PNSt15iterator_traitsISN_E10value_typeET2_T3_PNSO_IST_E10value_typeET4_T5_PSY_SZ_PNS1_23onesweep_lookback_stateEbbT6_jjT7_P12ihipStream_tbENKUlT_T0_SN_SS_E_clISG_SG_SI_SI_EEDaS16_S17_SN_SS_EUlS16_E_NS1_11comp_targetILNS1_3genE6ELNS1_11target_archE950ELNS1_3gpuE13ELNS1_3repE0EEENS1_47radix_sort_onesweep_sort_config_static_selectorELNS0_4arch9wavefront6targetE0EEEvSN_,comdat
.Lfunc_end203:
	.size	_ZN7rocprim17ROCPRIM_400000_NS6detail17trampoline_kernelINS0_14default_configENS1_35radix_sort_onesweep_config_selectorIjN6thrust23THRUST_200600_302600_NS5tupleIffNS6_9null_typeES8_S8_S8_S8_S8_S8_S8_EEEEZZNS1_29radix_sort_onesweep_iterationIS3_Lb0ENS6_6detail15normal_iteratorINS6_10device_ptrIjEEEESG_NSD_INSE_IS9_EEEESI_jNS0_19identity_decomposerENS1_16block_id_wrapperIjLb0EEEEE10hipError_tT1_PNSt15iterator_traitsISN_E10value_typeET2_T3_PNSO_IST_E10value_typeET4_T5_PSY_SZ_PNS1_23onesweep_lookback_stateEbbT6_jjT7_P12ihipStream_tbENKUlT_T0_SN_SS_E_clISG_SG_SI_SI_EEDaS16_S17_SN_SS_EUlS16_E_NS1_11comp_targetILNS1_3genE6ELNS1_11target_archE950ELNS1_3gpuE13ELNS1_3repE0EEENS1_47radix_sort_onesweep_sort_config_static_selectorELNS0_4arch9wavefront6targetE0EEEvSN_, .Lfunc_end203-_ZN7rocprim17ROCPRIM_400000_NS6detail17trampoline_kernelINS0_14default_configENS1_35radix_sort_onesweep_config_selectorIjN6thrust23THRUST_200600_302600_NS5tupleIffNS6_9null_typeES8_S8_S8_S8_S8_S8_S8_EEEEZZNS1_29radix_sort_onesweep_iterationIS3_Lb0ENS6_6detail15normal_iteratorINS6_10device_ptrIjEEEESG_NSD_INSE_IS9_EEEESI_jNS0_19identity_decomposerENS1_16block_id_wrapperIjLb0EEEEE10hipError_tT1_PNSt15iterator_traitsISN_E10value_typeET2_T3_PNSO_IST_E10value_typeET4_T5_PSY_SZ_PNS1_23onesweep_lookback_stateEbbT6_jjT7_P12ihipStream_tbENKUlT_T0_SN_SS_E_clISG_SG_SI_SI_EEDaS16_S17_SN_SS_EUlS16_E_NS1_11comp_targetILNS1_3genE6ELNS1_11target_archE950ELNS1_3gpuE13ELNS1_3repE0EEENS1_47radix_sort_onesweep_sort_config_static_selectorELNS0_4arch9wavefront6targetE0EEEvSN_
                                        ; -- End function
	.set _ZN7rocprim17ROCPRIM_400000_NS6detail17trampoline_kernelINS0_14default_configENS1_35radix_sort_onesweep_config_selectorIjN6thrust23THRUST_200600_302600_NS5tupleIffNS6_9null_typeES8_S8_S8_S8_S8_S8_S8_EEEEZZNS1_29radix_sort_onesweep_iterationIS3_Lb0ENS6_6detail15normal_iteratorINS6_10device_ptrIjEEEESG_NSD_INSE_IS9_EEEESI_jNS0_19identity_decomposerENS1_16block_id_wrapperIjLb0EEEEE10hipError_tT1_PNSt15iterator_traitsISN_E10value_typeET2_T3_PNSO_IST_E10value_typeET4_T5_PSY_SZ_PNS1_23onesweep_lookback_stateEbbT6_jjT7_P12ihipStream_tbENKUlT_T0_SN_SS_E_clISG_SG_SI_SI_EEDaS16_S17_SN_SS_EUlS16_E_NS1_11comp_targetILNS1_3genE6ELNS1_11target_archE950ELNS1_3gpuE13ELNS1_3repE0EEENS1_47radix_sort_onesweep_sort_config_static_selectorELNS0_4arch9wavefront6targetE0EEEvSN_.num_vgpr, 0
	.set _ZN7rocprim17ROCPRIM_400000_NS6detail17trampoline_kernelINS0_14default_configENS1_35radix_sort_onesweep_config_selectorIjN6thrust23THRUST_200600_302600_NS5tupleIffNS6_9null_typeES8_S8_S8_S8_S8_S8_S8_EEEEZZNS1_29radix_sort_onesweep_iterationIS3_Lb0ENS6_6detail15normal_iteratorINS6_10device_ptrIjEEEESG_NSD_INSE_IS9_EEEESI_jNS0_19identity_decomposerENS1_16block_id_wrapperIjLb0EEEEE10hipError_tT1_PNSt15iterator_traitsISN_E10value_typeET2_T3_PNSO_IST_E10value_typeET4_T5_PSY_SZ_PNS1_23onesweep_lookback_stateEbbT6_jjT7_P12ihipStream_tbENKUlT_T0_SN_SS_E_clISG_SG_SI_SI_EEDaS16_S17_SN_SS_EUlS16_E_NS1_11comp_targetILNS1_3genE6ELNS1_11target_archE950ELNS1_3gpuE13ELNS1_3repE0EEENS1_47radix_sort_onesweep_sort_config_static_selectorELNS0_4arch9wavefront6targetE0EEEvSN_.num_agpr, 0
	.set _ZN7rocprim17ROCPRIM_400000_NS6detail17trampoline_kernelINS0_14default_configENS1_35radix_sort_onesweep_config_selectorIjN6thrust23THRUST_200600_302600_NS5tupleIffNS6_9null_typeES8_S8_S8_S8_S8_S8_S8_EEEEZZNS1_29radix_sort_onesweep_iterationIS3_Lb0ENS6_6detail15normal_iteratorINS6_10device_ptrIjEEEESG_NSD_INSE_IS9_EEEESI_jNS0_19identity_decomposerENS1_16block_id_wrapperIjLb0EEEEE10hipError_tT1_PNSt15iterator_traitsISN_E10value_typeET2_T3_PNSO_IST_E10value_typeET4_T5_PSY_SZ_PNS1_23onesweep_lookback_stateEbbT6_jjT7_P12ihipStream_tbENKUlT_T0_SN_SS_E_clISG_SG_SI_SI_EEDaS16_S17_SN_SS_EUlS16_E_NS1_11comp_targetILNS1_3genE6ELNS1_11target_archE950ELNS1_3gpuE13ELNS1_3repE0EEENS1_47radix_sort_onesweep_sort_config_static_selectorELNS0_4arch9wavefront6targetE0EEEvSN_.numbered_sgpr, 0
	.set _ZN7rocprim17ROCPRIM_400000_NS6detail17trampoline_kernelINS0_14default_configENS1_35radix_sort_onesweep_config_selectorIjN6thrust23THRUST_200600_302600_NS5tupleIffNS6_9null_typeES8_S8_S8_S8_S8_S8_S8_EEEEZZNS1_29radix_sort_onesweep_iterationIS3_Lb0ENS6_6detail15normal_iteratorINS6_10device_ptrIjEEEESG_NSD_INSE_IS9_EEEESI_jNS0_19identity_decomposerENS1_16block_id_wrapperIjLb0EEEEE10hipError_tT1_PNSt15iterator_traitsISN_E10value_typeET2_T3_PNSO_IST_E10value_typeET4_T5_PSY_SZ_PNS1_23onesweep_lookback_stateEbbT6_jjT7_P12ihipStream_tbENKUlT_T0_SN_SS_E_clISG_SG_SI_SI_EEDaS16_S17_SN_SS_EUlS16_E_NS1_11comp_targetILNS1_3genE6ELNS1_11target_archE950ELNS1_3gpuE13ELNS1_3repE0EEENS1_47radix_sort_onesweep_sort_config_static_selectorELNS0_4arch9wavefront6targetE0EEEvSN_.num_named_barrier, 0
	.set _ZN7rocprim17ROCPRIM_400000_NS6detail17trampoline_kernelINS0_14default_configENS1_35radix_sort_onesweep_config_selectorIjN6thrust23THRUST_200600_302600_NS5tupleIffNS6_9null_typeES8_S8_S8_S8_S8_S8_S8_EEEEZZNS1_29radix_sort_onesweep_iterationIS3_Lb0ENS6_6detail15normal_iteratorINS6_10device_ptrIjEEEESG_NSD_INSE_IS9_EEEESI_jNS0_19identity_decomposerENS1_16block_id_wrapperIjLb0EEEEE10hipError_tT1_PNSt15iterator_traitsISN_E10value_typeET2_T3_PNSO_IST_E10value_typeET4_T5_PSY_SZ_PNS1_23onesweep_lookback_stateEbbT6_jjT7_P12ihipStream_tbENKUlT_T0_SN_SS_E_clISG_SG_SI_SI_EEDaS16_S17_SN_SS_EUlS16_E_NS1_11comp_targetILNS1_3genE6ELNS1_11target_archE950ELNS1_3gpuE13ELNS1_3repE0EEENS1_47radix_sort_onesweep_sort_config_static_selectorELNS0_4arch9wavefront6targetE0EEEvSN_.private_seg_size, 0
	.set _ZN7rocprim17ROCPRIM_400000_NS6detail17trampoline_kernelINS0_14default_configENS1_35radix_sort_onesweep_config_selectorIjN6thrust23THRUST_200600_302600_NS5tupleIffNS6_9null_typeES8_S8_S8_S8_S8_S8_S8_EEEEZZNS1_29radix_sort_onesweep_iterationIS3_Lb0ENS6_6detail15normal_iteratorINS6_10device_ptrIjEEEESG_NSD_INSE_IS9_EEEESI_jNS0_19identity_decomposerENS1_16block_id_wrapperIjLb0EEEEE10hipError_tT1_PNSt15iterator_traitsISN_E10value_typeET2_T3_PNSO_IST_E10value_typeET4_T5_PSY_SZ_PNS1_23onesweep_lookback_stateEbbT6_jjT7_P12ihipStream_tbENKUlT_T0_SN_SS_E_clISG_SG_SI_SI_EEDaS16_S17_SN_SS_EUlS16_E_NS1_11comp_targetILNS1_3genE6ELNS1_11target_archE950ELNS1_3gpuE13ELNS1_3repE0EEENS1_47radix_sort_onesweep_sort_config_static_selectorELNS0_4arch9wavefront6targetE0EEEvSN_.uses_vcc, 0
	.set _ZN7rocprim17ROCPRIM_400000_NS6detail17trampoline_kernelINS0_14default_configENS1_35radix_sort_onesweep_config_selectorIjN6thrust23THRUST_200600_302600_NS5tupleIffNS6_9null_typeES8_S8_S8_S8_S8_S8_S8_EEEEZZNS1_29radix_sort_onesweep_iterationIS3_Lb0ENS6_6detail15normal_iteratorINS6_10device_ptrIjEEEESG_NSD_INSE_IS9_EEEESI_jNS0_19identity_decomposerENS1_16block_id_wrapperIjLb0EEEEE10hipError_tT1_PNSt15iterator_traitsISN_E10value_typeET2_T3_PNSO_IST_E10value_typeET4_T5_PSY_SZ_PNS1_23onesweep_lookback_stateEbbT6_jjT7_P12ihipStream_tbENKUlT_T0_SN_SS_E_clISG_SG_SI_SI_EEDaS16_S17_SN_SS_EUlS16_E_NS1_11comp_targetILNS1_3genE6ELNS1_11target_archE950ELNS1_3gpuE13ELNS1_3repE0EEENS1_47radix_sort_onesweep_sort_config_static_selectorELNS0_4arch9wavefront6targetE0EEEvSN_.uses_flat_scratch, 0
	.set _ZN7rocprim17ROCPRIM_400000_NS6detail17trampoline_kernelINS0_14default_configENS1_35radix_sort_onesweep_config_selectorIjN6thrust23THRUST_200600_302600_NS5tupleIffNS6_9null_typeES8_S8_S8_S8_S8_S8_S8_EEEEZZNS1_29radix_sort_onesweep_iterationIS3_Lb0ENS6_6detail15normal_iteratorINS6_10device_ptrIjEEEESG_NSD_INSE_IS9_EEEESI_jNS0_19identity_decomposerENS1_16block_id_wrapperIjLb0EEEEE10hipError_tT1_PNSt15iterator_traitsISN_E10value_typeET2_T3_PNSO_IST_E10value_typeET4_T5_PSY_SZ_PNS1_23onesweep_lookback_stateEbbT6_jjT7_P12ihipStream_tbENKUlT_T0_SN_SS_E_clISG_SG_SI_SI_EEDaS16_S17_SN_SS_EUlS16_E_NS1_11comp_targetILNS1_3genE6ELNS1_11target_archE950ELNS1_3gpuE13ELNS1_3repE0EEENS1_47radix_sort_onesweep_sort_config_static_selectorELNS0_4arch9wavefront6targetE0EEEvSN_.has_dyn_sized_stack, 0
	.set _ZN7rocprim17ROCPRIM_400000_NS6detail17trampoline_kernelINS0_14default_configENS1_35radix_sort_onesweep_config_selectorIjN6thrust23THRUST_200600_302600_NS5tupleIffNS6_9null_typeES8_S8_S8_S8_S8_S8_S8_EEEEZZNS1_29radix_sort_onesweep_iterationIS3_Lb0ENS6_6detail15normal_iteratorINS6_10device_ptrIjEEEESG_NSD_INSE_IS9_EEEESI_jNS0_19identity_decomposerENS1_16block_id_wrapperIjLb0EEEEE10hipError_tT1_PNSt15iterator_traitsISN_E10value_typeET2_T3_PNSO_IST_E10value_typeET4_T5_PSY_SZ_PNS1_23onesweep_lookback_stateEbbT6_jjT7_P12ihipStream_tbENKUlT_T0_SN_SS_E_clISG_SG_SI_SI_EEDaS16_S17_SN_SS_EUlS16_E_NS1_11comp_targetILNS1_3genE6ELNS1_11target_archE950ELNS1_3gpuE13ELNS1_3repE0EEENS1_47radix_sort_onesweep_sort_config_static_selectorELNS0_4arch9wavefront6targetE0EEEvSN_.has_recursion, 0
	.set _ZN7rocprim17ROCPRIM_400000_NS6detail17trampoline_kernelINS0_14default_configENS1_35radix_sort_onesweep_config_selectorIjN6thrust23THRUST_200600_302600_NS5tupleIffNS6_9null_typeES8_S8_S8_S8_S8_S8_S8_EEEEZZNS1_29radix_sort_onesweep_iterationIS3_Lb0ENS6_6detail15normal_iteratorINS6_10device_ptrIjEEEESG_NSD_INSE_IS9_EEEESI_jNS0_19identity_decomposerENS1_16block_id_wrapperIjLb0EEEEE10hipError_tT1_PNSt15iterator_traitsISN_E10value_typeET2_T3_PNSO_IST_E10value_typeET4_T5_PSY_SZ_PNS1_23onesweep_lookback_stateEbbT6_jjT7_P12ihipStream_tbENKUlT_T0_SN_SS_E_clISG_SG_SI_SI_EEDaS16_S17_SN_SS_EUlS16_E_NS1_11comp_targetILNS1_3genE6ELNS1_11target_archE950ELNS1_3gpuE13ELNS1_3repE0EEENS1_47radix_sort_onesweep_sort_config_static_selectorELNS0_4arch9wavefront6targetE0EEEvSN_.has_indirect_call, 0
	.section	.AMDGPU.csdata,"",@progbits
; Kernel info:
; codeLenInByte = 0
; TotalNumSgprs: 0
; NumVgprs: 0
; ScratchSize: 0
; MemoryBound: 0
; FloatMode: 240
; IeeeMode: 1
; LDSByteSize: 0 bytes/workgroup (compile time only)
; SGPRBlocks: 0
; VGPRBlocks: 0
; NumSGPRsForWavesPerEU: 1
; NumVGPRsForWavesPerEU: 1
; Occupancy: 16
; WaveLimiterHint : 0
; COMPUTE_PGM_RSRC2:SCRATCH_EN: 0
; COMPUTE_PGM_RSRC2:USER_SGPR: 6
; COMPUTE_PGM_RSRC2:TRAP_HANDLER: 0
; COMPUTE_PGM_RSRC2:TGID_X_EN: 1
; COMPUTE_PGM_RSRC2:TGID_Y_EN: 0
; COMPUTE_PGM_RSRC2:TGID_Z_EN: 0
; COMPUTE_PGM_RSRC2:TIDIG_COMP_CNT: 0
	.section	.text._ZN7rocprim17ROCPRIM_400000_NS6detail17trampoline_kernelINS0_14default_configENS1_35radix_sort_onesweep_config_selectorIjN6thrust23THRUST_200600_302600_NS5tupleIffNS6_9null_typeES8_S8_S8_S8_S8_S8_S8_EEEEZZNS1_29radix_sort_onesweep_iterationIS3_Lb0ENS6_6detail15normal_iteratorINS6_10device_ptrIjEEEESG_NSD_INSE_IS9_EEEESI_jNS0_19identity_decomposerENS1_16block_id_wrapperIjLb0EEEEE10hipError_tT1_PNSt15iterator_traitsISN_E10value_typeET2_T3_PNSO_IST_E10value_typeET4_T5_PSY_SZ_PNS1_23onesweep_lookback_stateEbbT6_jjT7_P12ihipStream_tbENKUlT_T0_SN_SS_E_clISG_SG_SI_SI_EEDaS16_S17_SN_SS_EUlS16_E_NS1_11comp_targetILNS1_3genE5ELNS1_11target_archE942ELNS1_3gpuE9ELNS1_3repE0EEENS1_47radix_sort_onesweep_sort_config_static_selectorELNS0_4arch9wavefront6targetE0EEEvSN_,"axG",@progbits,_ZN7rocprim17ROCPRIM_400000_NS6detail17trampoline_kernelINS0_14default_configENS1_35radix_sort_onesweep_config_selectorIjN6thrust23THRUST_200600_302600_NS5tupleIffNS6_9null_typeES8_S8_S8_S8_S8_S8_S8_EEEEZZNS1_29radix_sort_onesweep_iterationIS3_Lb0ENS6_6detail15normal_iteratorINS6_10device_ptrIjEEEESG_NSD_INSE_IS9_EEEESI_jNS0_19identity_decomposerENS1_16block_id_wrapperIjLb0EEEEE10hipError_tT1_PNSt15iterator_traitsISN_E10value_typeET2_T3_PNSO_IST_E10value_typeET4_T5_PSY_SZ_PNS1_23onesweep_lookback_stateEbbT6_jjT7_P12ihipStream_tbENKUlT_T0_SN_SS_E_clISG_SG_SI_SI_EEDaS16_S17_SN_SS_EUlS16_E_NS1_11comp_targetILNS1_3genE5ELNS1_11target_archE942ELNS1_3gpuE9ELNS1_3repE0EEENS1_47radix_sort_onesweep_sort_config_static_selectorELNS0_4arch9wavefront6targetE0EEEvSN_,comdat
	.protected	_ZN7rocprim17ROCPRIM_400000_NS6detail17trampoline_kernelINS0_14default_configENS1_35radix_sort_onesweep_config_selectorIjN6thrust23THRUST_200600_302600_NS5tupleIffNS6_9null_typeES8_S8_S8_S8_S8_S8_S8_EEEEZZNS1_29radix_sort_onesweep_iterationIS3_Lb0ENS6_6detail15normal_iteratorINS6_10device_ptrIjEEEESG_NSD_INSE_IS9_EEEESI_jNS0_19identity_decomposerENS1_16block_id_wrapperIjLb0EEEEE10hipError_tT1_PNSt15iterator_traitsISN_E10value_typeET2_T3_PNSO_IST_E10value_typeET4_T5_PSY_SZ_PNS1_23onesweep_lookback_stateEbbT6_jjT7_P12ihipStream_tbENKUlT_T0_SN_SS_E_clISG_SG_SI_SI_EEDaS16_S17_SN_SS_EUlS16_E_NS1_11comp_targetILNS1_3genE5ELNS1_11target_archE942ELNS1_3gpuE9ELNS1_3repE0EEENS1_47radix_sort_onesweep_sort_config_static_selectorELNS0_4arch9wavefront6targetE0EEEvSN_ ; -- Begin function _ZN7rocprim17ROCPRIM_400000_NS6detail17trampoline_kernelINS0_14default_configENS1_35radix_sort_onesweep_config_selectorIjN6thrust23THRUST_200600_302600_NS5tupleIffNS6_9null_typeES8_S8_S8_S8_S8_S8_S8_EEEEZZNS1_29radix_sort_onesweep_iterationIS3_Lb0ENS6_6detail15normal_iteratorINS6_10device_ptrIjEEEESG_NSD_INSE_IS9_EEEESI_jNS0_19identity_decomposerENS1_16block_id_wrapperIjLb0EEEEE10hipError_tT1_PNSt15iterator_traitsISN_E10value_typeET2_T3_PNSO_IST_E10value_typeET4_T5_PSY_SZ_PNS1_23onesweep_lookback_stateEbbT6_jjT7_P12ihipStream_tbENKUlT_T0_SN_SS_E_clISG_SG_SI_SI_EEDaS16_S17_SN_SS_EUlS16_E_NS1_11comp_targetILNS1_3genE5ELNS1_11target_archE942ELNS1_3gpuE9ELNS1_3repE0EEENS1_47radix_sort_onesweep_sort_config_static_selectorELNS0_4arch9wavefront6targetE0EEEvSN_
	.globl	_ZN7rocprim17ROCPRIM_400000_NS6detail17trampoline_kernelINS0_14default_configENS1_35radix_sort_onesweep_config_selectorIjN6thrust23THRUST_200600_302600_NS5tupleIffNS6_9null_typeES8_S8_S8_S8_S8_S8_S8_EEEEZZNS1_29radix_sort_onesweep_iterationIS3_Lb0ENS6_6detail15normal_iteratorINS6_10device_ptrIjEEEESG_NSD_INSE_IS9_EEEESI_jNS0_19identity_decomposerENS1_16block_id_wrapperIjLb0EEEEE10hipError_tT1_PNSt15iterator_traitsISN_E10value_typeET2_T3_PNSO_IST_E10value_typeET4_T5_PSY_SZ_PNS1_23onesweep_lookback_stateEbbT6_jjT7_P12ihipStream_tbENKUlT_T0_SN_SS_E_clISG_SG_SI_SI_EEDaS16_S17_SN_SS_EUlS16_E_NS1_11comp_targetILNS1_3genE5ELNS1_11target_archE942ELNS1_3gpuE9ELNS1_3repE0EEENS1_47radix_sort_onesweep_sort_config_static_selectorELNS0_4arch9wavefront6targetE0EEEvSN_
	.p2align	8
	.type	_ZN7rocprim17ROCPRIM_400000_NS6detail17trampoline_kernelINS0_14default_configENS1_35radix_sort_onesweep_config_selectorIjN6thrust23THRUST_200600_302600_NS5tupleIffNS6_9null_typeES8_S8_S8_S8_S8_S8_S8_EEEEZZNS1_29radix_sort_onesweep_iterationIS3_Lb0ENS6_6detail15normal_iteratorINS6_10device_ptrIjEEEESG_NSD_INSE_IS9_EEEESI_jNS0_19identity_decomposerENS1_16block_id_wrapperIjLb0EEEEE10hipError_tT1_PNSt15iterator_traitsISN_E10value_typeET2_T3_PNSO_IST_E10value_typeET4_T5_PSY_SZ_PNS1_23onesweep_lookback_stateEbbT6_jjT7_P12ihipStream_tbENKUlT_T0_SN_SS_E_clISG_SG_SI_SI_EEDaS16_S17_SN_SS_EUlS16_E_NS1_11comp_targetILNS1_3genE5ELNS1_11target_archE942ELNS1_3gpuE9ELNS1_3repE0EEENS1_47radix_sort_onesweep_sort_config_static_selectorELNS0_4arch9wavefront6targetE0EEEvSN_,@function
_ZN7rocprim17ROCPRIM_400000_NS6detail17trampoline_kernelINS0_14default_configENS1_35radix_sort_onesweep_config_selectorIjN6thrust23THRUST_200600_302600_NS5tupleIffNS6_9null_typeES8_S8_S8_S8_S8_S8_S8_EEEEZZNS1_29radix_sort_onesweep_iterationIS3_Lb0ENS6_6detail15normal_iteratorINS6_10device_ptrIjEEEESG_NSD_INSE_IS9_EEEESI_jNS0_19identity_decomposerENS1_16block_id_wrapperIjLb0EEEEE10hipError_tT1_PNSt15iterator_traitsISN_E10value_typeET2_T3_PNSO_IST_E10value_typeET4_T5_PSY_SZ_PNS1_23onesweep_lookback_stateEbbT6_jjT7_P12ihipStream_tbENKUlT_T0_SN_SS_E_clISG_SG_SI_SI_EEDaS16_S17_SN_SS_EUlS16_E_NS1_11comp_targetILNS1_3genE5ELNS1_11target_archE942ELNS1_3gpuE9ELNS1_3repE0EEENS1_47radix_sort_onesweep_sort_config_static_selectorELNS0_4arch9wavefront6targetE0EEEvSN_: ; @_ZN7rocprim17ROCPRIM_400000_NS6detail17trampoline_kernelINS0_14default_configENS1_35radix_sort_onesweep_config_selectorIjN6thrust23THRUST_200600_302600_NS5tupleIffNS6_9null_typeES8_S8_S8_S8_S8_S8_S8_EEEEZZNS1_29radix_sort_onesweep_iterationIS3_Lb0ENS6_6detail15normal_iteratorINS6_10device_ptrIjEEEESG_NSD_INSE_IS9_EEEESI_jNS0_19identity_decomposerENS1_16block_id_wrapperIjLb0EEEEE10hipError_tT1_PNSt15iterator_traitsISN_E10value_typeET2_T3_PNSO_IST_E10value_typeET4_T5_PSY_SZ_PNS1_23onesweep_lookback_stateEbbT6_jjT7_P12ihipStream_tbENKUlT_T0_SN_SS_E_clISG_SG_SI_SI_EEDaS16_S17_SN_SS_EUlS16_E_NS1_11comp_targetILNS1_3genE5ELNS1_11target_archE942ELNS1_3gpuE9ELNS1_3repE0EEENS1_47radix_sort_onesweep_sort_config_static_selectorELNS0_4arch9wavefront6targetE0EEEvSN_
; %bb.0:
	.section	.rodata,"a",@progbits
	.p2align	6, 0x0
	.amdhsa_kernel _ZN7rocprim17ROCPRIM_400000_NS6detail17trampoline_kernelINS0_14default_configENS1_35radix_sort_onesweep_config_selectorIjN6thrust23THRUST_200600_302600_NS5tupleIffNS6_9null_typeES8_S8_S8_S8_S8_S8_S8_EEEEZZNS1_29radix_sort_onesweep_iterationIS3_Lb0ENS6_6detail15normal_iteratorINS6_10device_ptrIjEEEESG_NSD_INSE_IS9_EEEESI_jNS0_19identity_decomposerENS1_16block_id_wrapperIjLb0EEEEE10hipError_tT1_PNSt15iterator_traitsISN_E10value_typeET2_T3_PNSO_IST_E10value_typeET4_T5_PSY_SZ_PNS1_23onesweep_lookback_stateEbbT6_jjT7_P12ihipStream_tbENKUlT_T0_SN_SS_E_clISG_SG_SI_SI_EEDaS16_S17_SN_SS_EUlS16_E_NS1_11comp_targetILNS1_3genE5ELNS1_11target_archE942ELNS1_3gpuE9ELNS1_3repE0EEENS1_47radix_sort_onesweep_sort_config_static_selectorELNS0_4arch9wavefront6targetE0EEEvSN_
		.amdhsa_group_segment_fixed_size 0
		.amdhsa_private_segment_fixed_size 0
		.amdhsa_kernarg_size 88
		.amdhsa_user_sgpr_count 6
		.amdhsa_user_sgpr_private_segment_buffer 1
		.amdhsa_user_sgpr_dispatch_ptr 0
		.amdhsa_user_sgpr_queue_ptr 0
		.amdhsa_user_sgpr_kernarg_segment_ptr 1
		.amdhsa_user_sgpr_dispatch_id 0
		.amdhsa_user_sgpr_flat_scratch_init 0
		.amdhsa_user_sgpr_private_segment_size 0
		.amdhsa_wavefront_size32 1
		.amdhsa_uses_dynamic_stack 0
		.amdhsa_system_sgpr_private_segment_wavefront_offset 0
		.amdhsa_system_sgpr_workgroup_id_x 1
		.amdhsa_system_sgpr_workgroup_id_y 0
		.amdhsa_system_sgpr_workgroup_id_z 0
		.amdhsa_system_sgpr_workgroup_info 0
		.amdhsa_system_vgpr_workitem_id 0
		.amdhsa_next_free_vgpr 1
		.amdhsa_next_free_sgpr 1
		.amdhsa_reserve_vcc 0
		.amdhsa_reserve_flat_scratch 0
		.amdhsa_float_round_mode_32 0
		.amdhsa_float_round_mode_16_64 0
		.amdhsa_float_denorm_mode_32 3
		.amdhsa_float_denorm_mode_16_64 3
		.amdhsa_dx10_clamp 1
		.amdhsa_ieee_mode 1
		.amdhsa_fp16_overflow 0
		.amdhsa_workgroup_processor_mode 1
		.amdhsa_memory_ordered 1
		.amdhsa_forward_progress 1
		.amdhsa_shared_vgpr_count 0
		.amdhsa_exception_fp_ieee_invalid_op 0
		.amdhsa_exception_fp_denorm_src 0
		.amdhsa_exception_fp_ieee_div_zero 0
		.amdhsa_exception_fp_ieee_overflow 0
		.amdhsa_exception_fp_ieee_underflow 0
		.amdhsa_exception_fp_ieee_inexact 0
		.amdhsa_exception_int_div_zero 0
	.end_amdhsa_kernel
	.section	.text._ZN7rocprim17ROCPRIM_400000_NS6detail17trampoline_kernelINS0_14default_configENS1_35radix_sort_onesweep_config_selectorIjN6thrust23THRUST_200600_302600_NS5tupleIffNS6_9null_typeES8_S8_S8_S8_S8_S8_S8_EEEEZZNS1_29radix_sort_onesweep_iterationIS3_Lb0ENS6_6detail15normal_iteratorINS6_10device_ptrIjEEEESG_NSD_INSE_IS9_EEEESI_jNS0_19identity_decomposerENS1_16block_id_wrapperIjLb0EEEEE10hipError_tT1_PNSt15iterator_traitsISN_E10value_typeET2_T3_PNSO_IST_E10value_typeET4_T5_PSY_SZ_PNS1_23onesweep_lookback_stateEbbT6_jjT7_P12ihipStream_tbENKUlT_T0_SN_SS_E_clISG_SG_SI_SI_EEDaS16_S17_SN_SS_EUlS16_E_NS1_11comp_targetILNS1_3genE5ELNS1_11target_archE942ELNS1_3gpuE9ELNS1_3repE0EEENS1_47radix_sort_onesweep_sort_config_static_selectorELNS0_4arch9wavefront6targetE0EEEvSN_,"axG",@progbits,_ZN7rocprim17ROCPRIM_400000_NS6detail17trampoline_kernelINS0_14default_configENS1_35radix_sort_onesweep_config_selectorIjN6thrust23THRUST_200600_302600_NS5tupleIffNS6_9null_typeES8_S8_S8_S8_S8_S8_S8_EEEEZZNS1_29radix_sort_onesweep_iterationIS3_Lb0ENS6_6detail15normal_iteratorINS6_10device_ptrIjEEEESG_NSD_INSE_IS9_EEEESI_jNS0_19identity_decomposerENS1_16block_id_wrapperIjLb0EEEEE10hipError_tT1_PNSt15iterator_traitsISN_E10value_typeET2_T3_PNSO_IST_E10value_typeET4_T5_PSY_SZ_PNS1_23onesweep_lookback_stateEbbT6_jjT7_P12ihipStream_tbENKUlT_T0_SN_SS_E_clISG_SG_SI_SI_EEDaS16_S17_SN_SS_EUlS16_E_NS1_11comp_targetILNS1_3genE5ELNS1_11target_archE942ELNS1_3gpuE9ELNS1_3repE0EEENS1_47radix_sort_onesweep_sort_config_static_selectorELNS0_4arch9wavefront6targetE0EEEvSN_,comdat
.Lfunc_end204:
	.size	_ZN7rocprim17ROCPRIM_400000_NS6detail17trampoline_kernelINS0_14default_configENS1_35radix_sort_onesweep_config_selectorIjN6thrust23THRUST_200600_302600_NS5tupleIffNS6_9null_typeES8_S8_S8_S8_S8_S8_S8_EEEEZZNS1_29radix_sort_onesweep_iterationIS3_Lb0ENS6_6detail15normal_iteratorINS6_10device_ptrIjEEEESG_NSD_INSE_IS9_EEEESI_jNS0_19identity_decomposerENS1_16block_id_wrapperIjLb0EEEEE10hipError_tT1_PNSt15iterator_traitsISN_E10value_typeET2_T3_PNSO_IST_E10value_typeET4_T5_PSY_SZ_PNS1_23onesweep_lookback_stateEbbT6_jjT7_P12ihipStream_tbENKUlT_T0_SN_SS_E_clISG_SG_SI_SI_EEDaS16_S17_SN_SS_EUlS16_E_NS1_11comp_targetILNS1_3genE5ELNS1_11target_archE942ELNS1_3gpuE9ELNS1_3repE0EEENS1_47radix_sort_onesweep_sort_config_static_selectorELNS0_4arch9wavefront6targetE0EEEvSN_, .Lfunc_end204-_ZN7rocprim17ROCPRIM_400000_NS6detail17trampoline_kernelINS0_14default_configENS1_35radix_sort_onesweep_config_selectorIjN6thrust23THRUST_200600_302600_NS5tupleIffNS6_9null_typeES8_S8_S8_S8_S8_S8_S8_EEEEZZNS1_29radix_sort_onesweep_iterationIS3_Lb0ENS6_6detail15normal_iteratorINS6_10device_ptrIjEEEESG_NSD_INSE_IS9_EEEESI_jNS0_19identity_decomposerENS1_16block_id_wrapperIjLb0EEEEE10hipError_tT1_PNSt15iterator_traitsISN_E10value_typeET2_T3_PNSO_IST_E10value_typeET4_T5_PSY_SZ_PNS1_23onesweep_lookback_stateEbbT6_jjT7_P12ihipStream_tbENKUlT_T0_SN_SS_E_clISG_SG_SI_SI_EEDaS16_S17_SN_SS_EUlS16_E_NS1_11comp_targetILNS1_3genE5ELNS1_11target_archE942ELNS1_3gpuE9ELNS1_3repE0EEENS1_47radix_sort_onesweep_sort_config_static_selectorELNS0_4arch9wavefront6targetE0EEEvSN_
                                        ; -- End function
	.set _ZN7rocprim17ROCPRIM_400000_NS6detail17trampoline_kernelINS0_14default_configENS1_35radix_sort_onesweep_config_selectorIjN6thrust23THRUST_200600_302600_NS5tupleIffNS6_9null_typeES8_S8_S8_S8_S8_S8_S8_EEEEZZNS1_29radix_sort_onesweep_iterationIS3_Lb0ENS6_6detail15normal_iteratorINS6_10device_ptrIjEEEESG_NSD_INSE_IS9_EEEESI_jNS0_19identity_decomposerENS1_16block_id_wrapperIjLb0EEEEE10hipError_tT1_PNSt15iterator_traitsISN_E10value_typeET2_T3_PNSO_IST_E10value_typeET4_T5_PSY_SZ_PNS1_23onesweep_lookback_stateEbbT6_jjT7_P12ihipStream_tbENKUlT_T0_SN_SS_E_clISG_SG_SI_SI_EEDaS16_S17_SN_SS_EUlS16_E_NS1_11comp_targetILNS1_3genE5ELNS1_11target_archE942ELNS1_3gpuE9ELNS1_3repE0EEENS1_47radix_sort_onesweep_sort_config_static_selectorELNS0_4arch9wavefront6targetE0EEEvSN_.num_vgpr, 0
	.set _ZN7rocprim17ROCPRIM_400000_NS6detail17trampoline_kernelINS0_14default_configENS1_35radix_sort_onesweep_config_selectorIjN6thrust23THRUST_200600_302600_NS5tupleIffNS6_9null_typeES8_S8_S8_S8_S8_S8_S8_EEEEZZNS1_29radix_sort_onesweep_iterationIS3_Lb0ENS6_6detail15normal_iteratorINS6_10device_ptrIjEEEESG_NSD_INSE_IS9_EEEESI_jNS0_19identity_decomposerENS1_16block_id_wrapperIjLb0EEEEE10hipError_tT1_PNSt15iterator_traitsISN_E10value_typeET2_T3_PNSO_IST_E10value_typeET4_T5_PSY_SZ_PNS1_23onesweep_lookback_stateEbbT6_jjT7_P12ihipStream_tbENKUlT_T0_SN_SS_E_clISG_SG_SI_SI_EEDaS16_S17_SN_SS_EUlS16_E_NS1_11comp_targetILNS1_3genE5ELNS1_11target_archE942ELNS1_3gpuE9ELNS1_3repE0EEENS1_47radix_sort_onesweep_sort_config_static_selectorELNS0_4arch9wavefront6targetE0EEEvSN_.num_agpr, 0
	.set _ZN7rocprim17ROCPRIM_400000_NS6detail17trampoline_kernelINS0_14default_configENS1_35radix_sort_onesweep_config_selectorIjN6thrust23THRUST_200600_302600_NS5tupleIffNS6_9null_typeES8_S8_S8_S8_S8_S8_S8_EEEEZZNS1_29radix_sort_onesweep_iterationIS3_Lb0ENS6_6detail15normal_iteratorINS6_10device_ptrIjEEEESG_NSD_INSE_IS9_EEEESI_jNS0_19identity_decomposerENS1_16block_id_wrapperIjLb0EEEEE10hipError_tT1_PNSt15iterator_traitsISN_E10value_typeET2_T3_PNSO_IST_E10value_typeET4_T5_PSY_SZ_PNS1_23onesweep_lookback_stateEbbT6_jjT7_P12ihipStream_tbENKUlT_T0_SN_SS_E_clISG_SG_SI_SI_EEDaS16_S17_SN_SS_EUlS16_E_NS1_11comp_targetILNS1_3genE5ELNS1_11target_archE942ELNS1_3gpuE9ELNS1_3repE0EEENS1_47radix_sort_onesweep_sort_config_static_selectorELNS0_4arch9wavefront6targetE0EEEvSN_.numbered_sgpr, 0
	.set _ZN7rocprim17ROCPRIM_400000_NS6detail17trampoline_kernelINS0_14default_configENS1_35radix_sort_onesweep_config_selectorIjN6thrust23THRUST_200600_302600_NS5tupleIffNS6_9null_typeES8_S8_S8_S8_S8_S8_S8_EEEEZZNS1_29radix_sort_onesweep_iterationIS3_Lb0ENS6_6detail15normal_iteratorINS6_10device_ptrIjEEEESG_NSD_INSE_IS9_EEEESI_jNS0_19identity_decomposerENS1_16block_id_wrapperIjLb0EEEEE10hipError_tT1_PNSt15iterator_traitsISN_E10value_typeET2_T3_PNSO_IST_E10value_typeET4_T5_PSY_SZ_PNS1_23onesweep_lookback_stateEbbT6_jjT7_P12ihipStream_tbENKUlT_T0_SN_SS_E_clISG_SG_SI_SI_EEDaS16_S17_SN_SS_EUlS16_E_NS1_11comp_targetILNS1_3genE5ELNS1_11target_archE942ELNS1_3gpuE9ELNS1_3repE0EEENS1_47radix_sort_onesweep_sort_config_static_selectorELNS0_4arch9wavefront6targetE0EEEvSN_.num_named_barrier, 0
	.set _ZN7rocprim17ROCPRIM_400000_NS6detail17trampoline_kernelINS0_14default_configENS1_35radix_sort_onesweep_config_selectorIjN6thrust23THRUST_200600_302600_NS5tupleIffNS6_9null_typeES8_S8_S8_S8_S8_S8_S8_EEEEZZNS1_29radix_sort_onesweep_iterationIS3_Lb0ENS6_6detail15normal_iteratorINS6_10device_ptrIjEEEESG_NSD_INSE_IS9_EEEESI_jNS0_19identity_decomposerENS1_16block_id_wrapperIjLb0EEEEE10hipError_tT1_PNSt15iterator_traitsISN_E10value_typeET2_T3_PNSO_IST_E10value_typeET4_T5_PSY_SZ_PNS1_23onesweep_lookback_stateEbbT6_jjT7_P12ihipStream_tbENKUlT_T0_SN_SS_E_clISG_SG_SI_SI_EEDaS16_S17_SN_SS_EUlS16_E_NS1_11comp_targetILNS1_3genE5ELNS1_11target_archE942ELNS1_3gpuE9ELNS1_3repE0EEENS1_47radix_sort_onesweep_sort_config_static_selectorELNS0_4arch9wavefront6targetE0EEEvSN_.private_seg_size, 0
	.set _ZN7rocprim17ROCPRIM_400000_NS6detail17trampoline_kernelINS0_14default_configENS1_35radix_sort_onesweep_config_selectorIjN6thrust23THRUST_200600_302600_NS5tupleIffNS6_9null_typeES8_S8_S8_S8_S8_S8_S8_EEEEZZNS1_29radix_sort_onesweep_iterationIS3_Lb0ENS6_6detail15normal_iteratorINS6_10device_ptrIjEEEESG_NSD_INSE_IS9_EEEESI_jNS0_19identity_decomposerENS1_16block_id_wrapperIjLb0EEEEE10hipError_tT1_PNSt15iterator_traitsISN_E10value_typeET2_T3_PNSO_IST_E10value_typeET4_T5_PSY_SZ_PNS1_23onesweep_lookback_stateEbbT6_jjT7_P12ihipStream_tbENKUlT_T0_SN_SS_E_clISG_SG_SI_SI_EEDaS16_S17_SN_SS_EUlS16_E_NS1_11comp_targetILNS1_3genE5ELNS1_11target_archE942ELNS1_3gpuE9ELNS1_3repE0EEENS1_47radix_sort_onesweep_sort_config_static_selectorELNS0_4arch9wavefront6targetE0EEEvSN_.uses_vcc, 0
	.set _ZN7rocprim17ROCPRIM_400000_NS6detail17trampoline_kernelINS0_14default_configENS1_35radix_sort_onesweep_config_selectorIjN6thrust23THRUST_200600_302600_NS5tupleIffNS6_9null_typeES8_S8_S8_S8_S8_S8_S8_EEEEZZNS1_29radix_sort_onesweep_iterationIS3_Lb0ENS6_6detail15normal_iteratorINS6_10device_ptrIjEEEESG_NSD_INSE_IS9_EEEESI_jNS0_19identity_decomposerENS1_16block_id_wrapperIjLb0EEEEE10hipError_tT1_PNSt15iterator_traitsISN_E10value_typeET2_T3_PNSO_IST_E10value_typeET4_T5_PSY_SZ_PNS1_23onesweep_lookback_stateEbbT6_jjT7_P12ihipStream_tbENKUlT_T0_SN_SS_E_clISG_SG_SI_SI_EEDaS16_S17_SN_SS_EUlS16_E_NS1_11comp_targetILNS1_3genE5ELNS1_11target_archE942ELNS1_3gpuE9ELNS1_3repE0EEENS1_47radix_sort_onesweep_sort_config_static_selectorELNS0_4arch9wavefront6targetE0EEEvSN_.uses_flat_scratch, 0
	.set _ZN7rocprim17ROCPRIM_400000_NS6detail17trampoline_kernelINS0_14default_configENS1_35radix_sort_onesweep_config_selectorIjN6thrust23THRUST_200600_302600_NS5tupleIffNS6_9null_typeES8_S8_S8_S8_S8_S8_S8_EEEEZZNS1_29radix_sort_onesweep_iterationIS3_Lb0ENS6_6detail15normal_iteratorINS6_10device_ptrIjEEEESG_NSD_INSE_IS9_EEEESI_jNS0_19identity_decomposerENS1_16block_id_wrapperIjLb0EEEEE10hipError_tT1_PNSt15iterator_traitsISN_E10value_typeET2_T3_PNSO_IST_E10value_typeET4_T5_PSY_SZ_PNS1_23onesweep_lookback_stateEbbT6_jjT7_P12ihipStream_tbENKUlT_T0_SN_SS_E_clISG_SG_SI_SI_EEDaS16_S17_SN_SS_EUlS16_E_NS1_11comp_targetILNS1_3genE5ELNS1_11target_archE942ELNS1_3gpuE9ELNS1_3repE0EEENS1_47radix_sort_onesweep_sort_config_static_selectorELNS0_4arch9wavefront6targetE0EEEvSN_.has_dyn_sized_stack, 0
	.set _ZN7rocprim17ROCPRIM_400000_NS6detail17trampoline_kernelINS0_14default_configENS1_35radix_sort_onesweep_config_selectorIjN6thrust23THRUST_200600_302600_NS5tupleIffNS6_9null_typeES8_S8_S8_S8_S8_S8_S8_EEEEZZNS1_29radix_sort_onesweep_iterationIS3_Lb0ENS6_6detail15normal_iteratorINS6_10device_ptrIjEEEESG_NSD_INSE_IS9_EEEESI_jNS0_19identity_decomposerENS1_16block_id_wrapperIjLb0EEEEE10hipError_tT1_PNSt15iterator_traitsISN_E10value_typeET2_T3_PNSO_IST_E10value_typeET4_T5_PSY_SZ_PNS1_23onesweep_lookback_stateEbbT6_jjT7_P12ihipStream_tbENKUlT_T0_SN_SS_E_clISG_SG_SI_SI_EEDaS16_S17_SN_SS_EUlS16_E_NS1_11comp_targetILNS1_3genE5ELNS1_11target_archE942ELNS1_3gpuE9ELNS1_3repE0EEENS1_47radix_sort_onesweep_sort_config_static_selectorELNS0_4arch9wavefront6targetE0EEEvSN_.has_recursion, 0
	.set _ZN7rocprim17ROCPRIM_400000_NS6detail17trampoline_kernelINS0_14default_configENS1_35radix_sort_onesweep_config_selectorIjN6thrust23THRUST_200600_302600_NS5tupleIffNS6_9null_typeES8_S8_S8_S8_S8_S8_S8_EEEEZZNS1_29radix_sort_onesweep_iterationIS3_Lb0ENS6_6detail15normal_iteratorINS6_10device_ptrIjEEEESG_NSD_INSE_IS9_EEEESI_jNS0_19identity_decomposerENS1_16block_id_wrapperIjLb0EEEEE10hipError_tT1_PNSt15iterator_traitsISN_E10value_typeET2_T3_PNSO_IST_E10value_typeET4_T5_PSY_SZ_PNS1_23onesweep_lookback_stateEbbT6_jjT7_P12ihipStream_tbENKUlT_T0_SN_SS_E_clISG_SG_SI_SI_EEDaS16_S17_SN_SS_EUlS16_E_NS1_11comp_targetILNS1_3genE5ELNS1_11target_archE942ELNS1_3gpuE9ELNS1_3repE0EEENS1_47radix_sort_onesweep_sort_config_static_selectorELNS0_4arch9wavefront6targetE0EEEvSN_.has_indirect_call, 0
	.section	.AMDGPU.csdata,"",@progbits
; Kernel info:
; codeLenInByte = 0
; TotalNumSgprs: 0
; NumVgprs: 0
; ScratchSize: 0
; MemoryBound: 0
; FloatMode: 240
; IeeeMode: 1
; LDSByteSize: 0 bytes/workgroup (compile time only)
; SGPRBlocks: 0
; VGPRBlocks: 0
; NumSGPRsForWavesPerEU: 1
; NumVGPRsForWavesPerEU: 1
; Occupancy: 16
; WaveLimiterHint : 0
; COMPUTE_PGM_RSRC2:SCRATCH_EN: 0
; COMPUTE_PGM_RSRC2:USER_SGPR: 6
; COMPUTE_PGM_RSRC2:TRAP_HANDLER: 0
; COMPUTE_PGM_RSRC2:TGID_X_EN: 1
; COMPUTE_PGM_RSRC2:TGID_Y_EN: 0
; COMPUTE_PGM_RSRC2:TGID_Z_EN: 0
; COMPUTE_PGM_RSRC2:TIDIG_COMP_CNT: 0
	.section	.text._ZN7rocprim17ROCPRIM_400000_NS6detail17trampoline_kernelINS0_14default_configENS1_35radix_sort_onesweep_config_selectorIjN6thrust23THRUST_200600_302600_NS5tupleIffNS6_9null_typeES8_S8_S8_S8_S8_S8_S8_EEEEZZNS1_29radix_sort_onesweep_iterationIS3_Lb0ENS6_6detail15normal_iteratorINS6_10device_ptrIjEEEESG_NSD_INSE_IS9_EEEESI_jNS0_19identity_decomposerENS1_16block_id_wrapperIjLb0EEEEE10hipError_tT1_PNSt15iterator_traitsISN_E10value_typeET2_T3_PNSO_IST_E10value_typeET4_T5_PSY_SZ_PNS1_23onesweep_lookback_stateEbbT6_jjT7_P12ihipStream_tbENKUlT_T0_SN_SS_E_clISG_SG_SI_SI_EEDaS16_S17_SN_SS_EUlS16_E_NS1_11comp_targetILNS1_3genE2ELNS1_11target_archE906ELNS1_3gpuE6ELNS1_3repE0EEENS1_47radix_sort_onesweep_sort_config_static_selectorELNS0_4arch9wavefront6targetE0EEEvSN_,"axG",@progbits,_ZN7rocprim17ROCPRIM_400000_NS6detail17trampoline_kernelINS0_14default_configENS1_35radix_sort_onesweep_config_selectorIjN6thrust23THRUST_200600_302600_NS5tupleIffNS6_9null_typeES8_S8_S8_S8_S8_S8_S8_EEEEZZNS1_29radix_sort_onesweep_iterationIS3_Lb0ENS6_6detail15normal_iteratorINS6_10device_ptrIjEEEESG_NSD_INSE_IS9_EEEESI_jNS0_19identity_decomposerENS1_16block_id_wrapperIjLb0EEEEE10hipError_tT1_PNSt15iterator_traitsISN_E10value_typeET2_T3_PNSO_IST_E10value_typeET4_T5_PSY_SZ_PNS1_23onesweep_lookback_stateEbbT6_jjT7_P12ihipStream_tbENKUlT_T0_SN_SS_E_clISG_SG_SI_SI_EEDaS16_S17_SN_SS_EUlS16_E_NS1_11comp_targetILNS1_3genE2ELNS1_11target_archE906ELNS1_3gpuE6ELNS1_3repE0EEENS1_47radix_sort_onesweep_sort_config_static_selectorELNS0_4arch9wavefront6targetE0EEEvSN_,comdat
	.protected	_ZN7rocprim17ROCPRIM_400000_NS6detail17trampoline_kernelINS0_14default_configENS1_35radix_sort_onesweep_config_selectorIjN6thrust23THRUST_200600_302600_NS5tupleIffNS6_9null_typeES8_S8_S8_S8_S8_S8_S8_EEEEZZNS1_29radix_sort_onesweep_iterationIS3_Lb0ENS6_6detail15normal_iteratorINS6_10device_ptrIjEEEESG_NSD_INSE_IS9_EEEESI_jNS0_19identity_decomposerENS1_16block_id_wrapperIjLb0EEEEE10hipError_tT1_PNSt15iterator_traitsISN_E10value_typeET2_T3_PNSO_IST_E10value_typeET4_T5_PSY_SZ_PNS1_23onesweep_lookback_stateEbbT6_jjT7_P12ihipStream_tbENKUlT_T0_SN_SS_E_clISG_SG_SI_SI_EEDaS16_S17_SN_SS_EUlS16_E_NS1_11comp_targetILNS1_3genE2ELNS1_11target_archE906ELNS1_3gpuE6ELNS1_3repE0EEENS1_47radix_sort_onesweep_sort_config_static_selectorELNS0_4arch9wavefront6targetE0EEEvSN_ ; -- Begin function _ZN7rocprim17ROCPRIM_400000_NS6detail17trampoline_kernelINS0_14default_configENS1_35radix_sort_onesweep_config_selectorIjN6thrust23THRUST_200600_302600_NS5tupleIffNS6_9null_typeES8_S8_S8_S8_S8_S8_S8_EEEEZZNS1_29radix_sort_onesweep_iterationIS3_Lb0ENS6_6detail15normal_iteratorINS6_10device_ptrIjEEEESG_NSD_INSE_IS9_EEEESI_jNS0_19identity_decomposerENS1_16block_id_wrapperIjLb0EEEEE10hipError_tT1_PNSt15iterator_traitsISN_E10value_typeET2_T3_PNSO_IST_E10value_typeET4_T5_PSY_SZ_PNS1_23onesweep_lookback_stateEbbT6_jjT7_P12ihipStream_tbENKUlT_T0_SN_SS_E_clISG_SG_SI_SI_EEDaS16_S17_SN_SS_EUlS16_E_NS1_11comp_targetILNS1_3genE2ELNS1_11target_archE906ELNS1_3gpuE6ELNS1_3repE0EEENS1_47radix_sort_onesweep_sort_config_static_selectorELNS0_4arch9wavefront6targetE0EEEvSN_
	.globl	_ZN7rocprim17ROCPRIM_400000_NS6detail17trampoline_kernelINS0_14default_configENS1_35radix_sort_onesweep_config_selectorIjN6thrust23THRUST_200600_302600_NS5tupleIffNS6_9null_typeES8_S8_S8_S8_S8_S8_S8_EEEEZZNS1_29radix_sort_onesweep_iterationIS3_Lb0ENS6_6detail15normal_iteratorINS6_10device_ptrIjEEEESG_NSD_INSE_IS9_EEEESI_jNS0_19identity_decomposerENS1_16block_id_wrapperIjLb0EEEEE10hipError_tT1_PNSt15iterator_traitsISN_E10value_typeET2_T3_PNSO_IST_E10value_typeET4_T5_PSY_SZ_PNS1_23onesweep_lookback_stateEbbT6_jjT7_P12ihipStream_tbENKUlT_T0_SN_SS_E_clISG_SG_SI_SI_EEDaS16_S17_SN_SS_EUlS16_E_NS1_11comp_targetILNS1_3genE2ELNS1_11target_archE906ELNS1_3gpuE6ELNS1_3repE0EEENS1_47radix_sort_onesweep_sort_config_static_selectorELNS0_4arch9wavefront6targetE0EEEvSN_
	.p2align	8
	.type	_ZN7rocprim17ROCPRIM_400000_NS6detail17trampoline_kernelINS0_14default_configENS1_35radix_sort_onesweep_config_selectorIjN6thrust23THRUST_200600_302600_NS5tupleIffNS6_9null_typeES8_S8_S8_S8_S8_S8_S8_EEEEZZNS1_29radix_sort_onesweep_iterationIS3_Lb0ENS6_6detail15normal_iteratorINS6_10device_ptrIjEEEESG_NSD_INSE_IS9_EEEESI_jNS0_19identity_decomposerENS1_16block_id_wrapperIjLb0EEEEE10hipError_tT1_PNSt15iterator_traitsISN_E10value_typeET2_T3_PNSO_IST_E10value_typeET4_T5_PSY_SZ_PNS1_23onesweep_lookback_stateEbbT6_jjT7_P12ihipStream_tbENKUlT_T0_SN_SS_E_clISG_SG_SI_SI_EEDaS16_S17_SN_SS_EUlS16_E_NS1_11comp_targetILNS1_3genE2ELNS1_11target_archE906ELNS1_3gpuE6ELNS1_3repE0EEENS1_47radix_sort_onesweep_sort_config_static_selectorELNS0_4arch9wavefront6targetE0EEEvSN_,@function
_ZN7rocprim17ROCPRIM_400000_NS6detail17trampoline_kernelINS0_14default_configENS1_35radix_sort_onesweep_config_selectorIjN6thrust23THRUST_200600_302600_NS5tupleIffNS6_9null_typeES8_S8_S8_S8_S8_S8_S8_EEEEZZNS1_29radix_sort_onesweep_iterationIS3_Lb0ENS6_6detail15normal_iteratorINS6_10device_ptrIjEEEESG_NSD_INSE_IS9_EEEESI_jNS0_19identity_decomposerENS1_16block_id_wrapperIjLb0EEEEE10hipError_tT1_PNSt15iterator_traitsISN_E10value_typeET2_T3_PNSO_IST_E10value_typeET4_T5_PSY_SZ_PNS1_23onesweep_lookback_stateEbbT6_jjT7_P12ihipStream_tbENKUlT_T0_SN_SS_E_clISG_SG_SI_SI_EEDaS16_S17_SN_SS_EUlS16_E_NS1_11comp_targetILNS1_3genE2ELNS1_11target_archE906ELNS1_3gpuE6ELNS1_3repE0EEENS1_47radix_sort_onesweep_sort_config_static_selectorELNS0_4arch9wavefront6targetE0EEEvSN_: ; @_ZN7rocprim17ROCPRIM_400000_NS6detail17trampoline_kernelINS0_14default_configENS1_35radix_sort_onesweep_config_selectorIjN6thrust23THRUST_200600_302600_NS5tupleIffNS6_9null_typeES8_S8_S8_S8_S8_S8_S8_EEEEZZNS1_29radix_sort_onesweep_iterationIS3_Lb0ENS6_6detail15normal_iteratorINS6_10device_ptrIjEEEESG_NSD_INSE_IS9_EEEESI_jNS0_19identity_decomposerENS1_16block_id_wrapperIjLb0EEEEE10hipError_tT1_PNSt15iterator_traitsISN_E10value_typeET2_T3_PNSO_IST_E10value_typeET4_T5_PSY_SZ_PNS1_23onesweep_lookback_stateEbbT6_jjT7_P12ihipStream_tbENKUlT_T0_SN_SS_E_clISG_SG_SI_SI_EEDaS16_S17_SN_SS_EUlS16_E_NS1_11comp_targetILNS1_3genE2ELNS1_11target_archE906ELNS1_3gpuE6ELNS1_3repE0EEENS1_47radix_sort_onesweep_sort_config_static_selectorELNS0_4arch9wavefront6targetE0EEEvSN_
; %bb.0:
	.section	.rodata,"a",@progbits
	.p2align	6, 0x0
	.amdhsa_kernel _ZN7rocprim17ROCPRIM_400000_NS6detail17trampoline_kernelINS0_14default_configENS1_35radix_sort_onesweep_config_selectorIjN6thrust23THRUST_200600_302600_NS5tupleIffNS6_9null_typeES8_S8_S8_S8_S8_S8_S8_EEEEZZNS1_29radix_sort_onesweep_iterationIS3_Lb0ENS6_6detail15normal_iteratorINS6_10device_ptrIjEEEESG_NSD_INSE_IS9_EEEESI_jNS0_19identity_decomposerENS1_16block_id_wrapperIjLb0EEEEE10hipError_tT1_PNSt15iterator_traitsISN_E10value_typeET2_T3_PNSO_IST_E10value_typeET4_T5_PSY_SZ_PNS1_23onesweep_lookback_stateEbbT6_jjT7_P12ihipStream_tbENKUlT_T0_SN_SS_E_clISG_SG_SI_SI_EEDaS16_S17_SN_SS_EUlS16_E_NS1_11comp_targetILNS1_3genE2ELNS1_11target_archE906ELNS1_3gpuE6ELNS1_3repE0EEENS1_47radix_sort_onesweep_sort_config_static_selectorELNS0_4arch9wavefront6targetE0EEEvSN_
		.amdhsa_group_segment_fixed_size 0
		.amdhsa_private_segment_fixed_size 0
		.amdhsa_kernarg_size 88
		.amdhsa_user_sgpr_count 6
		.amdhsa_user_sgpr_private_segment_buffer 1
		.amdhsa_user_sgpr_dispatch_ptr 0
		.amdhsa_user_sgpr_queue_ptr 0
		.amdhsa_user_sgpr_kernarg_segment_ptr 1
		.amdhsa_user_sgpr_dispatch_id 0
		.amdhsa_user_sgpr_flat_scratch_init 0
		.amdhsa_user_sgpr_private_segment_size 0
		.amdhsa_wavefront_size32 1
		.amdhsa_uses_dynamic_stack 0
		.amdhsa_system_sgpr_private_segment_wavefront_offset 0
		.amdhsa_system_sgpr_workgroup_id_x 1
		.amdhsa_system_sgpr_workgroup_id_y 0
		.amdhsa_system_sgpr_workgroup_id_z 0
		.amdhsa_system_sgpr_workgroup_info 0
		.amdhsa_system_vgpr_workitem_id 0
		.amdhsa_next_free_vgpr 1
		.amdhsa_next_free_sgpr 1
		.amdhsa_reserve_vcc 0
		.amdhsa_reserve_flat_scratch 0
		.amdhsa_float_round_mode_32 0
		.amdhsa_float_round_mode_16_64 0
		.amdhsa_float_denorm_mode_32 3
		.amdhsa_float_denorm_mode_16_64 3
		.amdhsa_dx10_clamp 1
		.amdhsa_ieee_mode 1
		.amdhsa_fp16_overflow 0
		.amdhsa_workgroup_processor_mode 1
		.amdhsa_memory_ordered 1
		.amdhsa_forward_progress 1
		.amdhsa_shared_vgpr_count 0
		.amdhsa_exception_fp_ieee_invalid_op 0
		.amdhsa_exception_fp_denorm_src 0
		.amdhsa_exception_fp_ieee_div_zero 0
		.amdhsa_exception_fp_ieee_overflow 0
		.amdhsa_exception_fp_ieee_underflow 0
		.amdhsa_exception_fp_ieee_inexact 0
		.amdhsa_exception_int_div_zero 0
	.end_amdhsa_kernel
	.section	.text._ZN7rocprim17ROCPRIM_400000_NS6detail17trampoline_kernelINS0_14default_configENS1_35radix_sort_onesweep_config_selectorIjN6thrust23THRUST_200600_302600_NS5tupleIffNS6_9null_typeES8_S8_S8_S8_S8_S8_S8_EEEEZZNS1_29radix_sort_onesweep_iterationIS3_Lb0ENS6_6detail15normal_iteratorINS6_10device_ptrIjEEEESG_NSD_INSE_IS9_EEEESI_jNS0_19identity_decomposerENS1_16block_id_wrapperIjLb0EEEEE10hipError_tT1_PNSt15iterator_traitsISN_E10value_typeET2_T3_PNSO_IST_E10value_typeET4_T5_PSY_SZ_PNS1_23onesweep_lookback_stateEbbT6_jjT7_P12ihipStream_tbENKUlT_T0_SN_SS_E_clISG_SG_SI_SI_EEDaS16_S17_SN_SS_EUlS16_E_NS1_11comp_targetILNS1_3genE2ELNS1_11target_archE906ELNS1_3gpuE6ELNS1_3repE0EEENS1_47radix_sort_onesweep_sort_config_static_selectorELNS0_4arch9wavefront6targetE0EEEvSN_,"axG",@progbits,_ZN7rocprim17ROCPRIM_400000_NS6detail17trampoline_kernelINS0_14default_configENS1_35radix_sort_onesweep_config_selectorIjN6thrust23THRUST_200600_302600_NS5tupleIffNS6_9null_typeES8_S8_S8_S8_S8_S8_S8_EEEEZZNS1_29radix_sort_onesweep_iterationIS3_Lb0ENS6_6detail15normal_iteratorINS6_10device_ptrIjEEEESG_NSD_INSE_IS9_EEEESI_jNS0_19identity_decomposerENS1_16block_id_wrapperIjLb0EEEEE10hipError_tT1_PNSt15iterator_traitsISN_E10value_typeET2_T3_PNSO_IST_E10value_typeET4_T5_PSY_SZ_PNS1_23onesweep_lookback_stateEbbT6_jjT7_P12ihipStream_tbENKUlT_T0_SN_SS_E_clISG_SG_SI_SI_EEDaS16_S17_SN_SS_EUlS16_E_NS1_11comp_targetILNS1_3genE2ELNS1_11target_archE906ELNS1_3gpuE6ELNS1_3repE0EEENS1_47radix_sort_onesweep_sort_config_static_selectorELNS0_4arch9wavefront6targetE0EEEvSN_,comdat
.Lfunc_end205:
	.size	_ZN7rocprim17ROCPRIM_400000_NS6detail17trampoline_kernelINS0_14default_configENS1_35radix_sort_onesweep_config_selectorIjN6thrust23THRUST_200600_302600_NS5tupleIffNS6_9null_typeES8_S8_S8_S8_S8_S8_S8_EEEEZZNS1_29radix_sort_onesweep_iterationIS3_Lb0ENS6_6detail15normal_iteratorINS6_10device_ptrIjEEEESG_NSD_INSE_IS9_EEEESI_jNS0_19identity_decomposerENS1_16block_id_wrapperIjLb0EEEEE10hipError_tT1_PNSt15iterator_traitsISN_E10value_typeET2_T3_PNSO_IST_E10value_typeET4_T5_PSY_SZ_PNS1_23onesweep_lookback_stateEbbT6_jjT7_P12ihipStream_tbENKUlT_T0_SN_SS_E_clISG_SG_SI_SI_EEDaS16_S17_SN_SS_EUlS16_E_NS1_11comp_targetILNS1_3genE2ELNS1_11target_archE906ELNS1_3gpuE6ELNS1_3repE0EEENS1_47radix_sort_onesweep_sort_config_static_selectorELNS0_4arch9wavefront6targetE0EEEvSN_, .Lfunc_end205-_ZN7rocprim17ROCPRIM_400000_NS6detail17trampoline_kernelINS0_14default_configENS1_35radix_sort_onesweep_config_selectorIjN6thrust23THRUST_200600_302600_NS5tupleIffNS6_9null_typeES8_S8_S8_S8_S8_S8_S8_EEEEZZNS1_29radix_sort_onesweep_iterationIS3_Lb0ENS6_6detail15normal_iteratorINS6_10device_ptrIjEEEESG_NSD_INSE_IS9_EEEESI_jNS0_19identity_decomposerENS1_16block_id_wrapperIjLb0EEEEE10hipError_tT1_PNSt15iterator_traitsISN_E10value_typeET2_T3_PNSO_IST_E10value_typeET4_T5_PSY_SZ_PNS1_23onesweep_lookback_stateEbbT6_jjT7_P12ihipStream_tbENKUlT_T0_SN_SS_E_clISG_SG_SI_SI_EEDaS16_S17_SN_SS_EUlS16_E_NS1_11comp_targetILNS1_3genE2ELNS1_11target_archE906ELNS1_3gpuE6ELNS1_3repE0EEENS1_47radix_sort_onesweep_sort_config_static_selectorELNS0_4arch9wavefront6targetE0EEEvSN_
                                        ; -- End function
	.set _ZN7rocprim17ROCPRIM_400000_NS6detail17trampoline_kernelINS0_14default_configENS1_35radix_sort_onesweep_config_selectorIjN6thrust23THRUST_200600_302600_NS5tupleIffNS6_9null_typeES8_S8_S8_S8_S8_S8_S8_EEEEZZNS1_29radix_sort_onesweep_iterationIS3_Lb0ENS6_6detail15normal_iteratorINS6_10device_ptrIjEEEESG_NSD_INSE_IS9_EEEESI_jNS0_19identity_decomposerENS1_16block_id_wrapperIjLb0EEEEE10hipError_tT1_PNSt15iterator_traitsISN_E10value_typeET2_T3_PNSO_IST_E10value_typeET4_T5_PSY_SZ_PNS1_23onesweep_lookback_stateEbbT6_jjT7_P12ihipStream_tbENKUlT_T0_SN_SS_E_clISG_SG_SI_SI_EEDaS16_S17_SN_SS_EUlS16_E_NS1_11comp_targetILNS1_3genE2ELNS1_11target_archE906ELNS1_3gpuE6ELNS1_3repE0EEENS1_47radix_sort_onesweep_sort_config_static_selectorELNS0_4arch9wavefront6targetE0EEEvSN_.num_vgpr, 0
	.set _ZN7rocprim17ROCPRIM_400000_NS6detail17trampoline_kernelINS0_14default_configENS1_35radix_sort_onesweep_config_selectorIjN6thrust23THRUST_200600_302600_NS5tupleIffNS6_9null_typeES8_S8_S8_S8_S8_S8_S8_EEEEZZNS1_29radix_sort_onesweep_iterationIS3_Lb0ENS6_6detail15normal_iteratorINS6_10device_ptrIjEEEESG_NSD_INSE_IS9_EEEESI_jNS0_19identity_decomposerENS1_16block_id_wrapperIjLb0EEEEE10hipError_tT1_PNSt15iterator_traitsISN_E10value_typeET2_T3_PNSO_IST_E10value_typeET4_T5_PSY_SZ_PNS1_23onesweep_lookback_stateEbbT6_jjT7_P12ihipStream_tbENKUlT_T0_SN_SS_E_clISG_SG_SI_SI_EEDaS16_S17_SN_SS_EUlS16_E_NS1_11comp_targetILNS1_3genE2ELNS1_11target_archE906ELNS1_3gpuE6ELNS1_3repE0EEENS1_47radix_sort_onesweep_sort_config_static_selectorELNS0_4arch9wavefront6targetE0EEEvSN_.num_agpr, 0
	.set _ZN7rocprim17ROCPRIM_400000_NS6detail17trampoline_kernelINS0_14default_configENS1_35radix_sort_onesweep_config_selectorIjN6thrust23THRUST_200600_302600_NS5tupleIffNS6_9null_typeES8_S8_S8_S8_S8_S8_S8_EEEEZZNS1_29radix_sort_onesweep_iterationIS3_Lb0ENS6_6detail15normal_iteratorINS6_10device_ptrIjEEEESG_NSD_INSE_IS9_EEEESI_jNS0_19identity_decomposerENS1_16block_id_wrapperIjLb0EEEEE10hipError_tT1_PNSt15iterator_traitsISN_E10value_typeET2_T3_PNSO_IST_E10value_typeET4_T5_PSY_SZ_PNS1_23onesweep_lookback_stateEbbT6_jjT7_P12ihipStream_tbENKUlT_T0_SN_SS_E_clISG_SG_SI_SI_EEDaS16_S17_SN_SS_EUlS16_E_NS1_11comp_targetILNS1_3genE2ELNS1_11target_archE906ELNS1_3gpuE6ELNS1_3repE0EEENS1_47radix_sort_onesweep_sort_config_static_selectorELNS0_4arch9wavefront6targetE0EEEvSN_.numbered_sgpr, 0
	.set _ZN7rocprim17ROCPRIM_400000_NS6detail17trampoline_kernelINS0_14default_configENS1_35radix_sort_onesweep_config_selectorIjN6thrust23THRUST_200600_302600_NS5tupleIffNS6_9null_typeES8_S8_S8_S8_S8_S8_S8_EEEEZZNS1_29radix_sort_onesweep_iterationIS3_Lb0ENS6_6detail15normal_iteratorINS6_10device_ptrIjEEEESG_NSD_INSE_IS9_EEEESI_jNS0_19identity_decomposerENS1_16block_id_wrapperIjLb0EEEEE10hipError_tT1_PNSt15iterator_traitsISN_E10value_typeET2_T3_PNSO_IST_E10value_typeET4_T5_PSY_SZ_PNS1_23onesweep_lookback_stateEbbT6_jjT7_P12ihipStream_tbENKUlT_T0_SN_SS_E_clISG_SG_SI_SI_EEDaS16_S17_SN_SS_EUlS16_E_NS1_11comp_targetILNS1_3genE2ELNS1_11target_archE906ELNS1_3gpuE6ELNS1_3repE0EEENS1_47radix_sort_onesweep_sort_config_static_selectorELNS0_4arch9wavefront6targetE0EEEvSN_.num_named_barrier, 0
	.set _ZN7rocprim17ROCPRIM_400000_NS6detail17trampoline_kernelINS0_14default_configENS1_35radix_sort_onesweep_config_selectorIjN6thrust23THRUST_200600_302600_NS5tupleIffNS6_9null_typeES8_S8_S8_S8_S8_S8_S8_EEEEZZNS1_29radix_sort_onesweep_iterationIS3_Lb0ENS6_6detail15normal_iteratorINS6_10device_ptrIjEEEESG_NSD_INSE_IS9_EEEESI_jNS0_19identity_decomposerENS1_16block_id_wrapperIjLb0EEEEE10hipError_tT1_PNSt15iterator_traitsISN_E10value_typeET2_T3_PNSO_IST_E10value_typeET4_T5_PSY_SZ_PNS1_23onesweep_lookback_stateEbbT6_jjT7_P12ihipStream_tbENKUlT_T0_SN_SS_E_clISG_SG_SI_SI_EEDaS16_S17_SN_SS_EUlS16_E_NS1_11comp_targetILNS1_3genE2ELNS1_11target_archE906ELNS1_3gpuE6ELNS1_3repE0EEENS1_47radix_sort_onesweep_sort_config_static_selectorELNS0_4arch9wavefront6targetE0EEEvSN_.private_seg_size, 0
	.set _ZN7rocprim17ROCPRIM_400000_NS6detail17trampoline_kernelINS0_14default_configENS1_35radix_sort_onesweep_config_selectorIjN6thrust23THRUST_200600_302600_NS5tupleIffNS6_9null_typeES8_S8_S8_S8_S8_S8_S8_EEEEZZNS1_29radix_sort_onesweep_iterationIS3_Lb0ENS6_6detail15normal_iteratorINS6_10device_ptrIjEEEESG_NSD_INSE_IS9_EEEESI_jNS0_19identity_decomposerENS1_16block_id_wrapperIjLb0EEEEE10hipError_tT1_PNSt15iterator_traitsISN_E10value_typeET2_T3_PNSO_IST_E10value_typeET4_T5_PSY_SZ_PNS1_23onesweep_lookback_stateEbbT6_jjT7_P12ihipStream_tbENKUlT_T0_SN_SS_E_clISG_SG_SI_SI_EEDaS16_S17_SN_SS_EUlS16_E_NS1_11comp_targetILNS1_3genE2ELNS1_11target_archE906ELNS1_3gpuE6ELNS1_3repE0EEENS1_47radix_sort_onesweep_sort_config_static_selectorELNS0_4arch9wavefront6targetE0EEEvSN_.uses_vcc, 0
	.set _ZN7rocprim17ROCPRIM_400000_NS6detail17trampoline_kernelINS0_14default_configENS1_35radix_sort_onesweep_config_selectorIjN6thrust23THRUST_200600_302600_NS5tupleIffNS6_9null_typeES8_S8_S8_S8_S8_S8_S8_EEEEZZNS1_29radix_sort_onesweep_iterationIS3_Lb0ENS6_6detail15normal_iteratorINS6_10device_ptrIjEEEESG_NSD_INSE_IS9_EEEESI_jNS0_19identity_decomposerENS1_16block_id_wrapperIjLb0EEEEE10hipError_tT1_PNSt15iterator_traitsISN_E10value_typeET2_T3_PNSO_IST_E10value_typeET4_T5_PSY_SZ_PNS1_23onesweep_lookback_stateEbbT6_jjT7_P12ihipStream_tbENKUlT_T0_SN_SS_E_clISG_SG_SI_SI_EEDaS16_S17_SN_SS_EUlS16_E_NS1_11comp_targetILNS1_3genE2ELNS1_11target_archE906ELNS1_3gpuE6ELNS1_3repE0EEENS1_47radix_sort_onesweep_sort_config_static_selectorELNS0_4arch9wavefront6targetE0EEEvSN_.uses_flat_scratch, 0
	.set _ZN7rocprim17ROCPRIM_400000_NS6detail17trampoline_kernelINS0_14default_configENS1_35radix_sort_onesweep_config_selectorIjN6thrust23THRUST_200600_302600_NS5tupleIffNS6_9null_typeES8_S8_S8_S8_S8_S8_S8_EEEEZZNS1_29radix_sort_onesweep_iterationIS3_Lb0ENS6_6detail15normal_iteratorINS6_10device_ptrIjEEEESG_NSD_INSE_IS9_EEEESI_jNS0_19identity_decomposerENS1_16block_id_wrapperIjLb0EEEEE10hipError_tT1_PNSt15iterator_traitsISN_E10value_typeET2_T3_PNSO_IST_E10value_typeET4_T5_PSY_SZ_PNS1_23onesweep_lookback_stateEbbT6_jjT7_P12ihipStream_tbENKUlT_T0_SN_SS_E_clISG_SG_SI_SI_EEDaS16_S17_SN_SS_EUlS16_E_NS1_11comp_targetILNS1_3genE2ELNS1_11target_archE906ELNS1_3gpuE6ELNS1_3repE0EEENS1_47radix_sort_onesweep_sort_config_static_selectorELNS0_4arch9wavefront6targetE0EEEvSN_.has_dyn_sized_stack, 0
	.set _ZN7rocprim17ROCPRIM_400000_NS6detail17trampoline_kernelINS0_14default_configENS1_35radix_sort_onesweep_config_selectorIjN6thrust23THRUST_200600_302600_NS5tupleIffNS6_9null_typeES8_S8_S8_S8_S8_S8_S8_EEEEZZNS1_29radix_sort_onesweep_iterationIS3_Lb0ENS6_6detail15normal_iteratorINS6_10device_ptrIjEEEESG_NSD_INSE_IS9_EEEESI_jNS0_19identity_decomposerENS1_16block_id_wrapperIjLb0EEEEE10hipError_tT1_PNSt15iterator_traitsISN_E10value_typeET2_T3_PNSO_IST_E10value_typeET4_T5_PSY_SZ_PNS1_23onesweep_lookback_stateEbbT6_jjT7_P12ihipStream_tbENKUlT_T0_SN_SS_E_clISG_SG_SI_SI_EEDaS16_S17_SN_SS_EUlS16_E_NS1_11comp_targetILNS1_3genE2ELNS1_11target_archE906ELNS1_3gpuE6ELNS1_3repE0EEENS1_47radix_sort_onesweep_sort_config_static_selectorELNS0_4arch9wavefront6targetE0EEEvSN_.has_recursion, 0
	.set _ZN7rocprim17ROCPRIM_400000_NS6detail17trampoline_kernelINS0_14default_configENS1_35radix_sort_onesweep_config_selectorIjN6thrust23THRUST_200600_302600_NS5tupleIffNS6_9null_typeES8_S8_S8_S8_S8_S8_S8_EEEEZZNS1_29radix_sort_onesweep_iterationIS3_Lb0ENS6_6detail15normal_iteratorINS6_10device_ptrIjEEEESG_NSD_INSE_IS9_EEEESI_jNS0_19identity_decomposerENS1_16block_id_wrapperIjLb0EEEEE10hipError_tT1_PNSt15iterator_traitsISN_E10value_typeET2_T3_PNSO_IST_E10value_typeET4_T5_PSY_SZ_PNS1_23onesweep_lookback_stateEbbT6_jjT7_P12ihipStream_tbENKUlT_T0_SN_SS_E_clISG_SG_SI_SI_EEDaS16_S17_SN_SS_EUlS16_E_NS1_11comp_targetILNS1_3genE2ELNS1_11target_archE906ELNS1_3gpuE6ELNS1_3repE0EEENS1_47radix_sort_onesweep_sort_config_static_selectorELNS0_4arch9wavefront6targetE0EEEvSN_.has_indirect_call, 0
	.section	.AMDGPU.csdata,"",@progbits
; Kernel info:
; codeLenInByte = 0
; TotalNumSgprs: 0
; NumVgprs: 0
; ScratchSize: 0
; MemoryBound: 0
; FloatMode: 240
; IeeeMode: 1
; LDSByteSize: 0 bytes/workgroup (compile time only)
; SGPRBlocks: 0
; VGPRBlocks: 0
; NumSGPRsForWavesPerEU: 1
; NumVGPRsForWavesPerEU: 1
; Occupancy: 16
; WaveLimiterHint : 0
; COMPUTE_PGM_RSRC2:SCRATCH_EN: 0
; COMPUTE_PGM_RSRC2:USER_SGPR: 6
; COMPUTE_PGM_RSRC2:TRAP_HANDLER: 0
; COMPUTE_PGM_RSRC2:TGID_X_EN: 1
; COMPUTE_PGM_RSRC2:TGID_Y_EN: 0
; COMPUTE_PGM_RSRC2:TGID_Z_EN: 0
; COMPUTE_PGM_RSRC2:TIDIG_COMP_CNT: 0
	.section	.text._ZN7rocprim17ROCPRIM_400000_NS6detail17trampoline_kernelINS0_14default_configENS1_35radix_sort_onesweep_config_selectorIjN6thrust23THRUST_200600_302600_NS5tupleIffNS6_9null_typeES8_S8_S8_S8_S8_S8_S8_EEEEZZNS1_29radix_sort_onesweep_iterationIS3_Lb0ENS6_6detail15normal_iteratorINS6_10device_ptrIjEEEESG_NSD_INSE_IS9_EEEESI_jNS0_19identity_decomposerENS1_16block_id_wrapperIjLb0EEEEE10hipError_tT1_PNSt15iterator_traitsISN_E10value_typeET2_T3_PNSO_IST_E10value_typeET4_T5_PSY_SZ_PNS1_23onesweep_lookback_stateEbbT6_jjT7_P12ihipStream_tbENKUlT_T0_SN_SS_E_clISG_SG_SI_SI_EEDaS16_S17_SN_SS_EUlS16_E_NS1_11comp_targetILNS1_3genE4ELNS1_11target_archE910ELNS1_3gpuE8ELNS1_3repE0EEENS1_47radix_sort_onesweep_sort_config_static_selectorELNS0_4arch9wavefront6targetE0EEEvSN_,"axG",@progbits,_ZN7rocprim17ROCPRIM_400000_NS6detail17trampoline_kernelINS0_14default_configENS1_35radix_sort_onesweep_config_selectorIjN6thrust23THRUST_200600_302600_NS5tupleIffNS6_9null_typeES8_S8_S8_S8_S8_S8_S8_EEEEZZNS1_29radix_sort_onesweep_iterationIS3_Lb0ENS6_6detail15normal_iteratorINS6_10device_ptrIjEEEESG_NSD_INSE_IS9_EEEESI_jNS0_19identity_decomposerENS1_16block_id_wrapperIjLb0EEEEE10hipError_tT1_PNSt15iterator_traitsISN_E10value_typeET2_T3_PNSO_IST_E10value_typeET4_T5_PSY_SZ_PNS1_23onesweep_lookback_stateEbbT6_jjT7_P12ihipStream_tbENKUlT_T0_SN_SS_E_clISG_SG_SI_SI_EEDaS16_S17_SN_SS_EUlS16_E_NS1_11comp_targetILNS1_3genE4ELNS1_11target_archE910ELNS1_3gpuE8ELNS1_3repE0EEENS1_47radix_sort_onesweep_sort_config_static_selectorELNS0_4arch9wavefront6targetE0EEEvSN_,comdat
	.protected	_ZN7rocprim17ROCPRIM_400000_NS6detail17trampoline_kernelINS0_14default_configENS1_35radix_sort_onesweep_config_selectorIjN6thrust23THRUST_200600_302600_NS5tupleIffNS6_9null_typeES8_S8_S8_S8_S8_S8_S8_EEEEZZNS1_29radix_sort_onesweep_iterationIS3_Lb0ENS6_6detail15normal_iteratorINS6_10device_ptrIjEEEESG_NSD_INSE_IS9_EEEESI_jNS0_19identity_decomposerENS1_16block_id_wrapperIjLb0EEEEE10hipError_tT1_PNSt15iterator_traitsISN_E10value_typeET2_T3_PNSO_IST_E10value_typeET4_T5_PSY_SZ_PNS1_23onesweep_lookback_stateEbbT6_jjT7_P12ihipStream_tbENKUlT_T0_SN_SS_E_clISG_SG_SI_SI_EEDaS16_S17_SN_SS_EUlS16_E_NS1_11comp_targetILNS1_3genE4ELNS1_11target_archE910ELNS1_3gpuE8ELNS1_3repE0EEENS1_47radix_sort_onesweep_sort_config_static_selectorELNS0_4arch9wavefront6targetE0EEEvSN_ ; -- Begin function _ZN7rocprim17ROCPRIM_400000_NS6detail17trampoline_kernelINS0_14default_configENS1_35radix_sort_onesweep_config_selectorIjN6thrust23THRUST_200600_302600_NS5tupleIffNS6_9null_typeES8_S8_S8_S8_S8_S8_S8_EEEEZZNS1_29radix_sort_onesweep_iterationIS3_Lb0ENS6_6detail15normal_iteratorINS6_10device_ptrIjEEEESG_NSD_INSE_IS9_EEEESI_jNS0_19identity_decomposerENS1_16block_id_wrapperIjLb0EEEEE10hipError_tT1_PNSt15iterator_traitsISN_E10value_typeET2_T3_PNSO_IST_E10value_typeET4_T5_PSY_SZ_PNS1_23onesweep_lookback_stateEbbT6_jjT7_P12ihipStream_tbENKUlT_T0_SN_SS_E_clISG_SG_SI_SI_EEDaS16_S17_SN_SS_EUlS16_E_NS1_11comp_targetILNS1_3genE4ELNS1_11target_archE910ELNS1_3gpuE8ELNS1_3repE0EEENS1_47radix_sort_onesweep_sort_config_static_selectorELNS0_4arch9wavefront6targetE0EEEvSN_
	.globl	_ZN7rocprim17ROCPRIM_400000_NS6detail17trampoline_kernelINS0_14default_configENS1_35radix_sort_onesweep_config_selectorIjN6thrust23THRUST_200600_302600_NS5tupleIffNS6_9null_typeES8_S8_S8_S8_S8_S8_S8_EEEEZZNS1_29radix_sort_onesweep_iterationIS3_Lb0ENS6_6detail15normal_iteratorINS6_10device_ptrIjEEEESG_NSD_INSE_IS9_EEEESI_jNS0_19identity_decomposerENS1_16block_id_wrapperIjLb0EEEEE10hipError_tT1_PNSt15iterator_traitsISN_E10value_typeET2_T3_PNSO_IST_E10value_typeET4_T5_PSY_SZ_PNS1_23onesweep_lookback_stateEbbT6_jjT7_P12ihipStream_tbENKUlT_T0_SN_SS_E_clISG_SG_SI_SI_EEDaS16_S17_SN_SS_EUlS16_E_NS1_11comp_targetILNS1_3genE4ELNS1_11target_archE910ELNS1_3gpuE8ELNS1_3repE0EEENS1_47radix_sort_onesweep_sort_config_static_selectorELNS0_4arch9wavefront6targetE0EEEvSN_
	.p2align	8
	.type	_ZN7rocprim17ROCPRIM_400000_NS6detail17trampoline_kernelINS0_14default_configENS1_35radix_sort_onesweep_config_selectorIjN6thrust23THRUST_200600_302600_NS5tupleIffNS6_9null_typeES8_S8_S8_S8_S8_S8_S8_EEEEZZNS1_29radix_sort_onesweep_iterationIS3_Lb0ENS6_6detail15normal_iteratorINS6_10device_ptrIjEEEESG_NSD_INSE_IS9_EEEESI_jNS0_19identity_decomposerENS1_16block_id_wrapperIjLb0EEEEE10hipError_tT1_PNSt15iterator_traitsISN_E10value_typeET2_T3_PNSO_IST_E10value_typeET4_T5_PSY_SZ_PNS1_23onesweep_lookback_stateEbbT6_jjT7_P12ihipStream_tbENKUlT_T0_SN_SS_E_clISG_SG_SI_SI_EEDaS16_S17_SN_SS_EUlS16_E_NS1_11comp_targetILNS1_3genE4ELNS1_11target_archE910ELNS1_3gpuE8ELNS1_3repE0EEENS1_47radix_sort_onesweep_sort_config_static_selectorELNS0_4arch9wavefront6targetE0EEEvSN_,@function
_ZN7rocprim17ROCPRIM_400000_NS6detail17trampoline_kernelINS0_14default_configENS1_35radix_sort_onesweep_config_selectorIjN6thrust23THRUST_200600_302600_NS5tupleIffNS6_9null_typeES8_S8_S8_S8_S8_S8_S8_EEEEZZNS1_29radix_sort_onesweep_iterationIS3_Lb0ENS6_6detail15normal_iteratorINS6_10device_ptrIjEEEESG_NSD_INSE_IS9_EEEESI_jNS0_19identity_decomposerENS1_16block_id_wrapperIjLb0EEEEE10hipError_tT1_PNSt15iterator_traitsISN_E10value_typeET2_T3_PNSO_IST_E10value_typeET4_T5_PSY_SZ_PNS1_23onesweep_lookback_stateEbbT6_jjT7_P12ihipStream_tbENKUlT_T0_SN_SS_E_clISG_SG_SI_SI_EEDaS16_S17_SN_SS_EUlS16_E_NS1_11comp_targetILNS1_3genE4ELNS1_11target_archE910ELNS1_3gpuE8ELNS1_3repE0EEENS1_47radix_sort_onesweep_sort_config_static_selectorELNS0_4arch9wavefront6targetE0EEEvSN_: ; @_ZN7rocprim17ROCPRIM_400000_NS6detail17trampoline_kernelINS0_14default_configENS1_35radix_sort_onesweep_config_selectorIjN6thrust23THRUST_200600_302600_NS5tupleIffNS6_9null_typeES8_S8_S8_S8_S8_S8_S8_EEEEZZNS1_29radix_sort_onesweep_iterationIS3_Lb0ENS6_6detail15normal_iteratorINS6_10device_ptrIjEEEESG_NSD_INSE_IS9_EEEESI_jNS0_19identity_decomposerENS1_16block_id_wrapperIjLb0EEEEE10hipError_tT1_PNSt15iterator_traitsISN_E10value_typeET2_T3_PNSO_IST_E10value_typeET4_T5_PSY_SZ_PNS1_23onesweep_lookback_stateEbbT6_jjT7_P12ihipStream_tbENKUlT_T0_SN_SS_E_clISG_SG_SI_SI_EEDaS16_S17_SN_SS_EUlS16_E_NS1_11comp_targetILNS1_3genE4ELNS1_11target_archE910ELNS1_3gpuE8ELNS1_3repE0EEENS1_47radix_sort_onesweep_sort_config_static_selectorELNS0_4arch9wavefront6targetE0EEEvSN_
; %bb.0:
	.section	.rodata,"a",@progbits
	.p2align	6, 0x0
	.amdhsa_kernel _ZN7rocprim17ROCPRIM_400000_NS6detail17trampoline_kernelINS0_14default_configENS1_35radix_sort_onesweep_config_selectorIjN6thrust23THRUST_200600_302600_NS5tupleIffNS6_9null_typeES8_S8_S8_S8_S8_S8_S8_EEEEZZNS1_29radix_sort_onesweep_iterationIS3_Lb0ENS6_6detail15normal_iteratorINS6_10device_ptrIjEEEESG_NSD_INSE_IS9_EEEESI_jNS0_19identity_decomposerENS1_16block_id_wrapperIjLb0EEEEE10hipError_tT1_PNSt15iterator_traitsISN_E10value_typeET2_T3_PNSO_IST_E10value_typeET4_T5_PSY_SZ_PNS1_23onesweep_lookback_stateEbbT6_jjT7_P12ihipStream_tbENKUlT_T0_SN_SS_E_clISG_SG_SI_SI_EEDaS16_S17_SN_SS_EUlS16_E_NS1_11comp_targetILNS1_3genE4ELNS1_11target_archE910ELNS1_3gpuE8ELNS1_3repE0EEENS1_47radix_sort_onesweep_sort_config_static_selectorELNS0_4arch9wavefront6targetE0EEEvSN_
		.amdhsa_group_segment_fixed_size 0
		.amdhsa_private_segment_fixed_size 0
		.amdhsa_kernarg_size 88
		.amdhsa_user_sgpr_count 6
		.amdhsa_user_sgpr_private_segment_buffer 1
		.amdhsa_user_sgpr_dispatch_ptr 0
		.amdhsa_user_sgpr_queue_ptr 0
		.amdhsa_user_sgpr_kernarg_segment_ptr 1
		.amdhsa_user_sgpr_dispatch_id 0
		.amdhsa_user_sgpr_flat_scratch_init 0
		.amdhsa_user_sgpr_private_segment_size 0
		.amdhsa_wavefront_size32 1
		.amdhsa_uses_dynamic_stack 0
		.amdhsa_system_sgpr_private_segment_wavefront_offset 0
		.amdhsa_system_sgpr_workgroup_id_x 1
		.amdhsa_system_sgpr_workgroup_id_y 0
		.amdhsa_system_sgpr_workgroup_id_z 0
		.amdhsa_system_sgpr_workgroup_info 0
		.amdhsa_system_vgpr_workitem_id 0
		.amdhsa_next_free_vgpr 1
		.amdhsa_next_free_sgpr 1
		.amdhsa_reserve_vcc 0
		.amdhsa_reserve_flat_scratch 0
		.amdhsa_float_round_mode_32 0
		.amdhsa_float_round_mode_16_64 0
		.amdhsa_float_denorm_mode_32 3
		.amdhsa_float_denorm_mode_16_64 3
		.amdhsa_dx10_clamp 1
		.amdhsa_ieee_mode 1
		.amdhsa_fp16_overflow 0
		.amdhsa_workgroup_processor_mode 1
		.amdhsa_memory_ordered 1
		.amdhsa_forward_progress 1
		.amdhsa_shared_vgpr_count 0
		.amdhsa_exception_fp_ieee_invalid_op 0
		.amdhsa_exception_fp_denorm_src 0
		.amdhsa_exception_fp_ieee_div_zero 0
		.amdhsa_exception_fp_ieee_overflow 0
		.amdhsa_exception_fp_ieee_underflow 0
		.amdhsa_exception_fp_ieee_inexact 0
		.amdhsa_exception_int_div_zero 0
	.end_amdhsa_kernel
	.section	.text._ZN7rocprim17ROCPRIM_400000_NS6detail17trampoline_kernelINS0_14default_configENS1_35radix_sort_onesweep_config_selectorIjN6thrust23THRUST_200600_302600_NS5tupleIffNS6_9null_typeES8_S8_S8_S8_S8_S8_S8_EEEEZZNS1_29radix_sort_onesweep_iterationIS3_Lb0ENS6_6detail15normal_iteratorINS6_10device_ptrIjEEEESG_NSD_INSE_IS9_EEEESI_jNS0_19identity_decomposerENS1_16block_id_wrapperIjLb0EEEEE10hipError_tT1_PNSt15iterator_traitsISN_E10value_typeET2_T3_PNSO_IST_E10value_typeET4_T5_PSY_SZ_PNS1_23onesweep_lookback_stateEbbT6_jjT7_P12ihipStream_tbENKUlT_T0_SN_SS_E_clISG_SG_SI_SI_EEDaS16_S17_SN_SS_EUlS16_E_NS1_11comp_targetILNS1_3genE4ELNS1_11target_archE910ELNS1_3gpuE8ELNS1_3repE0EEENS1_47radix_sort_onesweep_sort_config_static_selectorELNS0_4arch9wavefront6targetE0EEEvSN_,"axG",@progbits,_ZN7rocprim17ROCPRIM_400000_NS6detail17trampoline_kernelINS0_14default_configENS1_35radix_sort_onesweep_config_selectorIjN6thrust23THRUST_200600_302600_NS5tupleIffNS6_9null_typeES8_S8_S8_S8_S8_S8_S8_EEEEZZNS1_29radix_sort_onesweep_iterationIS3_Lb0ENS6_6detail15normal_iteratorINS6_10device_ptrIjEEEESG_NSD_INSE_IS9_EEEESI_jNS0_19identity_decomposerENS1_16block_id_wrapperIjLb0EEEEE10hipError_tT1_PNSt15iterator_traitsISN_E10value_typeET2_T3_PNSO_IST_E10value_typeET4_T5_PSY_SZ_PNS1_23onesweep_lookback_stateEbbT6_jjT7_P12ihipStream_tbENKUlT_T0_SN_SS_E_clISG_SG_SI_SI_EEDaS16_S17_SN_SS_EUlS16_E_NS1_11comp_targetILNS1_3genE4ELNS1_11target_archE910ELNS1_3gpuE8ELNS1_3repE0EEENS1_47radix_sort_onesweep_sort_config_static_selectorELNS0_4arch9wavefront6targetE0EEEvSN_,comdat
.Lfunc_end206:
	.size	_ZN7rocprim17ROCPRIM_400000_NS6detail17trampoline_kernelINS0_14default_configENS1_35radix_sort_onesweep_config_selectorIjN6thrust23THRUST_200600_302600_NS5tupleIffNS6_9null_typeES8_S8_S8_S8_S8_S8_S8_EEEEZZNS1_29radix_sort_onesweep_iterationIS3_Lb0ENS6_6detail15normal_iteratorINS6_10device_ptrIjEEEESG_NSD_INSE_IS9_EEEESI_jNS0_19identity_decomposerENS1_16block_id_wrapperIjLb0EEEEE10hipError_tT1_PNSt15iterator_traitsISN_E10value_typeET2_T3_PNSO_IST_E10value_typeET4_T5_PSY_SZ_PNS1_23onesweep_lookback_stateEbbT6_jjT7_P12ihipStream_tbENKUlT_T0_SN_SS_E_clISG_SG_SI_SI_EEDaS16_S17_SN_SS_EUlS16_E_NS1_11comp_targetILNS1_3genE4ELNS1_11target_archE910ELNS1_3gpuE8ELNS1_3repE0EEENS1_47radix_sort_onesweep_sort_config_static_selectorELNS0_4arch9wavefront6targetE0EEEvSN_, .Lfunc_end206-_ZN7rocprim17ROCPRIM_400000_NS6detail17trampoline_kernelINS0_14default_configENS1_35radix_sort_onesweep_config_selectorIjN6thrust23THRUST_200600_302600_NS5tupleIffNS6_9null_typeES8_S8_S8_S8_S8_S8_S8_EEEEZZNS1_29radix_sort_onesweep_iterationIS3_Lb0ENS6_6detail15normal_iteratorINS6_10device_ptrIjEEEESG_NSD_INSE_IS9_EEEESI_jNS0_19identity_decomposerENS1_16block_id_wrapperIjLb0EEEEE10hipError_tT1_PNSt15iterator_traitsISN_E10value_typeET2_T3_PNSO_IST_E10value_typeET4_T5_PSY_SZ_PNS1_23onesweep_lookback_stateEbbT6_jjT7_P12ihipStream_tbENKUlT_T0_SN_SS_E_clISG_SG_SI_SI_EEDaS16_S17_SN_SS_EUlS16_E_NS1_11comp_targetILNS1_3genE4ELNS1_11target_archE910ELNS1_3gpuE8ELNS1_3repE0EEENS1_47radix_sort_onesweep_sort_config_static_selectorELNS0_4arch9wavefront6targetE0EEEvSN_
                                        ; -- End function
	.set _ZN7rocprim17ROCPRIM_400000_NS6detail17trampoline_kernelINS0_14default_configENS1_35radix_sort_onesweep_config_selectorIjN6thrust23THRUST_200600_302600_NS5tupleIffNS6_9null_typeES8_S8_S8_S8_S8_S8_S8_EEEEZZNS1_29radix_sort_onesweep_iterationIS3_Lb0ENS6_6detail15normal_iteratorINS6_10device_ptrIjEEEESG_NSD_INSE_IS9_EEEESI_jNS0_19identity_decomposerENS1_16block_id_wrapperIjLb0EEEEE10hipError_tT1_PNSt15iterator_traitsISN_E10value_typeET2_T3_PNSO_IST_E10value_typeET4_T5_PSY_SZ_PNS1_23onesweep_lookback_stateEbbT6_jjT7_P12ihipStream_tbENKUlT_T0_SN_SS_E_clISG_SG_SI_SI_EEDaS16_S17_SN_SS_EUlS16_E_NS1_11comp_targetILNS1_3genE4ELNS1_11target_archE910ELNS1_3gpuE8ELNS1_3repE0EEENS1_47radix_sort_onesweep_sort_config_static_selectorELNS0_4arch9wavefront6targetE0EEEvSN_.num_vgpr, 0
	.set _ZN7rocprim17ROCPRIM_400000_NS6detail17trampoline_kernelINS0_14default_configENS1_35radix_sort_onesweep_config_selectorIjN6thrust23THRUST_200600_302600_NS5tupleIffNS6_9null_typeES8_S8_S8_S8_S8_S8_S8_EEEEZZNS1_29radix_sort_onesweep_iterationIS3_Lb0ENS6_6detail15normal_iteratorINS6_10device_ptrIjEEEESG_NSD_INSE_IS9_EEEESI_jNS0_19identity_decomposerENS1_16block_id_wrapperIjLb0EEEEE10hipError_tT1_PNSt15iterator_traitsISN_E10value_typeET2_T3_PNSO_IST_E10value_typeET4_T5_PSY_SZ_PNS1_23onesweep_lookback_stateEbbT6_jjT7_P12ihipStream_tbENKUlT_T0_SN_SS_E_clISG_SG_SI_SI_EEDaS16_S17_SN_SS_EUlS16_E_NS1_11comp_targetILNS1_3genE4ELNS1_11target_archE910ELNS1_3gpuE8ELNS1_3repE0EEENS1_47radix_sort_onesweep_sort_config_static_selectorELNS0_4arch9wavefront6targetE0EEEvSN_.num_agpr, 0
	.set _ZN7rocprim17ROCPRIM_400000_NS6detail17trampoline_kernelINS0_14default_configENS1_35radix_sort_onesweep_config_selectorIjN6thrust23THRUST_200600_302600_NS5tupleIffNS6_9null_typeES8_S8_S8_S8_S8_S8_S8_EEEEZZNS1_29radix_sort_onesweep_iterationIS3_Lb0ENS6_6detail15normal_iteratorINS6_10device_ptrIjEEEESG_NSD_INSE_IS9_EEEESI_jNS0_19identity_decomposerENS1_16block_id_wrapperIjLb0EEEEE10hipError_tT1_PNSt15iterator_traitsISN_E10value_typeET2_T3_PNSO_IST_E10value_typeET4_T5_PSY_SZ_PNS1_23onesweep_lookback_stateEbbT6_jjT7_P12ihipStream_tbENKUlT_T0_SN_SS_E_clISG_SG_SI_SI_EEDaS16_S17_SN_SS_EUlS16_E_NS1_11comp_targetILNS1_3genE4ELNS1_11target_archE910ELNS1_3gpuE8ELNS1_3repE0EEENS1_47radix_sort_onesweep_sort_config_static_selectorELNS0_4arch9wavefront6targetE0EEEvSN_.numbered_sgpr, 0
	.set _ZN7rocprim17ROCPRIM_400000_NS6detail17trampoline_kernelINS0_14default_configENS1_35radix_sort_onesweep_config_selectorIjN6thrust23THRUST_200600_302600_NS5tupleIffNS6_9null_typeES8_S8_S8_S8_S8_S8_S8_EEEEZZNS1_29radix_sort_onesweep_iterationIS3_Lb0ENS6_6detail15normal_iteratorINS6_10device_ptrIjEEEESG_NSD_INSE_IS9_EEEESI_jNS0_19identity_decomposerENS1_16block_id_wrapperIjLb0EEEEE10hipError_tT1_PNSt15iterator_traitsISN_E10value_typeET2_T3_PNSO_IST_E10value_typeET4_T5_PSY_SZ_PNS1_23onesweep_lookback_stateEbbT6_jjT7_P12ihipStream_tbENKUlT_T0_SN_SS_E_clISG_SG_SI_SI_EEDaS16_S17_SN_SS_EUlS16_E_NS1_11comp_targetILNS1_3genE4ELNS1_11target_archE910ELNS1_3gpuE8ELNS1_3repE0EEENS1_47radix_sort_onesweep_sort_config_static_selectorELNS0_4arch9wavefront6targetE0EEEvSN_.num_named_barrier, 0
	.set _ZN7rocprim17ROCPRIM_400000_NS6detail17trampoline_kernelINS0_14default_configENS1_35radix_sort_onesweep_config_selectorIjN6thrust23THRUST_200600_302600_NS5tupleIffNS6_9null_typeES8_S8_S8_S8_S8_S8_S8_EEEEZZNS1_29radix_sort_onesweep_iterationIS3_Lb0ENS6_6detail15normal_iteratorINS6_10device_ptrIjEEEESG_NSD_INSE_IS9_EEEESI_jNS0_19identity_decomposerENS1_16block_id_wrapperIjLb0EEEEE10hipError_tT1_PNSt15iterator_traitsISN_E10value_typeET2_T3_PNSO_IST_E10value_typeET4_T5_PSY_SZ_PNS1_23onesweep_lookback_stateEbbT6_jjT7_P12ihipStream_tbENKUlT_T0_SN_SS_E_clISG_SG_SI_SI_EEDaS16_S17_SN_SS_EUlS16_E_NS1_11comp_targetILNS1_3genE4ELNS1_11target_archE910ELNS1_3gpuE8ELNS1_3repE0EEENS1_47radix_sort_onesweep_sort_config_static_selectorELNS0_4arch9wavefront6targetE0EEEvSN_.private_seg_size, 0
	.set _ZN7rocprim17ROCPRIM_400000_NS6detail17trampoline_kernelINS0_14default_configENS1_35radix_sort_onesweep_config_selectorIjN6thrust23THRUST_200600_302600_NS5tupleIffNS6_9null_typeES8_S8_S8_S8_S8_S8_S8_EEEEZZNS1_29radix_sort_onesweep_iterationIS3_Lb0ENS6_6detail15normal_iteratorINS6_10device_ptrIjEEEESG_NSD_INSE_IS9_EEEESI_jNS0_19identity_decomposerENS1_16block_id_wrapperIjLb0EEEEE10hipError_tT1_PNSt15iterator_traitsISN_E10value_typeET2_T3_PNSO_IST_E10value_typeET4_T5_PSY_SZ_PNS1_23onesweep_lookback_stateEbbT6_jjT7_P12ihipStream_tbENKUlT_T0_SN_SS_E_clISG_SG_SI_SI_EEDaS16_S17_SN_SS_EUlS16_E_NS1_11comp_targetILNS1_3genE4ELNS1_11target_archE910ELNS1_3gpuE8ELNS1_3repE0EEENS1_47radix_sort_onesweep_sort_config_static_selectorELNS0_4arch9wavefront6targetE0EEEvSN_.uses_vcc, 0
	.set _ZN7rocprim17ROCPRIM_400000_NS6detail17trampoline_kernelINS0_14default_configENS1_35radix_sort_onesweep_config_selectorIjN6thrust23THRUST_200600_302600_NS5tupleIffNS6_9null_typeES8_S8_S8_S8_S8_S8_S8_EEEEZZNS1_29radix_sort_onesweep_iterationIS3_Lb0ENS6_6detail15normal_iteratorINS6_10device_ptrIjEEEESG_NSD_INSE_IS9_EEEESI_jNS0_19identity_decomposerENS1_16block_id_wrapperIjLb0EEEEE10hipError_tT1_PNSt15iterator_traitsISN_E10value_typeET2_T3_PNSO_IST_E10value_typeET4_T5_PSY_SZ_PNS1_23onesweep_lookback_stateEbbT6_jjT7_P12ihipStream_tbENKUlT_T0_SN_SS_E_clISG_SG_SI_SI_EEDaS16_S17_SN_SS_EUlS16_E_NS1_11comp_targetILNS1_3genE4ELNS1_11target_archE910ELNS1_3gpuE8ELNS1_3repE0EEENS1_47radix_sort_onesweep_sort_config_static_selectorELNS0_4arch9wavefront6targetE0EEEvSN_.uses_flat_scratch, 0
	.set _ZN7rocprim17ROCPRIM_400000_NS6detail17trampoline_kernelINS0_14default_configENS1_35radix_sort_onesweep_config_selectorIjN6thrust23THRUST_200600_302600_NS5tupleIffNS6_9null_typeES8_S8_S8_S8_S8_S8_S8_EEEEZZNS1_29radix_sort_onesweep_iterationIS3_Lb0ENS6_6detail15normal_iteratorINS6_10device_ptrIjEEEESG_NSD_INSE_IS9_EEEESI_jNS0_19identity_decomposerENS1_16block_id_wrapperIjLb0EEEEE10hipError_tT1_PNSt15iterator_traitsISN_E10value_typeET2_T3_PNSO_IST_E10value_typeET4_T5_PSY_SZ_PNS1_23onesweep_lookback_stateEbbT6_jjT7_P12ihipStream_tbENKUlT_T0_SN_SS_E_clISG_SG_SI_SI_EEDaS16_S17_SN_SS_EUlS16_E_NS1_11comp_targetILNS1_3genE4ELNS1_11target_archE910ELNS1_3gpuE8ELNS1_3repE0EEENS1_47radix_sort_onesweep_sort_config_static_selectorELNS0_4arch9wavefront6targetE0EEEvSN_.has_dyn_sized_stack, 0
	.set _ZN7rocprim17ROCPRIM_400000_NS6detail17trampoline_kernelINS0_14default_configENS1_35radix_sort_onesweep_config_selectorIjN6thrust23THRUST_200600_302600_NS5tupleIffNS6_9null_typeES8_S8_S8_S8_S8_S8_S8_EEEEZZNS1_29radix_sort_onesweep_iterationIS3_Lb0ENS6_6detail15normal_iteratorINS6_10device_ptrIjEEEESG_NSD_INSE_IS9_EEEESI_jNS0_19identity_decomposerENS1_16block_id_wrapperIjLb0EEEEE10hipError_tT1_PNSt15iterator_traitsISN_E10value_typeET2_T3_PNSO_IST_E10value_typeET4_T5_PSY_SZ_PNS1_23onesweep_lookback_stateEbbT6_jjT7_P12ihipStream_tbENKUlT_T0_SN_SS_E_clISG_SG_SI_SI_EEDaS16_S17_SN_SS_EUlS16_E_NS1_11comp_targetILNS1_3genE4ELNS1_11target_archE910ELNS1_3gpuE8ELNS1_3repE0EEENS1_47radix_sort_onesweep_sort_config_static_selectorELNS0_4arch9wavefront6targetE0EEEvSN_.has_recursion, 0
	.set _ZN7rocprim17ROCPRIM_400000_NS6detail17trampoline_kernelINS0_14default_configENS1_35radix_sort_onesweep_config_selectorIjN6thrust23THRUST_200600_302600_NS5tupleIffNS6_9null_typeES8_S8_S8_S8_S8_S8_S8_EEEEZZNS1_29radix_sort_onesweep_iterationIS3_Lb0ENS6_6detail15normal_iteratorINS6_10device_ptrIjEEEESG_NSD_INSE_IS9_EEEESI_jNS0_19identity_decomposerENS1_16block_id_wrapperIjLb0EEEEE10hipError_tT1_PNSt15iterator_traitsISN_E10value_typeET2_T3_PNSO_IST_E10value_typeET4_T5_PSY_SZ_PNS1_23onesweep_lookback_stateEbbT6_jjT7_P12ihipStream_tbENKUlT_T0_SN_SS_E_clISG_SG_SI_SI_EEDaS16_S17_SN_SS_EUlS16_E_NS1_11comp_targetILNS1_3genE4ELNS1_11target_archE910ELNS1_3gpuE8ELNS1_3repE0EEENS1_47radix_sort_onesweep_sort_config_static_selectorELNS0_4arch9wavefront6targetE0EEEvSN_.has_indirect_call, 0
	.section	.AMDGPU.csdata,"",@progbits
; Kernel info:
; codeLenInByte = 0
; TotalNumSgprs: 0
; NumVgprs: 0
; ScratchSize: 0
; MemoryBound: 0
; FloatMode: 240
; IeeeMode: 1
; LDSByteSize: 0 bytes/workgroup (compile time only)
; SGPRBlocks: 0
; VGPRBlocks: 0
; NumSGPRsForWavesPerEU: 1
; NumVGPRsForWavesPerEU: 1
; Occupancy: 16
; WaveLimiterHint : 0
; COMPUTE_PGM_RSRC2:SCRATCH_EN: 0
; COMPUTE_PGM_RSRC2:USER_SGPR: 6
; COMPUTE_PGM_RSRC2:TRAP_HANDLER: 0
; COMPUTE_PGM_RSRC2:TGID_X_EN: 1
; COMPUTE_PGM_RSRC2:TGID_Y_EN: 0
; COMPUTE_PGM_RSRC2:TGID_Z_EN: 0
; COMPUTE_PGM_RSRC2:TIDIG_COMP_CNT: 0
	.section	.text._ZN7rocprim17ROCPRIM_400000_NS6detail17trampoline_kernelINS0_14default_configENS1_35radix_sort_onesweep_config_selectorIjN6thrust23THRUST_200600_302600_NS5tupleIffNS6_9null_typeES8_S8_S8_S8_S8_S8_S8_EEEEZZNS1_29radix_sort_onesweep_iterationIS3_Lb0ENS6_6detail15normal_iteratorINS6_10device_ptrIjEEEESG_NSD_INSE_IS9_EEEESI_jNS0_19identity_decomposerENS1_16block_id_wrapperIjLb0EEEEE10hipError_tT1_PNSt15iterator_traitsISN_E10value_typeET2_T3_PNSO_IST_E10value_typeET4_T5_PSY_SZ_PNS1_23onesweep_lookback_stateEbbT6_jjT7_P12ihipStream_tbENKUlT_T0_SN_SS_E_clISG_SG_SI_SI_EEDaS16_S17_SN_SS_EUlS16_E_NS1_11comp_targetILNS1_3genE3ELNS1_11target_archE908ELNS1_3gpuE7ELNS1_3repE0EEENS1_47radix_sort_onesweep_sort_config_static_selectorELNS0_4arch9wavefront6targetE0EEEvSN_,"axG",@progbits,_ZN7rocprim17ROCPRIM_400000_NS6detail17trampoline_kernelINS0_14default_configENS1_35radix_sort_onesweep_config_selectorIjN6thrust23THRUST_200600_302600_NS5tupleIffNS6_9null_typeES8_S8_S8_S8_S8_S8_S8_EEEEZZNS1_29radix_sort_onesweep_iterationIS3_Lb0ENS6_6detail15normal_iteratorINS6_10device_ptrIjEEEESG_NSD_INSE_IS9_EEEESI_jNS0_19identity_decomposerENS1_16block_id_wrapperIjLb0EEEEE10hipError_tT1_PNSt15iterator_traitsISN_E10value_typeET2_T3_PNSO_IST_E10value_typeET4_T5_PSY_SZ_PNS1_23onesweep_lookback_stateEbbT6_jjT7_P12ihipStream_tbENKUlT_T0_SN_SS_E_clISG_SG_SI_SI_EEDaS16_S17_SN_SS_EUlS16_E_NS1_11comp_targetILNS1_3genE3ELNS1_11target_archE908ELNS1_3gpuE7ELNS1_3repE0EEENS1_47radix_sort_onesweep_sort_config_static_selectorELNS0_4arch9wavefront6targetE0EEEvSN_,comdat
	.protected	_ZN7rocprim17ROCPRIM_400000_NS6detail17trampoline_kernelINS0_14default_configENS1_35radix_sort_onesweep_config_selectorIjN6thrust23THRUST_200600_302600_NS5tupleIffNS6_9null_typeES8_S8_S8_S8_S8_S8_S8_EEEEZZNS1_29radix_sort_onesweep_iterationIS3_Lb0ENS6_6detail15normal_iteratorINS6_10device_ptrIjEEEESG_NSD_INSE_IS9_EEEESI_jNS0_19identity_decomposerENS1_16block_id_wrapperIjLb0EEEEE10hipError_tT1_PNSt15iterator_traitsISN_E10value_typeET2_T3_PNSO_IST_E10value_typeET4_T5_PSY_SZ_PNS1_23onesweep_lookback_stateEbbT6_jjT7_P12ihipStream_tbENKUlT_T0_SN_SS_E_clISG_SG_SI_SI_EEDaS16_S17_SN_SS_EUlS16_E_NS1_11comp_targetILNS1_3genE3ELNS1_11target_archE908ELNS1_3gpuE7ELNS1_3repE0EEENS1_47radix_sort_onesweep_sort_config_static_selectorELNS0_4arch9wavefront6targetE0EEEvSN_ ; -- Begin function _ZN7rocprim17ROCPRIM_400000_NS6detail17trampoline_kernelINS0_14default_configENS1_35radix_sort_onesweep_config_selectorIjN6thrust23THRUST_200600_302600_NS5tupleIffNS6_9null_typeES8_S8_S8_S8_S8_S8_S8_EEEEZZNS1_29radix_sort_onesweep_iterationIS3_Lb0ENS6_6detail15normal_iteratorINS6_10device_ptrIjEEEESG_NSD_INSE_IS9_EEEESI_jNS0_19identity_decomposerENS1_16block_id_wrapperIjLb0EEEEE10hipError_tT1_PNSt15iterator_traitsISN_E10value_typeET2_T3_PNSO_IST_E10value_typeET4_T5_PSY_SZ_PNS1_23onesweep_lookback_stateEbbT6_jjT7_P12ihipStream_tbENKUlT_T0_SN_SS_E_clISG_SG_SI_SI_EEDaS16_S17_SN_SS_EUlS16_E_NS1_11comp_targetILNS1_3genE3ELNS1_11target_archE908ELNS1_3gpuE7ELNS1_3repE0EEENS1_47radix_sort_onesweep_sort_config_static_selectorELNS0_4arch9wavefront6targetE0EEEvSN_
	.globl	_ZN7rocprim17ROCPRIM_400000_NS6detail17trampoline_kernelINS0_14default_configENS1_35radix_sort_onesweep_config_selectorIjN6thrust23THRUST_200600_302600_NS5tupleIffNS6_9null_typeES8_S8_S8_S8_S8_S8_S8_EEEEZZNS1_29radix_sort_onesweep_iterationIS3_Lb0ENS6_6detail15normal_iteratorINS6_10device_ptrIjEEEESG_NSD_INSE_IS9_EEEESI_jNS0_19identity_decomposerENS1_16block_id_wrapperIjLb0EEEEE10hipError_tT1_PNSt15iterator_traitsISN_E10value_typeET2_T3_PNSO_IST_E10value_typeET4_T5_PSY_SZ_PNS1_23onesweep_lookback_stateEbbT6_jjT7_P12ihipStream_tbENKUlT_T0_SN_SS_E_clISG_SG_SI_SI_EEDaS16_S17_SN_SS_EUlS16_E_NS1_11comp_targetILNS1_3genE3ELNS1_11target_archE908ELNS1_3gpuE7ELNS1_3repE0EEENS1_47radix_sort_onesweep_sort_config_static_selectorELNS0_4arch9wavefront6targetE0EEEvSN_
	.p2align	8
	.type	_ZN7rocprim17ROCPRIM_400000_NS6detail17trampoline_kernelINS0_14default_configENS1_35radix_sort_onesweep_config_selectorIjN6thrust23THRUST_200600_302600_NS5tupleIffNS6_9null_typeES8_S8_S8_S8_S8_S8_S8_EEEEZZNS1_29radix_sort_onesweep_iterationIS3_Lb0ENS6_6detail15normal_iteratorINS6_10device_ptrIjEEEESG_NSD_INSE_IS9_EEEESI_jNS0_19identity_decomposerENS1_16block_id_wrapperIjLb0EEEEE10hipError_tT1_PNSt15iterator_traitsISN_E10value_typeET2_T3_PNSO_IST_E10value_typeET4_T5_PSY_SZ_PNS1_23onesweep_lookback_stateEbbT6_jjT7_P12ihipStream_tbENKUlT_T0_SN_SS_E_clISG_SG_SI_SI_EEDaS16_S17_SN_SS_EUlS16_E_NS1_11comp_targetILNS1_3genE3ELNS1_11target_archE908ELNS1_3gpuE7ELNS1_3repE0EEENS1_47radix_sort_onesweep_sort_config_static_selectorELNS0_4arch9wavefront6targetE0EEEvSN_,@function
_ZN7rocprim17ROCPRIM_400000_NS6detail17trampoline_kernelINS0_14default_configENS1_35radix_sort_onesweep_config_selectorIjN6thrust23THRUST_200600_302600_NS5tupleIffNS6_9null_typeES8_S8_S8_S8_S8_S8_S8_EEEEZZNS1_29radix_sort_onesweep_iterationIS3_Lb0ENS6_6detail15normal_iteratorINS6_10device_ptrIjEEEESG_NSD_INSE_IS9_EEEESI_jNS0_19identity_decomposerENS1_16block_id_wrapperIjLb0EEEEE10hipError_tT1_PNSt15iterator_traitsISN_E10value_typeET2_T3_PNSO_IST_E10value_typeET4_T5_PSY_SZ_PNS1_23onesweep_lookback_stateEbbT6_jjT7_P12ihipStream_tbENKUlT_T0_SN_SS_E_clISG_SG_SI_SI_EEDaS16_S17_SN_SS_EUlS16_E_NS1_11comp_targetILNS1_3genE3ELNS1_11target_archE908ELNS1_3gpuE7ELNS1_3repE0EEENS1_47radix_sort_onesweep_sort_config_static_selectorELNS0_4arch9wavefront6targetE0EEEvSN_: ; @_ZN7rocprim17ROCPRIM_400000_NS6detail17trampoline_kernelINS0_14default_configENS1_35radix_sort_onesweep_config_selectorIjN6thrust23THRUST_200600_302600_NS5tupleIffNS6_9null_typeES8_S8_S8_S8_S8_S8_S8_EEEEZZNS1_29radix_sort_onesweep_iterationIS3_Lb0ENS6_6detail15normal_iteratorINS6_10device_ptrIjEEEESG_NSD_INSE_IS9_EEEESI_jNS0_19identity_decomposerENS1_16block_id_wrapperIjLb0EEEEE10hipError_tT1_PNSt15iterator_traitsISN_E10value_typeET2_T3_PNSO_IST_E10value_typeET4_T5_PSY_SZ_PNS1_23onesweep_lookback_stateEbbT6_jjT7_P12ihipStream_tbENKUlT_T0_SN_SS_E_clISG_SG_SI_SI_EEDaS16_S17_SN_SS_EUlS16_E_NS1_11comp_targetILNS1_3genE3ELNS1_11target_archE908ELNS1_3gpuE7ELNS1_3repE0EEENS1_47radix_sort_onesweep_sort_config_static_selectorELNS0_4arch9wavefront6targetE0EEEvSN_
; %bb.0:
	.section	.rodata,"a",@progbits
	.p2align	6, 0x0
	.amdhsa_kernel _ZN7rocprim17ROCPRIM_400000_NS6detail17trampoline_kernelINS0_14default_configENS1_35radix_sort_onesweep_config_selectorIjN6thrust23THRUST_200600_302600_NS5tupleIffNS6_9null_typeES8_S8_S8_S8_S8_S8_S8_EEEEZZNS1_29radix_sort_onesweep_iterationIS3_Lb0ENS6_6detail15normal_iteratorINS6_10device_ptrIjEEEESG_NSD_INSE_IS9_EEEESI_jNS0_19identity_decomposerENS1_16block_id_wrapperIjLb0EEEEE10hipError_tT1_PNSt15iterator_traitsISN_E10value_typeET2_T3_PNSO_IST_E10value_typeET4_T5_PSY_SZ_PNS1_23onesweep_lookback_stateEbbT6_jjT7_P12ihipStream_tbENKUlT_T0_SN_SS_E_clISG_SG_SI_SI_EEDaS16_S17_SN_SS_EUlS16_E_NS1_11comp_targetILNS1_3genE3ELNS1_11target_archE908ELNS1_3gpuE7ELNS1_3repE0EEENS1_47radix_sort_onesweep_sort_config_static_selectorELNS0_4arch9wavefront6targetE0EEEvSN_
		.amdhsa_group_segment_fixed_size 0
		.amdhsa_private_segment_fixed_size 0
		.amdhsa_kernarg_size 88
		.amdhsa_user_sgpr_count 6
		.amdhsa_user_sgpr_private_segment_buffer 1
		.amdhsa_user_sgpr_dispatch_ptr 0
		.amdhsa_user_sgpr_queue_ptr 0
		.amdhsa_user_sgpr_kernarg_segment_ptr 1
		.amdhsa_user_sgpr_dispatch_id 0
		.amdhsa_user_sgpr_flat_scratch_init 0
		.amdhsa_user_sgpr_private_segment_size 0
		.amdhsa_wavefront_size32 1
		.amdhsa_uses_dynamic_stack 0
		.amdhsa_system_sgpr_private_segment_wavefront_offset 0
		.amdhsa_system_sgpr_workgroup_id_x 1
		.amdhsa_system_sgpr_workgroup_id_y 0
		.amdhsa_system_sgpr_workgroup_id_z 0
		.amdhsa_system_sgpr_workgroup_info 0
		.amdhsa_system_vgpr_workitem_id 0
		.amdhsa_next_free_vgpr 1
		.amdhsa_next_free_sgpr 1
		.amdhsa_reserve_vcc 0
		.amdhsa_reserve_flat_scratch 0
		.amdhsa_float_round_mode_32 0
		.amdhsa_float_round_mode_16_64 0
		.amdhsa_float_denorm_mode_32 3
		.amdhsa_float_denorm_mode_16_64 3
		.amdhsa_dx10_clamp 1
		.amdhsa_ieee_mode 1
		.amdhsa_fp16_overflow 0
		.amdhsa_workgroup_processor_mode 1
		.amdhsa_memory_ordered 1
		.amdhsa_forward_progress 1
		.amdhsa_shared_vgpr_count 0
		.amdhsa_exception_fp_ieee_invalid_op 0
		.amdhsa_exception_fp_denorm_src 0
		.amdhsa_exception_fp_ieee_div_zero 0
		.amdhsa_exception_fp_ieee_overflow 0
		.amdhsa_exception_fp_ieee_underflow 0
		.amdhsa_exception_fp_ieee_inexact 0
		.amdhsa_exception_int_div_zero 0
	.end_amdhsa_kernel
	.section	.text._ZN7rocprim17ROCPRIM_400000_NS6detail17trampoline_kernelINS0_14default_configENS1_35radix_sort_onesweep_config_selectorIjN6thrust23THRUST_200600_302600_NS5tupleIffNS6_9null_typeES8_S8_S8_S8_S8_S8_S8_EEEEZZNS1_29radix_sort_onesweep_iterationIS3_Lb0ENS6_6detail15normal_iteratorINS6_10device_ptrIjEEEESG_NSD_INSE_IS9_EEEESI_jNS0_19identity_decomposerENS1_16block_id_wrapperIjLb0EEEEE10hipError_tT1_PNSt15iterator_traitsISN_E10value_typeET2_T3_PNSO_IST_E10value_typeET4_T5_PSY_SZ_PNS1_23onesweep_lookback_stateEbbT6_jjT7_P12ihipStream_tbENKUlT_T0_SN_SS_E_clISG_SG_SI_SI_EEDaS16_S17_SN_SS_EUlS16_E_NS1_11comp_targetILNS1_3genE3ELNS1_11target_archE908ELNS1_3gpuE7ELNS1_3repE0EEENS1_47radix_sort_onesweep_sort_config_static_selectorELNS0_4arch9wavefront6targetE0EEEvSN_,"axG",@progbits,_ZN7rocprim17ROCPRIM_400000_NS6detail17trampoline_kernelINS0_14default_configENS1_35radix_sort_onesweep_config_selectorIjN6thrust23THRUST_200600_302600_NS5tupleIffNS6_9null_typeES8_S8_S8_S8_S8_S8_S8_EEEEZZNS1_29radix_sort_onesweep_iterationIS3_Lb0ENS6_6detail15normal_iteratorINS6_10device_ptrIjEEEESG_NSD_INSE_IS9_EEEESI_jNS0_19identity_decomposerENS1_16block_id_wrapperIjLb0EEEEE10hipError_tT1_PNSt15iterator_traitsISN_E10value_typeET2_T3_PNSO_IST_E10value_typeET4_T5_PSY_SZ_PNS1_23onesweep_lookback_stateEbbT6_jjT7_P12ihipStream_tbENKUlT_T0_SN_SS_E_clISG_SG_SI_SI_EEDaS16_S17_SN_SS_EUlS16_E_NS1_11comp_targetILNS1_3genE3ELNS1_11target_archE908ELNS1_3gpuE7ELNS1_3repE0EEENS1_47radix_sort_onesweep_sort_config_static_selectorELNS0_4arch9wavefront6targetE0EEEvSN_,comdat
.Lfunc_end207:
	.size	_ZN7rocprim17ROCPRIM_400000_NS6detail17trampoline_kernelINS0_14default_configENS1_35radix_sort_onesweep_config_selectorIjN6thrust23THRUST_200600_302600_NS5tupleIffNS6_9null_typeES8_S8_S8_S8_S8_S8_S8_EEEEZZNS1_29radix_sort_onesweep_iterationIS3_Lb0ENS6_6detail15normal_iteratorINS6_10device_ptrIjEEEESG_NSD_INSE_IS9_EEEESI_jNS0_19identity_decomposerENS1_16block_id_wrapperIjLb0EEEEE10hipError_tT1_PNSt15iterator_traitsISN_E10value_typeET2_T3_PNSO_IST_E10value_typeET4_T5_PSY_SZ_PNS1_23onesweep_lookback_stateEbbT6_jjT7_P12ihipStream_tbENKUlT_T0_SN_SS_E_clISG_SG_SI_SI_EEDaS16_S17_SN_SS_EUlS16_E_NS1_11comp_targetILNS1_3genE3ELNS1_11target_archE908ELNS1_3gpuE7ELNS1_3repE0EEENS1_47radix_sort_onesweep_sort_config_static_selectorELNS0_4arch9wavefront6targetE0EEEvSN_, .Lfunc_end207-_ZN7rocprim17ROCPRIM_400000_NS6detail17trampoline_kernelINS0_14default_configENS1_35radix_sort_onesweep_config_selectorIjN6thrust23THRUST_200600_302600_NS5tupleIffNS6_9null_typeES8_S8_S8_S8_S8_S8_S8_EEEEZZNS1_29radix_sort_onesweep_iterationIS3_Lb0ENS6_6detail15normal_iteratorINS6_10device_ptrIjEEEESG_NSD_INSE_IS9_EEEESI_jNS0_19identity_decomposerENS1_16block_id_wrapperIjLb0EEEEE10hipError_tT1_PNSt15iterator_traitsISN_E10value_typeET2_T3_PNSO_IST_E10value_typeET4_T5_PSY_SZ_PNS1_23onesweep_lookback_stateEbbT6_jjT7_P12ihipStream_tbENKUlT_T0_SN_SS_E_clISG_SG_SI_SI_EEDaS16_S17_SN_SS_EUlS16_E_NS1_11comp_targetILNS1_3genE3ELNS1_11target_archE908ELNS1_3gpuE7ELNS1_3repE0EEENS1_47radix_sort_onesweep_sort_config_static_selectorELNS0_4arch9wavefront6targetE0EEEvSN_
                                        ; -- End function
	.set _ZN7rocprim17ROCPRIM_400000_NS6detail17trampoline_kernelINS0_14default_configENS1_35radix_sort_onesweep_config_selectorIjN6thrust23THRUST_200600_302600_NS5tupleIffNS6_9null_typeES8_S8_S8_S8_S8_S8_S8_EEEEZZNS1_29radix_sort_onesweep_iterationIS3_Lb0ENS6_6detail15normal_iteratorINS6_10device_ptrIjEEEESG_NSD_INSE_IS9_EEEESI_jNS0_19identity_decomposerENS1_16block_id_wrapperIjLb0EEEEE10hipError_tT1_PNSt15iterator_traitsISN_E10value_typeET2_T3_PNSO_IST_E10value_typeET4_T5_PSY_SZ_PNS1_23onesweep_lookback_stateEbbT6_jjT7_P12ihipStream_tbENKUlT_T0_SN_SS_E_clISG_SG_SI_SI_EEDaS16_S17_SN_SS_EUlS16_E_NS1_11comp_targetILNS1_3genE3ELNS1_11target_archE908ELNS1_3gpuE7ELNS1_3repE0EEENS1_47radix_sort_onesweep_sort_config_static_selectorELNS0_4arch9wavefront6targetE0EEEvSN_.num_vgpr, 0
	.set _ZN7rocprim17ROCPRIM_400000_NS6detail17trampoline_kernelINS0_14default_configENS1_35radix_sort_onesweep_config_selectorIjN6thrust23THRUST_200600_302600_NS5tupleIffNS6_9null_typeES8_S8_S8_S8_S8_S8_S8_EEEEZZNS1_29radix_sort_onesweep_iterationIS3_Lb0ENS6_6detail15normal_iteratorINS6_10device_ptrIjEEEESG_NSD_INSE_IS9_EEEESI_jNS0_19identity_decomposerENS1_16block_id_wrapperIjLb0EEEEE10hipError_tT1_PNSt15iterator_traitsISN_E10value_typeET2_T3_PNSO_IST_E10value_typeET4_T5_PSY_SZ_PNS1_23onesweep_lookback_stateEbbT6_jjT7_P12ihipStream_tbENKUlT_T0_SN_SS_E_clISG_SG_SI_SI_EEDaS16_S17_SN_SS_EUlS16_E_NS1_11comp_targetILNS1_3genE3ELNS1_11target_archE908ELNS1_3gpuE7ELNS1_3repE0EEENS1_47radix_sort_onesweep_sort_config_static_selectorELNS0_4arch9wavefront6targetE0EEEvSN_.num_agpr, 0
	.set _ZN7rocprim17ROCPRIM_400000_NS6detail17trampoline_kernelINS0_14default_configENS1_35radix_sort_onesweep_config_selectorIjN6thrust23THRUST_200600_302600_NS5tupleIffNS6_9null_typeES8_S8_S8_S8_S8_S8_S8_EEEEZZNS1_29radix_sort_onesweep_iterationIS3_Lb0ENS6_6detail15normal_iteratorINS6_10device_ptrIjEEEESG_NSD_INSE_IS9_EEEESI_jNS0_19identity_decomposerENS1_16block_id_wrapperIjLb0EEEEE10hipError_tT1_PNSt15iterator_traitsISN_E10value_typeET2_T3_PNSO_IST_E10value_typeET4_T5_PSY_SZ_PNS1_23onesweep_lookback_stateEbbT6_jjT7_P12ihipStream_tbENKUlT_T0_SN_SS_E_clISG_SG_SI_SI_EEDaS16_S17_SN_SS_EUlS16_E_NS1_11comp_targetILNS1_3genE3ELNS1_11target_archE908ELNS1_3gpuE7ELNS1_3repE0EEENS1_47radix_sort_onesweep_sort_config_static_selectorELNS0_4arch9wavefront6targetE0EEEvSN_.numbered_sgpr, 0
	.set _ZN7rocprim17ROCPRIM_400000_NS6detail17trampoline_kernelINS0_14default_configENS1_35radix_sort_onesweep_config_selectorIjN6thrust23THRUST_200600_302600_NS5tupleIffNS6_9null_typeES8_S8_S8_S8_S8_S8_S8_EEEEZZNS1_29radix_sort_onesweep_iterationIS3_Lb0ENS6_6detail15normal_iteratorINS6_10device_ptrIjEEEESG_NSD_INSE_IS9_EEEESI_jNS0_19identity_decomposerENS1_16block_id_wrapperIjLb0EEEEE10hipError_tT1_PNSt15iterator_traitsISN_E10value_typeET2_T3_PNSO_IST_E10value_typeET4_T5_PSY_SZ_PNS1_23onesweep_lookback_stateEbbT6_jjT7_P12ihipStream_tbENKUlT_T0_SN_SS_E_clISG_SG_SI_SI_EEDaS16_S17_SN_SS_EUlS16_E_NS1_11comp_targetILNS1_3genE3ELNS1_11target_archE908ELNS1_3gpuE7ELNS1_3repE0EEENS1_47radix_sort_onesweep_sort_config_static_selectorELNS0_4arch9wavefront6targetE0EEEvSN_.num_named_barrier, 0
	.set _ZN7rocprim17ROCPRIM_400000_NS6detail17trampoline_kernelINS0_14default_configENS1_35radix_sort_onesweep_config_selectorIjN6thrust23THRUST_200600_302600_NS5tupleIffNS6_9null_typeES8_S8_S8_S8_S8_S8_S8_EEEEZZNS1_29radix_sort_onesweep_iterationIS3_Lb0ENS6_6detail15normal_iteratorINS6_10device_ptrIjEEEESG_NSD_INSE_IS9_EEEESI_jNS0_19identity_decomposerENS1_16block_id_wrapperIjLb0EEEEE10hipError_tT1_PNSt15iterator_traitsISN_E10value_typeET2_T3_PNSO_IST_E10value_typeET4_T5_PSY_SZ_PNS1_23onesweep_lookback_stateEbbT6_jjT7_P12ihipStream_tbENKUlT_T0_SN_SS_E_clISG_SG_SI_SI_EEDaS16_S17_SN_SS_EUlS16_E_NS1_11comp_targetILNS1_3genE3ELNS1_11target_archE908ELNS1_3gpuE7ELNS1_3repE0EEENS1_47radix_sort_onesweep_sort_config_static_selectorELNS0_4arch9wavefront6targetE0EEEvSN_.private_seg_size, 0
	.set _ZN7rocprim17ROCPRIM_400000_NS6detail17trampoline_kernelINS0_14default_configENS1_35radix_sort_onesweep_config_selectorIjN6thrust23THRUST_200600_302600_NS5tupleIffNS6_9null_typeES8_S8_S8_S8_S8_S8_S8_EEEEZZNS1_29radix_sort_onesweep_iterationIS3_Lb0ENS6_6detail15normal_iteratorINS6_10device_ptrIjEEEESG_NSD_INSE_IS9_EEEESI_jNS0_19identity_decomposerENS1_16block_id_wrapperIjLb0EEEEE10hipError_tT1_PNSt15iterator_traitsISN_E10value_typeET2_T3_PNSO_IST_E10value_typeET4_T5_PSY_SZ_PNS1_23onesweep_lookback_stateEbbT6_jjT7_P12ihipStream_tbENKUlT_T0_SN_SS_E_clISG_SG_SI_SI_EEDaS16_S17_SN_SS_EUlS16_E_NS1_11comp_targetILNS1_3genE3ELNS1_11target_archE908ELNS1_3gpuE7ELNS1_3repE0EEENS1_47radix_sort_onesweep_sort_config_static_selectorELNS0_4arch9wavefront6targetE0EEEvSN_.uses_vcc, 0
	.set _ZN7rocprim17ROCPRIM_400000_NS6detail17trampoline_kernelINS0_14default_configENS1_35radix_sort_onesweep_config_selectorIjN6thrust23THRUST_200600_302600_NS5tupleIffNS6_9null_typeES8_S8_S8_S8_S8_S8_S8_EEEEZZNS1_29radix_sort_onesweep_iterationIS3_Lb0ENS6_6detail15normal_iteratorINS6_10device_ptrIjEEEESG_NSD_INSE_IS9_EEEESI_jNS0_19identity_decomposerENS1_16block_id_wrapperIjLb0EEEEE10hipError_tT1_PNSt15iterator_traitsISN_E10value_typeET2_T3_PNSO_IST_E10value_typeET4_T5_PSY_SZ_PNS1_23onesweep_lookback_stateEbbT6_jjT7_P12ihipStream_tbENKUlT_T0_SN_SS_E_clISG_SG_SI_SI_EEDaS16_S17_SN_SS_EUlS16_E_NS1_11comp_targetILNS1_3genE3ELNS1_11target_archE908ELNS1_3gpuE7ELNS1_3repE0EEENS1_47radix_sort_onesweep_sort_config_static_selectorELNS0_4arch9wavefront6targetE0EEEvSN_.uses_flat_scratch, 0
	.set _ZN7rocprim17ROCPRIM_400000_NS6detail17trampoline_kernelINS0_14default_configENS1_35radix_sort_onesweep_config_selectorIjN6thrust23THRUST_200600_302600_NS5tupleIffNS6_9null_typeES8_S8_S8_S8_S8_S8_S8_EEEEZZNS1_29radix_sort_onesweep_iterationIS3_Lb0ENS6_6detail15normal_iteratorINS6_10device_ptrIjEEEESG_NSD_INSE_IS9_EEEESI_jNS0_19identity_decomposerENS1_16block_id_wrapperIjLb0EEEEE10hipError_tT1_PNSt15iterator_traitsISN_E10value_typeET2_T3_PNSO_IST_E10value_typeET4_T5_PSY_SZ_PNS1_23onesweep_lookback_stateEbbT6_jjT7_P12ihipStream_tbENKUlT_T0_SN_SS_E_clISG_SG_SI_SI_EEDaS16_S17_SN_SS_EUlS16_E_NS1_11comp_targetILNS1_3genE3ELNS1_11target_archE908ELNS1_3gpuE7ELNS1_3repE0EEENS1_47radix_sort_onesweep_sort_config_static_selectorELNS0_4arch9wavefront6targetE0EEEvSN_.has_dyn_sized_stack, 0
	.set _ZN7rocprim17ROCPRIM_400000_NS6detail17trampoline_kernelINS0_14default_configENS1_35radix_sort_onesweep_config_selectorIjN6thrust23THRUST_200600_302600_NS5tupleIffNS6_9null_typeES8_S8_S8_S8_S8_S8_S8_EEEEZZNS1_29radix_sort_onesweep_iterationIS3_Lb0ENS6_6detail15normal_iteratorINS6_10device_ptrIjEEEESG_NSD_INSE_IS9_EEEESI_jNS0_19identity_decomposerENS1_16block_id_wrapperIjLb0EEEEE10hipError_tT1_PNSt15iterator_traitsISN_E10value_typeET2_T3_PNSO_IST_E10value_typeET4_T5_PSY_SZ_PNS1_23onesweep_lookback_stateEbbT6_jjT7_P12ihipStream_tbENKUlT_T0_SN_SS_E_clISG_SG_SI_SI_EEDaS16_S17_SN_SS_EUlS16_E_NS1_11comp_targetILNS1_3genE3ELNS1_11target_archE908ELNS1_3gpuE7ELNS1_3repE0EEENS1_47radix_sort_onesweep_sort_config_static_selectorELNS0_4arch9wavefront6targetE0EEEvSN_.has_recursion, 0
	.set _ZN7rocprim17ROCPRIM_400000_NS6detail17trampoline_kernelINS0_14default_configENS1_35radix_sort_onesweep_config_selectorIjN6thrust23THRUST_200600_302600_NS5tupleIffNS6_9null_typeES8_S8_S8_S8_S8_S8_S8_EEEEZZNS1_29radix_sort_onesweep_iterationIS3_Lb0ENS6_6detail15normal_iteratorINS6_10device_ptrIjEEEESG_NSD_INSE_IS9_EEEESI_jNS0_19identity_decomposerENS1_16block_id_wrapperIjLb0EEEEE10hipError_tT1_PNSt15iterator_traitsISN_E10value_typeET2_T3_PNSO_IST_E10value_typeET4_T5_PSY_SZ_PNS1_23onesweep_lookback_stateEbbT6_jjT7_P12ihipStream_tbENKUlT_T0_SN_SS_E_clISG_SG_SI_SI_EEDaS16_S17_SN_SS_EUlS16_E_NS1_11comp_targetILNS1_3genE3ELNS1_11target_archE908ELNS1_3gpuE7ELNS1_3repE0EEENS1_47radix_sort_onesweep_sort_config_static_selectorELNS0_4arch9wavefront6targetE0EEEvSN_.has_indirect_call, 0
	.section	.AMDGPU.csdata,"",@progbits
; Kernel info:
; codeLenInByte = 0
; TotalNumSgprs: 0
; NumVgprs: 0
; ScratchSize: 0
; MemoryBound: 0
; FloatMode: 240
; IeeeMode: 1
; LDSByteSize: 0 bytes/workgroup (compile time only)
; SGPRBlocks: 0
; VGPRBlocks: 0
; NumSGPRsForWavesPerEU: 1
; NumVGPRsForWavesPerEU: 1
; Occupancy: 16
; WaveLimiterHint : 0
; COMPUTE_PGM_RSRC2:SCRATCH_EN: 0
; COMPUTE_PGM_RSRC2:USER_SGPR: 6
; COMPUTE_PGM_RSRC2:TRAP_HANDLER: 0
; COMPUTE_PGM_RSRC2:TGID_X_EN: 1
; COMPUTE_PGM_RSRC2:TGID_Y_EN: 0
; COMPUTE_PGM_RSRC2:TGID_Z_EN: 0
; COMPUTE_PGM_RSRC2:TIDIG_COMP_CNT: 0
	.section	.text._ZN7rocprim17ROCPRIM_400000_NS6detail17trampoline_kernelINS0_14default_configENS1_35radix_sort_onesweep_config_selectorIjN6thrust23THRUST_200600_302600_NS5tupleIffNS6_9null_typeES8_S8_S8_S8_S8_S8_S8_EEEEZZNS1_29radix_sort_onesweep_iterationIS3_Lb0ENS6_6detail15normal_iteratorINS6_10device_ptrIjEEEESG_NSD_INSE_IS9_EEEESI_jNS0_19identity_decomposerENS1_16block_id_wrapperIjLb0EEEEE10hipError_tT1_PNSt15iterator_traitsISN_E10value_typeET2_T3_PNSO_IST_E10value_typeET4_T5_PSY_SZ_PNS1_23onesweep_lookback_stateEbbT6_jjT7_P12ihipStream_tbENKUlT_T0_SN_SS_E_clISG_SG_SI_SI_EEDaS16_S17_SN_SS_EUlS16_E_NS1_11comp_targetILNS1_3genE10ELNS1_11target_archE1201ELNS1_3gpuE5ELNS1_3repE0EEENS1_47radix_sort_onesweep_sort_config_static_selectorELNS0_4arch9wavefront6targetE0EEEvSN_,"axG",@progbits,_ZN7rocprim17ROCPRIM_400000_NS6detail17trampoline_kernelINS0_14default_configENS1_35radix_sort_onesweep_config_selectorIjN6thrust23THRUST_200600_302600_NS5tupleIffNS6_9null_typeES8_S8_S8_S8_S8_S8_S8_EEEEZZNS1_29radix_sort_onesweep_iterationIS3_Lb0ENS6_6detail15normal_iteratorINS6_10device_ptrIjEEEESG_NSD_INSE_IS9_EEEESI_jNS0_19identity_decomposerENS1_16block_id_wrapperIjLb0EEEEE10hipError_tT1_PNSt15iterator_traitsISN_E10value_typeET2_T3_PNSO_IST_E10value_typeET4_T5_PSY_SZ_PNS1_23onesweep_lookback_stateEbbT6_jjT7_P12ihipStream_tbENKUlT_T0_SN_SS_E_clISG_SG_SI_SI_EEDaS16_S17_SN_SS_EUlS16_E_NS1_11comp_targetILNS1_3genE10ELNS1_11target_archE1201ELNS1_3gpuE5ELNS1_3repE0EEENS1_47radix_sort_onesweep_sort_config_static_selectorELNS0_4arch9wavefront6targetE0EEEvSN_,comdat
	.protected	_ZN7rocprim17ROCPRIM_400000_NS6detail17trampoline_kernelINS0_14default_configENS1_35radix_sort_onesweep_config_selectorIjN6thrust23THRUST_200600_302600_NS5tupleIffNS6_9null_typeES8_S8_S8_S8_S8_S8_S8_EEEEZZNS1_29radix_sort_onesweep_iterationIS3_Lb0ENS6_6detail15normal_iteratorINS6_10device_ptrIjEEEESG_NSD_INSE_IS9_EEEESI_jNS0_19identity_decomposerENS1_16block_id_wrapperIjLb0EEEEE10hipError_tT1_PNSt15iterator_traitsISN_E10value_typeET2_T3_PNSO_IST_E10value_typeET4_T5_PSY_SZ_PNS1_23onesweep_lookback_stateEbbT6_jjT7_P12ihipStream_tbENKUlT_T0_SN_SS_E_clISG_SG_SI_SI_EEDaS16_S17_SN_SS_EUlS16_E_NS1_11comp_targetILNS1_3genE10ELNS1_11target_archE1201ELNS1_3gpuE5ELNS1_3repE0EEENS1_47radix_sort_onesweep_sort_config_static_selectorELNS0_4arch9wavefront6targetE0EEEvSN_ ; -- Begin function _ZN7rocprim17ROCPRIM_400000_NS6detail17trampoline_kernelINS0_14default_configENS1_35radix_sort_onesweep_config_selectorIjN6thrust23THRUST_200600_302600_NS5tupleIffNS6_9null_typeES8_S8_S8_S8_S8_S8_S8_EEEEZZNS1_29radix_sort_onesweep_iterationIS3_Lb0ENS6_6detail15normal_iteratorINS6_10device_ptrIjEEEESG_NSD_INSE_IS9_EEEESI_jNS0_19identity_decomposerENS1_16block_id_wrapperIjLb0EEEEE10hipError_tT1_PNSt15iterator_traitsISN_E10value_typeET2_T3_PNSO_IST_E10value_typeET4_T5_PSY_SZ_PNS1_23onesweep_lookback_stateEbbT6_jjT7_P12ihipStream_tbENKUlT_T0_SN_SS_E_clISG_SG_SI_SI_EEDaS16_S17_SN_SS_EUlS16_E_NS1_11comp_targetILNS1_3genE10ELNS1_11target_archE1201ELNS1_3gpuE5ELNS1_3repE0EEENS1_47radix_sort_onesweep_sort_config_static_selectorELNS0_4arch9wavefront6targetE0EEEvSN_
	.globl	_ZN7rocprim17ROCPRIM_400000_NS6detail17trampoline_kernelINS0_14default_configENS1_35radix_sort_onesweep_config_selectorIjN6thrust23THRUST_200600_302600_NS5tupleIffNS6_9null_typeES8_S8_S8_S8_S8_S8_S8_EEEEZZNS1_29radix_sort_onesweep_iterationIS3_Lb0ENS6_6detail15normal_iteratorINS6_10device_ptrIjEEEESG_NSD_INSE_IS9_EEEESI_jNS0_19identity_decomposerENS1_16block_id_wrapperIjLb0EEEEE10hipError_tT1_PNSt15iterator_traitsISN_E10value_typeET2_T3_PNSO_IST_E10value_typeET4_T5_PSY_SZ_PNS1_23onesweep_lookback_stateEbbT6_jjT7_P12ihipStream_tbENKUlT_T0_SN_SS_E_clISG_SG_SI_SI_EEDaS16_S17_SN_SS_EUlS16_E_NS1_11comp_targetILNS1_3genE10ELNS1_11target_archE1201ELNS1_3gpuE5ELNS1_3repE0EEENS1_47radix_sort_onesweep_sort_config_static_selectorELNS0_4arch9wavefront6targetE0EEEvSN_
	.p2align	8
	.type	_ZN7rocprim17ROCPRIM_400000_NS6detail17trampoline_kernelINS0_14default_configENS1_35radix_sort_onesweep_config_selectorIjN6thrust23THRUST_200600_302600_NS5tupleIffNS6_9null_typeES8_S8_S8_S8_S8_S8_S8_EEEEZZNS1_29radix_sort_onesweep_iterationIS3_Lb0ENS6_6detail15normal_iteratorINS6_10device_ptrIjEEEESG_NSD_INSE_IS9_EEEESI_jNS0_19identity_decomposerENS1_16block_id_wrapperIjLb0EEEEE10hipError_tT1_PNSt15iterator_traitsISN_E10value_typeET2_T3_PNSO_IST_E10value_typeET4_T5_PSY_SZ_PNS1_23onesweep_lookback_stateEbbT6_jjT7_P12ihipStream_tbENKUlT_T0_SN_SS_E_clISG_SG_SI_SI_EEDaS16_S17_SN_SS_EUlS16_E_NS1_11comp_targetILNS1_3genE10ELNS1_11target_archE1201ELNS1_3gpuE5ELNS1_3repE0EEENS1_47radix_sort_onesweep_sort_config_static_selectorELNS0_4arch9wavefront6targetE0EEEvSN_,@function
_ZN7rocprim17ROCPRIM_400000_NS6detail17trampoline_kernelINS0_14default_configENS1_35radix_sort_onesweep_config_selectorIjN6thrust23THRUST_200600_302600_NS5tupleIffNS6_9null_typeES8_S8_S8_S8_S8_S8_S8_EEEEZZNS1_29radix_sort_onesweep_iterationIS3_Lb0ENS6_6detail15normal_iteratorINS6_10device_ptrIjEEEESG_NSD_INSE_IS9_EEEESI_jNS0_19identity_decomposerENS1_16block_id_wrapperIjLb0EEEEE10hipError_tT1_PNSt15iterator_traitsISN_E10value_typeET2_T3_PNSO_IST_E10value_typeET4_T5_PSY_SZ_PNS1_23onesweep_lookback_stateEbbT6_jjT7_P12ihipStream_tbENKUlT_T0_SN_SS_E_clISG_SG_SI_SI_EEDaS16_S17_SN_SS_EUlS16_E_NS1_11comp_targetILNS1_3genE10ELNS1_11target_archE1201ELNS1_3gpuE5ELNS1_3repE0EEENS1_47radix_sort_onesweep_sort_config_static_selectorELNS0_4arch9wavefront6targetE0EEEvSN_: ; @_ZN7rocprim17ROCPRIM_400000_NS6detail17trampoline_kernelINS0_14default_configENS1_35radix_sort_onesweep_config_selectorIjN6thrust23THRUST_200600_302600_NS5tupleIffNS6_9null_typeES8_S8_S8_S8_S8_S8_S8_EEEEZZNS1_29radix_sort_onesweep_iterationIS3_Lb0ENS6_6detail15normal_iteratorINS6_10device_ptrIjEEEESG_NSD_INSE_IS9_EEEESI_jNS0_19identity_decomposerENS1_16block_id_wrapperIjLb0EEEEE10hipError_tT1_PNSt15iterator_traitsISN_E10value_typeET2_T3_PNSO_IST_E10value_typeET4_T5_PSY_SZ_PNS1_23onesweep_lookback_stateEbbT6_jjT7_P12ihipStream_tbENKUlT_T0_SN_SS_E_clISG_SG_SI_SI_EEDaS16_S17_SN_SS_EUlS16_E_NS1_11comp_targetILNS1_3genE10ELNS1_11target_archE1201ELNS1_3gpuE5ELNS1_3repE0EEENS1_47radix_sort_onesweep_sort_config_static_selectorELNS0_4arch9wavefront6targetE0EEEvSN_
; %bb.0:
	.section	.rodata,"a",@progbits
	.p2align	6, 0x0
	.amdhsa_kernel _ZN7rocprim17ROCPRIM_400000_NS6detail17trampoline_kernelINS0_14default_configENS1_35radix_sort_onesweep_config_selectorIjN6thrust23THRUST_200600_302600_NS5tupleIffNS6_9null_typeES8_S8_S8_S8_S8_S8_S8_EEEEZZNS1_29radix_sort_onesweep_iterationIS3_Lb0ENS6_6detail15normal_iteratorINS6_10device_ptrIjEEEESG_NSD_INSE_IS9_EEEESI_jNS0_19identity_decomposerENS1_16block_id_wrapperIjLb0EEEEE10hipError_tT1_PNSt15iterator_traitsISN_E10value_typeET2_T3_PNSO_IST_E10value_typeET4_T5_PSY_SZ_PNS1_23onesweep_lookback_stateEbbT6_jjT7_P12ihipStream_tbENKUlT_T0_SN_SS_E_clISG_SG_SI_SI_EEDaS16_S17_SN_SS_EUlS16_E_NS1_11comp_targetILNS1_3genE10ELNS1_11target_archE1201ELNS1_3gpuE5ELNS1_3repE0EEENS1_47radix_sort_onesweep_sort_config_static_selectorELNS0_4arch9wavefront6targetE0EEEvSN_
		.amdhsa_group_segment_fixed_size 0
		.amdhsa_private_segment_fixed_size 0
		.amdhsa_kernarg_size 88
		.amdhsa_user_sgpr_count 6
		.amdhsa_user_sgpr_private_segment_buffer 1
		.amdhsa_user_sgpr_dispatch_ptr 0
		.amdhsa_user_sgpr_queue_ptr 0
		.amdhsa_user_sgpr_kernarg_segment_ptr 1
		.amdhsa_user_sgpr_dispatch_id 0
		.amdhsa_user_sgpr_flat_scratch_init 0
		.amdhsa_user_sgpr_private_segment_size 0
		.amdhsa_wavefront_size32 1
		.amdhsa_uses_dynamic_stack 0
		.amdhsa_system_sgpr_private_segment_wavefront_offset 0
		.amdhsa_system_sgpr_workgroup_id_x 1
		.amdhsa_system_sgpr_workgroup_id_y 0
		.amdhsa_system_sgpr_workgroup_id_z 0
		.amdhsa_system_sgpr_workgroup_info 0
		.amdhsa_system_vgpr_workitem_id 0
		.amdhsa_next_free_vgpr 1
		.amdhsa_next_free_sgpr 1
		.amdhsa_reserve_vcc 0
		.amdhsa_reserve_flat_scratch 0
		.amdhsa_float_round_mode_32 0
		.amdhsa_float_round_mode_16_64 0
		.amdhsa_float_denorm_mode_32 3
		.amdhsa_float_denorm_mode_16_64 3
		.amdhsa_dx10_clamp 1
		.amdhsa_ieee_mode 1
		.amdhsa_fp16_overflow 0
		.amdhsa_workgroup_processor_mode 1
		.amdhsa_memory_ordered 1
		.amdhsa_forward_progress 1
		.amdhsa_shared_vgpr_count 0
		.amdhsa_exception_fp_ieee_invalid_op 0
		.amdhsa_exception_fp_denorm_src 0
		.amdhsa_exception_fp_ieee_div_zero 0
		.amdhsa_exception_fp_ieee_overflow 0
		.amdhsa_exception_fp_ieee_underflow 0
		.amdhsa_exception_fp_ieee_inexact 0
		.amdhsa_exception_int_div_zero 0
	.end_amdhsa_kernel
	.section	.text._ZN7rocprim17ROCPRIM_400000_NS6detail17trampoline_kernelINS0_14default_configENS1_35radix_sort_onesweep_config_selectorIjN6thrust23THRUST_200600_302600_NS5tupleIffNS6_9null_typeES8_S8_S8_S8_S8_S8_S8_EEEEZZNS1_29radix_sort_onesweep_iterationIS3_Lb0ENS6_6detail15normal_iteratorINS6_10device_ptrIjEEEESG_NSD_INSE_IS9_EEEESI_jNS0_19identity_decomposerENS1_16block_id_wrapperIjLb0EEEEE10hipError_tT1_PNSt15iterator_traitsISN_E10value_typeET2_T3_PNSO_IST_E10value_typeET4_T5_PSY_SZ_PNS1_23onesweep_lookback_stateEbbT6_jjT7_P12ihipStream_tbENKUlT_T0_SN_SS_E_clISG_SG_SI_SI_EEDaS16_S17_SN_SS_EUlS16_E_NS1_11comp_targetILNS1_3genE10ELNS1_11target_archE1201ELNS1_3gpuE5ELNS1_3repE0EEENS1_47radix_sort_onesweep_sort_config_static_selectorELNS0_4arch9wavefront6targetE0EEEvSN_,"axG",@progbits,_ZN7rocprim17ROCPRIM_400000_NS6detail17trampoline_kernelINS0_14default_configENS1_35radix_sort_onesweep_config_selectorIjN6thrust23THRUST_200600_302600_NS5tupleIffNS6_9null_typeES8_S8_S8_S8_S8_S8_S8_EEEEZZNS1_29radix_sort_onesweep_iterationIS3_Lb0ENS6_6detail15normal_iteratorINS6_10device_ptrIjEEEESG_NSD_INSE_IS9_EEEESI_jNS0_19identity_decomposerENS1_16block_id_wrapperIjLb0EEEEE10hipError_tT1_PNSt15iterator_traitsISN_E10value_typeET2_T3_PNSO_IST_E10value_typeET4_T5_PSY_SZ_PNS1_23onesweep_lookback_stateEbbT6_jjT7_P12ihipStream_tbENKUlT_T0_SN_SS_E_clISG_SG_SI_SI_EEDaS16_S17_SN_SS_EUlS16_E_NS1_11comp_targetILNS1_3genE10ELNS1_11target_archE1201ELNS1_3gpuE5ELNS1_3repE0EEENS1_47radix_sort_onesweep_sort_config_static_selectorELNS0_4arch9wavefront6targetE0EEEvSN_,comdat
.Lfunc_end208:
	.size	_ZN7rocprim17ROCPRIM_400000_NS6detail17trampoline_kernelINS0_14default_configENS1_35radix_sort_onesweep_config_selectorIjN6thrust23THRUST_200600_302600_NS5tupleIffNS6_9null_typeES8_S8_S8_S8_S8_S8_S8_EEEEZZNS1_29radix_sort_onesweep_iterationIS3_Lb0ENS6_6detail15normal_iteratorINS6_10device_ptrIjEEEESG_NSD_INSE_IS9_EEEESI_jNS0_19identity_decomposerENS1_16block_id_wrapperIjLb0EEEEE10hipError_tT1_PNSt15iterator_traitsISN_E10value_typeET2_T3_PNSO_IST_E10value_typeET4_T5_PSY_SZ_PNS1_23onesweep_lookback_stateEbbT6_jjT7_P12ihipStream_tbENKUlT_T0_SN_SS_E_clISG_SG_SI_SI_EEDaS16_S17_SN_SS_EUlS16_E_NS1_11comp_targetILNS1_3genE10ELNS1_11target_archE1201ELNS1_3gpuE5ELNS1_3repE0EEENS1_47radix_sort_onesweep_sort_config_static_selectorELNS0_4arch9wavefront6targetE0EEEvSN_, .Lfunc_end208-_ZN7rocprim17ROCPRIM_400000_NS6detail17trampoline_kernelINS0_14default_configENS1_35radix_sort_onesweep_config_selectorIjN6thrust23THRUST_200600_302600_NS5tupleIffNS6_9null_typeES8_S8_S8_S8_S8_S8_S8_EEEEZZNS1_29radix_sort_onesweep_iterationIS3_Lb0ENS6_6detail15normal_iteratorINS6_10device_ptrIjEEEESG_NSD_INSE_IS9_EEEESI_jNS0_19identity_decomposerENS1_16block_id_wrapperIjLb0EEEEE10hipError_tT1_PNSt15iterator_traitsISN_E10value_typeET2_T3_PNSO_IST_E10value_typeET4_T5_PSY_SZ_PNS1_23onesweep_lookback_stateEbbT6_jjT7_P12ihipStream_tbENKUlT_T0_SN_SS_E_clISG_SG_SI_SI_EEDaS16_S17_SN_SS_EUlS16_E_NS1_11comp_targetILNS1_3genE10ELNS1_11target_archE1201ELNS1_3gpuE5ELNS1_3repE0EEENS1_47radix_sort_onesweep_sort_config_static_selectorELNS0_4arch9wavefront6targetE0EEEvSN_
                                        ; -- End function
	.set _ZN7rocprim17ROCPRIM_400000_NS6detail17trampoline_kernelINS0_14default_configENS1_35radix_sort_onesweep_config_selectorIjN6thrust23THRUST_200600_302600_NS5tupleIffNS6_9null_typeES8_S8_S8_S8_S8_S8_S8_EEEEZZNS1_29radix_sort_onesweep_iterationIS3_Lb0ENS6_6detail15normal_iteratorINS6_10device_ptrIjEEEESG_NSD_INSE_IS9_EEEESI_jNS0_19identity_decomposerENS1_16block_id_wrapperIjLb0EEEEE10hipError_tT1_PNSt15iterator_traitsISN_E10value_typeET2_T3_PNSO_IST_E10value_typeET4_T5_PSY_SZ_PNS1_23onesweep_lookback_stateEbbT6_jjT7_P12ihipStream_tbENKUlT_T0_SN_SS_E_clISG_SG_SI_SI_EEDaS16_S17_SN_SS_EUlS16_E_NS1_11comp_targetILNS1_3genE10ELNS1_11target_archE1201ELNS1_3gpuE5ELNS1_3repE0EEENS1_47radix_sort_onesweep_sort_config_static_selectorELNS0_4arch9wavefront6targetE0EEEvSN_.num_vgpr, 0
	.set _ZN7rocprim17ROCPRIM_400000_NS6detail17trampoline_kernelINS0_14default_configENS1_35radix_sort_onesweep_config_selectorIjN6thrust23THRUST_200600_302600_NS5tupleIffNS6_9null_typeES8_S8_S8_S8_S8_S8_S8_EEEEZZNS1_29radix_sort_onesweep_iterationIS3_Lb0ENS6_6detail15normal_iteratorINS6_10device_ptrIjEEEESG_NSD_INSE_IS9_EEEESI_jNS0_19identity_decomposerENS1_16block_id_wrapperIjLb0EEEEE10hipError_tT1_PNSt15iterator_traitsISN_E10value_typeET2_T3_PNSO_IST_E10value_typeET4_T5_PSY_SZ_PNS1_23onesweep_lookback_stateEbbT6_jjT7_P12ihipStream_tbENKUlT_T0_SN_SS_E_clISG_SG_SI_SI_EEDaS16_S17_SN_SS_EUlS16_E_NS1_11comp_targetILNS1_3genE10ELNS1_11target_archE1201ELNS1_3gpuE5ELNS1_3repE0EEENS1_47radix_sort_onesweep_sort_config_static_selectorELNS0_4arch9wavefront6targetE0EEEvSN_.num_agpr, 0
	.set _ZN7rocprim17ROCPRIM_400000_NS6detail17trampoline_kernelINS0_14default_configENS1_35radix_sort_onesweep_config_selectorIjN6thrust23THRUST_200600_302600_NS5tupleIffNS6_9null_typeES8_S8_S8_S8_S8_S8_S8_EEEEZZNS1_29radix_sort_onesweep_iterationIS3_Lb0ENS6_6detail15normal_iteratorINS6_10device_ptrIjEEEESG_NSD_INSE_IS9_EEEESI_jNS0_19identity_decomposerENS1_16block_id_wrapperIjLb0EEEEE10hipError_tT1_PNSt15iterator_traitsISN_E10value_typeET2_T3_PNSO_IST_E10value_typeET4_T5_PSY_SZ_PNS1_23onesweep_lookback_stateEbbT6_jjT7_P12ihipStream_tbENKUlT_T0_SN_SS_E_clISG_SG_SI_SI_EEDaS16_S17_SN_SS_EUlS16_E_NS1_11comp_targetILNS1_3genE10ELNS1_11target_archE1201ELNS1_3gpuE5ELNS1_3repE0EEENS1_47radix_sort_onesweep_sort_config_static_selectorELNS0_4arch9wavefront6targetE0EEEvSN_.numbered_sgpr, 0
	.set _ZN7rocprim17ROCPRIM_400000_NS6detail17trampoline_kernelINS0_14default_configENS1_35radix_sort_onesweep_config_selectorIjN6thrust23THRUST_200600_302600_NS5tupleIffNS6_9null_typeES8_S8_S8_S8_S8_S8_S8_EEEEZZNS1_29radix_sort_onesweep_iterationIS3_Lb0ENS6_6detail15normal_iteratorINS6_10device_ptrIjEEEESG_NSD_INSE_IS9_EEEESI_jNS0_19identity_decomposerENS1_16block_id_wrapperIjLb0EEEEE10hipError_tT1_PNSt15iterator_traitsISN_E10value_typeET2_T3_PNSO_IST_E10value_typeET4_T5_PSY_SZ_PNS1_23onesweep_lookback_stateEbbT6_jjT7_P12ihipStream_tbENKUlT_T0_SN_SS_E_clISG_SG_SI_SI_EEDaS16_S17_SN_SS_EUlS16_E_NS1_11comp_targetILNS1_3genE10ELNS1_11target_archE1201ELNS1_3gpuE5ELNS1_3repE0EEENS1_47radix_sort_onesweep_sort_config_static_selectorELNS0_4arch9wavefront6targetE0EEEvSN_.num_named_barrier, 0
	.set _ZN7rocprim17ROCPRIM_400000_NS6detail17trampoline_kernelINS0_14default_configENS1_35radix_sort_onesweep_config_selectorIjN6thrust23THRUST_200600_302600_NS5tupleIffNS6_9null_typeES8_S8_S8_S8_S8_S8_S8_EEEEZZNS1_29radix_sort_onesweep_iterationIS3_Lb0ENS6_6detail15normal_iteratorINS6_10device_ptrIjEEEESG_NSD_INSE_IS9_EEEESI_jNS0_19identity_decomposerENS1_16block_id_wrapperIjLb0EEEEE10hipError_tT1_PNSt15iterator_traitsISN_E10value_typeET2_T3_PNSO_IST_E10value_typeET4_T5_PSY_SZ_PNS1_23onesweep_lookback_stateEbbT6_jjT7_P12ihipStream_tbENKUlT_T0_SN_SS_E_clISG_SG_SI_SI_EEDaS16_S17_SN_SS_EUlS16_E_NS1_11comp_targetILNS1_3genE10ELNS1_11target_archE1201ELNS1_3gpuE5ELNS1_3repE0EEENS1_47radix_sort_onesweep_sort_config_static_selectorELNS0_4arch9wavefront6targetE0EEEvSN_.private_seg_size, 0
	.set _ZN7rocprim17ROCPRIM_400000_NS6detail17trampoline_kernelINS0_14default_configENS1_35radix_sort_onesweep_config_selectorIjN6thrust23THRUST_200600_302600_NS5tupleIffNS6_9null_typeES8_S8_S8_S8_S8_S8_S8_EEEEZZNS1_29radix_sort_onesweep_iterationIS3_Lb0ENS6_6detail15normal_iteratorINS6_10device_ptrIjEEEESG_NSD_INSE_IS9_EEEESI_jNS0_19identity_decomposerENS1_16block_id_wrapperIjLb0EEEEE10hipError_tT1_PNSt15iterator_traitsISN_E10value_typeET2_T3_PNSO_IST_E10value_typeET4_T5_PSY_SZ_PNS1_23onesweep_lookback_stateEbbT6_jjT7_P12ihipStream_tbENKUlT_T0_SN_SS_E_clISG_SG_SI_SI_EEDaS16_S17_SN_SS_EUlS16_E_NS1_11comp_targetILNS1_3genE10ELNS1_11target_archE1201ELNS1_3gpuE5ELNS1_3repE0EEENS1_47radix_sort_onesweep_sort_config_static_selectorELNS0_4arch9wavefront6targetE0EEEvSN_.uses_vcc, 0
	.set _ZN7rocprim17ROCPRIM_400000_NS6detail17trampoline_kernelINS0_14default_configENS1_35radix_sort_onesweep_config_selectorIjN6thrust23THRUST_200600_302600_NS5tupleIffNS6_9null_typeES8_S8_S8_S8_S8_S8_S8_EEEEZZNS1_29radix_sort_onesweep_iterationIS3_Lb0ENS6_6detail15normal_iteratorINS6_10device_ptrIjEEEESG_NSD_INSE_IS9_EEEESI_jNS0_19identity_decomposerENS1_16block_id_wrapperIjLb0EEEEE10hipError_tT1_PNSt15iterator_traitsISN_E10value_typeET2_T3_PNSO_IST_E10value_typeET4_T5_PSY_SZ_PNS1_23onesweep_lookback_stateEbbT6_jjT7_P12ihipStream_tbENKUlT_T0_SN_SS_E_clISG_SG_SI_SI_EEDaS16_S17_SN_SS_EUlS16_E_NS1_11comp_targetILNS1_3genE10ELNS1_11target_archE1201ELNS1_3gpuE5ELNS1_3repE0EEENS1_47radix_sort_onesweep_sort_config_static_selectorELNS0_4arch9wavefront6targetE0EEEvSN_.uses_flat_scratch, 0
	.set _ZN7rocprim17ROCPRIM_400000_NS6detail17trampoline_kernelINS0_14default_configENS1_35radix_sort_onesweep_config_selectorIjN6thrust23THRUST_200600_302600_NS5tupleIffNS6_9null_typeES8_S8_S8_S8_S8_S8_S8_EEEEZZNS1_29radix_sort_onesweep_iterationIS3_Lb0ENS6_6detail15normal_iteratorINS6_10device_ptrIjEEEESG_NSD_INSE_IS9_EEEESI_jNS0_19identity_decomposerENS1_16block_id_wrapperIjLb0EEEEE10hipError_tT1_PNSt15iterator_traitsISN_E10value_typeET2_T3_PNSO_IST_E10value_typeET4_T5_PSY_SZ_PNS1_23onesweep_lookback_stateEbbT6_jjT7_P12ihipStream_tbENKUlT_T0_SN_SS_E_clISG_SG_SI_SI_EEDaS16_S17_SN_SS_EUlS16_E_NS1_11comp_targetILNS1_3genE10ELNS1_11target_archE1201ELNS1_3gpuE5ELNS1_3repE0EEENS1_47radix_sort_onesweep_sort_config_static_selectorELNS0_4arch9wavefront6targetE0EEEvSN_.has_dyn_sized_stack, 0
	.set _ZN7rocprim17ROCPRIM_400000_NS6detail17trampoline_kernelINS0_14default_configENS1_35radix_sort_onesweep_config_selectorIjN6thrust23THRUST_200600_302600_NS5tupleIffNS6_9null_typeES8_S8_S8_S8_S8_S8_S8_EEEEZZNS1_29radix_sort_onesweep_iterationIS3_Lb0ENS6_6detail15normal_iteratorINS6_10device_ptrIjEEEESG_NSD_INSE_IS9_EEEESI_jNS0_19identity_decomposerENS1_16block_id_wrapperIjLb0EEEEE10hipError_tT1_PNSt15iterator_traitsISN_E10value_typeET2_T3_PNSO_IST_E10value_typeET4_T5_PSY_SZ_PNS1_23onesweep_lookback_stateEbbT6_jjT7_P12ihipStream_tbENKUlT_T0_SN_SS_E_clISG_SG_SI_SI_EEDaS16_S17_SN_SS_EUlS16_E_NS1_11comp_targetILNS1_3genE10ELNS1_11target_archE1201ELNS1_3gpuE5ELNS1_3repE0EEENS1_47radix_sort_onesweep_sort_config_static_selectorELNS0_4arch9wavefront6targetE0EEEvSN_.has_recursion, 0
	.set _ZN7rocprim17ROCPRIM_400000_NS6detail17trampoline_kernelINS0_14default_configENS1_35radix_sort_onesweep_config_selectorIjN6thrust23THRUST_200600_302600_NS5tupleIffNS6_9null_typeES8_S8_S8_S8_S8_S8_S8_EEEEZZNS1_29radix_sort_onesweep_iterationIS3_Lb0ENS6_6detail15normal_iteratorINS6_10device_ptrIjEEEESG_NSD_INSE_IS9_EEEESI_jNS0_19identity_decomposerENS1_16block_id_wrapperIjLb0EEEEE10hipError_tT1_PNSt15iterator_traitsISN_E10value_typeET2_T3_PNSO_IST_E10value_typeET4_T5_PSY_SZ_PNS1_23onesweep_lookback_stateEbbT6_jjT7_P12ihipStream_tbENKUlT_T0_SN_SS_E_clISG_SG_SI_SI_EEDaS16_S17_SN_SS_EUlS16_E_NS1_11comp_targetILNS1_3genE10ELNS1_11target_archE1201ELNS1_3gpuE5ELNS1_3repE0EEENS1_47radix_sort_onesweep_sort_config_static_selectorELNS0_4arch9wavefront6targetE0EEEvSN_.has_indirect_call, 0
	.section	.AMDGPU.csdata,"",@progbits
; Kernel info:
; codeLenInByte = 0
; TotalNumSgprs: 0
; NumVgprs: 0
; ScratchSize: 0
; MemoryBound: 0
; FloatMode: 240
; IeeeMode: 1
; LDSByteSize: 0 bytes/workgroup (compile time only)
; SGPRBlocks: 0
; VGPRBlocks: 0
; NumSGPRsForWavesPerEU: 1
; NumVGPRsForWavesPerEU: 1
; Occupancy: 16
; WaveLimiterHint : 0
; COMPUTE_PGM_RSRC2:SCRATCH_EN: 0
; COMPUTE_PGM_RSRC2:USER_SGPR: 6
; COMPUTE_PGM_RSRC2:TRAP_HANDLER: 0
; COMPUTE_PGM_RSRC2:TGID_X_EN: 1
; COMPUTE_PGM_RSRC2:TGID_Y_EN: 0
; COMPUTE_PGM_RSRC2:TGID_Z_EN: 0
; COMPUTE_PGM_RSRC2:TIDIG_COMP_CNT: 0
	.section	.text._ZN7rocprim17ROCPRIM_400000_NS6detail17trampoline_kernelINS0_14default_configENS1_35radix_sort_onesweep_config_selectorIjN6thrust23THRUST_200600_302600_NS5tupleIffNS6_9null_typeES8_S8_S8_S8_S8_S8_S8_EEEEZZNS1_29radix_sort_onesweep_iterationIS3_Lb0ENS6_6detail15normal_iteratorINS6_10device_ptrIjEEEESG_NSD_INSE_IS9_EEEESI_jNS0_19identity_decomposerENS1_16block_id_wrapperIjLb0EEEEE10hipError_tT1_PNSt15iterator_traitsISN_E10value_typeET2_T3_PNSO_IST_E10value_typeET4_T5_PSY_SZ_PNS1_23onesweep_lookback_stateEbbT6_jjT7_P12ihipStream_tbENKUlT_T0_SN_SS_E_clISG_SG_SI_SI_EEDaS16_S17_SN_SS_EUlS16_E_NS1_11comp_targetILNS1_3genE9ELNS1_11target_archE1100ELNS1_3gpuE3ELNS1_3repE0EEENS1_47radix_sort_onesweep_sort_config_static_selectorELNS0_4arch9wavefront6targetE0EEEvSN_,"axG",@progbits,_ZN7rocprim17ROCPRIM_400000_NS6detail17trampoline_kernelINS0_14default_configENS1_35radix_sort_onesweep_config_selectorIjN6thrust23THRUST_200600_302600_NS5tupleIffNS6_9null_typeES8_S8_S8_S8_S8_S8_S8_EEEEZZNS1_29radix_sort_onesweep_iterationIS3_Lb0ENS6_6detail15normal_iteratorINS6_10device_ptrIjEEEESG_NSD_INSE_IS9_EEEESI_jNS0_19identity_decomposerENS1_16block_id_wrapperIjLb0EEEEE10hipError_tT1_PNSt15iterator_traitsISN_E10value_typeET2_T3_PNSO_IST_E10value_typeET4_T5_PSY_SZ_PNS1_23onesweep_lookback_stateEbbT6_jjT7_P12ihipStream_tbENKUlT_T0_SN_SS_E_clISG_SG_SI_SI_EEDaS16_S17_SN_SS_EUlS16_E_NS1_11comp_targetILNS1_3genE9ELNS1_11target_archE1100ELNS1_3gpuE3ELNS1_3repE0EEENS1_47radix_sort_onesweep_sort_config_static_selectorELNS0_4arch9wavefront6targetE0EEEvSN_,comdat
	.protected	_ZN7rocprim17ROCPRIM_400000_NS6detail17trampoline_kernelINS0_14default_configENS1_35radix_sort_onesweep_config_selectorIjN6thrust23THRUST_200600_302600_NS5tupleIffNS6_9null_typeES8_S8_S8_S8_S8_S8_S8_EEEEZZNS1_29radix_sort_onesweep_iterationIS3_Lb0ENS6_6detail15normal_iteratorINS6_10device_ptrIjEEEESG_NSD_INSE_IS9_EEEESI_jNS0_19identity_decomposerENS1_16block_id_wrapperIjLb0EEEEE10hipError_tT1_PNSt15iterator_traitsISN_E10value_typeET2_T3_PNSO_IST_E10value_typeET4_T5_PSY_SZ_PNS1_23onesweep_lookback_stateEbbT6_jjT7_P12ihipStream_tbENKUlT_T0_SN_SS_E_clISG_SG_SI_SI_EEDaS16_S17_SN_SS_EUlS16_E_NS1_11comp_targetILNS1_3genE9ELNS1_11target_archE1100ELNS1_3gpuE3ELNS1_3repE0EEENS1_47radix_sort_onesweep_sort_config_static_selectorELNS0_4arch9wavefront6targetE0EEEvSN_ ; -- Begin function _ZN7rocprim17ROCPRIM_400000_NS6detail17trampoline_kernelINS0_14default_configENS1_35radix_sort_onesweep_config_selectorIjN6thrust23THRUST_200600_302600_NS5tupleIffNS6_9null_typeES8_S8_S8_S8_S8_S8_S8_EEEEZZNS1_29radix_sort_onesweep_iterationIS3_Lb0ENS6_6detail15normal_iteratorINS6_10device_ptrIjEEEESG_NSD_INSE_IS9_EEEESI_jNS0_19identity_decomposerENS1_16block_id_wrapperIjLb0EEEEE10hipError_tT1_PNSt15iterator_traitsISN_E10value_typeET2_T3_PNSO_IST_E10value_typeET4_T5_PSY_SZ_PNS1_23onesweep_lookback_stateEbbT6_jjT7_P12ihipStream_tbENKUlT_T0_SN_SS_E_clISG_SG_SI_SI_EEDaS16_S17_SN_SS_EUlS16_E_NS1_11comp_targetILNS1_3genE9ELNS1_11target_archE1100ELNS1_3gpuE3ELNS1_3repE0EEENS1_47radix_sort_onesweep_sort_config_static_selectorELNS0_4arch9wavefront6targetE0EEEvSN_
	.globl	_ZN7rocprim17ROCPRIM_400000_NS6detail17trampoline_kernelINS0_14default_configENS1_35radix_sort_onesweep_config_selectorIjN6thrust23THRUST_200600_302600_NS5tupleIffNS6_9null_typeES8_S8_S8_S8_S8_S8_S8_EEEEZZNS1_29radix_sort_onesweep_iterationIS3_Lb0ENS6_6detail15normal_iteratorINS6_10device_ptrIjEEEESG_NSD_INSE_IS9_EEEESI_jNS0_19identity_decomposerENS1_16block_id_wrapperIjLb0EEEEE10hipError_tT1_PNSt15iterator_traitsISN_E10value_typeET2_T3_PNSO_IST_E10value_typeET4_T5_PSY_SZ_PNS1_23onesweep_lookback_stateEbbT6_jjT7_P12ihipStream_tbENKUlT_T0_SN_SS_E_clISG_SG_SI_SI_EEDaS16_S17_SN_SS_EUlS16_E_NS1_11comp_targetILNS1_3genE9ELNS1_11target_archE1100ELNS1_3gpuE3ELNS1_3repE0EEENS1_47radix_sort_onesweep_sort_config_static_selectorELNS0_4arch9wavefront6targetE0EEEvSN_
	.p2align	8
	.type	_ZN7rocprim17ROCPRIM_400000_NS6detail17trampoline_kernelINS0_14default_configENS1_35radix_sort_onesweep_config_selectorIjN6thrust23THRUST_200600_302600_NS5tupleIffNS6_9null_typeES8_S8_S8_S8_S8_S8_S8_EEEEZZNS1_29radix_sort_onesweep_iterationIS3_Lb0ENS6_6detail15normal_iteratorINS6_10device_ptrIjEEEESG_NSD_INSE_IS9_EEEESI_jNS0_19identity_decomposerENS1_16block_id_wrapperIjLb0EEEEE10hipError_tT1_PNSt15iterator_traitsISN_E10value_typeET2_T3_PNSO_IST_E10value_typeET4_T5_PSY_SZ_PNS1_23onesweep_lookback_stateEbbT6_jjT7_P12ihipStream_tbENKUlT_T0_SN_SS_E_clISG_SG_SI_SI_EEDaS16_S17_SN_SS_EUlS16_E_NS1_11comp_targetILNS1_3genE9ELNS1_11target_archE1100ELNS1_3gpuE3ELNS1_3repE0EEENS1_47radix_sort_onesweep_sort_config_static_selectorELNS0_4arch9wavefront6targetE0EEEvSN_,@function
_ZN7rocprim17ROCPRIM_400000_NS6detail17trampoline_kernelINS0_14default_configENS1_35radix_sort_onesweep_config_selectorIjN6thrust23THRUST_200600_302600_NS5tupleIffNS6_9null_typeES8_S8_S8_S8_S8_S8_S8_EEEEZZNS1_29radix_sort_onesweep_iterationIS3_Lb0ENS6_6detail15normal_iteratorINS6_10device_ptrIjEEEESG_NSD_INSE_IS9_EEEESI_jNS0_19identity_decomposerENS1_16block_id_wrapperIjLb0EEEEE10hipError_tT1_PNSt15iterator_traitsISN_E10value_typeET2_T3_PNSO_IST_E10value_typeET4_T5_PSY_SZ_PNS1_23onesweep_lookback_stateEbbT6_jjT7_P12ihipStream_tbENKUlT_T0_SN_SS_E_clISG_SG_SI_SI_EEDaS16_S17_SN_SS_EUlS16_E_NS1_11comp_targetILNS1_3genE9ELNS1_11target_archE1100ELNS1_3gpuE3ELNS1_3repE0EEENS1_47radix_sort_onesweep_sort_config_static_selectorELNS0_4arch9wavefront6targetE0EEEvSN_: ; @_ZN7rocprim17ROCPRIM_400000_NS6detail17trampoline_kernelINS0_14default_configENS1_35radix_sort_onesweep_config_selectorIjN6thrust23THRUST_200600_302600_NS5tupleIffNS6_9null_typeES8_S8_S8_S8_S8_S8_S8_EEEEZZNS1_29radix_sort_onesweep_iterationIS3_Lb0ENS6_6detail15normal_iteratorINS6_10device_ptrIjEEEESG_NSD_INSE_IS9_EEEESI_jNS0_19identity_decomposerENS1_16block_id_wrapperIjLb0EEEEE10hipError_tT1_PNSt15iterator_traitsISN_E10value_typeET2_T3_PNSO_IST_E10value_typeET4_T5_PSY_SZ_PNS1_23onesweep_lookback_stateEbbT6_jjT7_P12ihipStream_tbENKUlT_T0_SN_SS_E_clISG_SG_SI_SI_EEDaS16_S17_SN_SS_EUlS16_E_NS1_11comp_targetILNS1_3genE9ELNS1_11target_archE1100ELNS1_3gpuE3ELNS1_3repE0EEENS1_47radix_sort_onesweep_sort_config_static_selectorELNS0_4arch9wavefront6targetE0EEEvSN_
; %bb.0:
	.section	.rodata,"a",@progbits
	.p2align	6, 0x0
	.amdhsa_kernel _ZN7rocprim17ROCPRIM_400000_NS6detail17trampoline_kernelINS0_14default_configENS1_35radix_sort_onesweep_config_selectorIjN6thrust23THRUST_200600_302600_NS5tupleIffNS6_9null_typeES8_S8_S8_S8_S8_S8_S8_EEEEZZNS1_29radix_sort_onesweep_iterationIS3_Lb0ENS6_6detail15normal_iteratorINS6_10device_ptrIjEEEESG_NSD_INSE_IS9_EEEESI_jNS0_19identity_decomposerENS1_16block_id_wrapperIjLb0EEEEE10hipError_tT1_PNSt15iterator_traitsISN_E10value_typeET2_T3_PNSO_IST_E10value_typeET4_T5_PSY_SZ_PNS1_23onesweep_lookback_stateEbbT6_jjT7_P12ihipStream_tbENKUlT_T0_SN_SS_E_clISG_SG_SI_SI_EEDaS16_S17_SN_SS_EUlS16_E_NS1_11comp_targetILNS1_3genE9ELNS1_11target_archE1100ELNS1_3gpuE3ELNS1_3repE0EEENS1_47radix_sort_onesweep_sort_config_static_selectorELNS0_4arch9wavefront6targetE0EEEvSN_
		.amdhsa_group_segment_fixed_size 0
		.amdhsa_private_segment_fixed_size 0
		.amdhsa_kernarg_size 88
		.amdhsa_user_sgpr_count 6
		.amdhsa_user_sgpr_private_segment_buffer 1
		.amdhsa_user_sgpr_dispatch_ptr 0
		.amdhsa_user_sgpr_queue_ptr 0
		.amdhsa_user_sgpr_kernarg_segment_ptr 1
		.amdhsa_user_sgpr_dispatch_id 0
		.amdhsa_user_sgpr_flat_scratch_init 0
		.amdhsa_user_sgpr_private_segment_size 0
		.amdhsa_wavefront_size32 1
		.amdhsa_uses_dynamic_stack 0
		.amdhsa_system_sgpr_private_segment_wavefront_offset 0
		.amdhsa_system_sgpr_workgroup_id_x 1
		.amdhsa_system_sgpr_workgroup_id_y 0
		.amdhsa_system_sgpr_workgroup_id_z 0
		.amdhsa_system_sgpr_workgroup_info 0
		.amdhsa_system_vgpr_workitem_id 0
		.amdhsa_next_free_vgpr 1
		.amdhsa_next_free_sgpr 1
		.amdhsa_reserve_vcc 0
		.amdhsa_reserve_flat_scratch 0
		.amdhsa_float_round_mode_32 0
		.amdhsa_float_round_mode_16_64 0
		.amdhsa_float_denorm_mode_32 3
		.amdhsa_float_denorm_mode_16_64 3
		.amdhsa_dx10_clamp 1
		.amdhsa_ieee_mode 1
		.amdhsa_fp16_overflow 0
		.amdhsa_workgroup_processor_mode 1
		.amdhsa_memory_ordered 1
		.amdhsa_forward_progress 1
		.amdhsa_shared_vgpr_count 0
		.amdhsa_exception_fp_ieee_invalid_op 0
		.amdhsa_exception_fp_denorm_src 0
		.amdhsa_exception_fp_ieee_div_zero 0
		.amdhsa_exception_fp_ieee_overflow 0
		.amdhsa_exception_fp_ieee_underflow 0
		.amdhsa_exception_fp_ieee_inexact 0
		.amdhsa_exception_int_div_zero 0
	.end_amdhsa_kernel
	.section	.text._ZN7rocprim17ROCPRIM_400000_NS6detail17trampoline_kernelINS0_14default_configENS1_35radix_sort_onesweep_config_selectorIjN6thrust23THRUST_200600_302600_NS5tupleIffNS6_9null_typeES8_S8_S8_S8_S8_S8_S8_EEEEZZNS1_29radix_sort_onesweep_iterationIS3_Lb0ENS6_6detail15normal_iteratorINS6_10device_ptrIjEEEESG_NSD_INSE_IS9_EEEESI_jNS0_19identity_decomposerENS1_16block_id_wrapperIjLb0EEEEE10hipError_tT1_PNSt15iterator_traitsISN_E10value_typeET2_T3_PNSO_IST_E10value_typeET4_T5_PSY_SZ_PNS1_23onesweep_lookback_stateEbbT6_jjT7_P12ihipStream_tbENKUlT_T0_SN_SS_E_clISG_SG_SI_SI_EEDaS16_S17_SN_SS_EUlS16_E_NS1_11comp_targetILNS1_3genE9ELNS1_11target_archE1100ELNS1_3gpuE3ELNS1_3repE0EEENS1_47radix_sort_onesweep_sort_config_static_selectorELNS0_4arch9wavefront6targetE0EEEvSN_,"axG",@progbits,_ZN7rocprim17ROCPRIM_400000_NS6detail17trampoline_kernelINS0_14default_configENS1_35radix_sort_onesweep_config_selectorIjN6thrust23THRUST_200600_302600_NS5tupleIffNS6_9null_typeES8_S8_S8_S8_S8_S8_S8_EEEEZZNS1_29radix_sort_onesweep_iterationIS3_Lb0ENS6_6detail15normal_iteratorINS6_10device_ptrIjEEEESG_NSD_INSE_IS9_EEEESI_jNS0_19identity_decomposerENS1_16block_id_wrapperIjLb0EEEEE10hipError_tT1_PNSt15iterator_traitsISN_E10value_typeET2_T3_PNSO_IST_E10value_typeET4_T5_PSY_SZ_PNS1_23onesweep_lookback_stateEbbT6_jjT7_P12ihipStream_tbENKUlT_T0_SN_SS_E_clISG_SG_SI_SI_EEDaS16_S17_SN_SS_EUlS16_E_NS1_11comp_targetILNS1_3genE9ELNS1_11target_archE1100ELNS1_3gpuE3ELNS1_3repE0EEENS1_47radix_sort_onesweep_sort_config_static_selectorELNS0_4arch9wavefront6targetE0EEEvSN_,comdat
.Lfunc_end209:
	.size	_ZN7rocprim17ROCPRIM_400000_NS6detail17trampoline_kernelINS0_14default_configENS1_35radix_sort_onesweep_config_selectorIjN6thrust23THRUST_200600_302600_NS5tupleIffNS6_9null_typeES8_S8_S8_S8_S8_S8_S8_EEEEZZNS1_29radix_sort_onesweep_iterationIS3_Lb0ENS6_6detail15normal_iteratorINS6_10device_ptrIjEEEESG_NSD_INSE_IS9_EEEESI_jNS0_19identity_decomposerENS1_16block_id_wrapperIjLb0EEEEE10hipError_tT1_PNSt15iterator_traitsISN_E10value_typeET2_T3_PNSO_IST_E10value_typeET4_T5_PSY_SZ_PNS1_23onesweep_lookback_stateEbbT6_jjT7_P12ihipStream_tbENKUlT_T0_SN_SS_E_clISG_SG_SI_SI_EEDaS16_S17_SN_SS_EUlS16_E_NS1_11comp_targetILNS1_3genE9ELNS1_11target_archE1100ELNS1_3gpuE3ELNS1_3repE0EEENS1_47radix_sort_onesweep_sort_config_static_selectorELNS0_4arch9wavefront6targetE0EEEvSN_, .Lfunc_end209-_ZN7rocprim17ROCPRIM_400000_NS6detail17trampoline_kernelINS0_14default_configENS1_35radix_sort_onesweep_config_selectorIjN6thrust23THRUST_200600_302600_NS5tupleIffNS6_9null_typeES8_S8_S8_S8_S8_S8_S8_EEEEZZNS1_29radix_sort_onesweep_iterationIS3_Lb0ENS6_6detail15normal_iteratorINS6_10device_ptrIjEEEESG_NSD_INSE_IS9_EEEESI_jNS0_19identity_decomposerENS1_16block_id_wrapperIjLb0EEEEE10hipError_tT1_PNSt15iterator_traitsISN_E10value_typeET2_T3_PNSO_IST_E10value_typeET4_T5_PSY_SZ_PNS1_23onesweep_lookback_stateEbbT6_jjT7_P12ihipStream_tbENKUlT_T0_SN_SS_E_clISG_SG_SI_SI_EEDaS16_S17_SN_SS_EUlS16_E_NS1_11comp_targetILNS1_3genE9ELNS1_11target_archE1100ELNS1_3gpuE3ELNS1_3repE0EEENS1_47radix_sort_onesweep_sort_config_static_selectorELNS0_4arch9wavefront6targetE0EEEvSN_
                                        ; -- End function
	.set _ZN7rocprim17ROCPRIM_400000_NS6detail17trampoline_kernelINS0_14default_configENS1_35radix_sort_onesweep_config_selectorIjN6thrust23THRUST_200600_302600_NS5tupleIffNS6_9null_typeES8_S8_S8_S8_S8_S8_S8_EEEEZZNS1_29radix_sort_onesweep_iterationIS3_Lb0ENS6_6detail15normal_iteratorINS6_10device_ptrIjEEEESG_NSD_INSE_IS9_EEEESI_jNS0_19identity_decomposerENS1_16block_id_wrapperIjLb0EEEEE10hipError_tT1_PNSt15iterator_traitsISN_E10value_typeET2_T3_PNSO_IST_E10value_typeET4_T5_PSY_SZ_PNS1_23onesweep_lookback_stateEbbT6_jjT7_P12ihipStream_tbENKUlT_T0_SN_SS_E_clISG_SG_SI_SI_EEDaS16_S17_SN_SS_EUlS16_E_NS1_11comp_targetILNS1_3genE9ELNS1_11target_archE1100ELNS1_3gpuE3ELNS1_3repE0EEENS1_47radix_sort_onesweep_sort_config_static_selectorELNS0_4arch9wavefront6targetE0EEEvSN_.num_vgpr, 0
	.set _ZN7rocprim17ROCPRIM_400000_NS6detail17trampoline_kernelINS0_14default_configENS1_35radix_sort_onesweep_config_selectorIjN6thrust23THRUST_200600_302600_NS5tupleIffNS6_9null_typeES8_S8_S8_S8_S8_S8_S8_EEEEZZNS1_29radix_sort_onesweep_iterationIS3_Lb0ENS6_6detail15normal_iteratorINS6_10device_ptrIjEEEESG_NSD_INSE_IS9_EEEESI_jNS0_19identity_decomposerENS1_16block_id_wrapperIjLb0EEEEE10hipError_tT1_PNSt15iterator_traitsISN_E10value_typeET2_T3_PNSO_IST_E10value_typeET4_T5_PSY_SZ_PNS1_23onesweep_lookback_stateEbbT6_jjT7_P12ihipStream_tbENKUlT_T0_SN_SS_E_clISG_SG_SI_SI_EEDaS16_S17_SN_SS_EUlS16_E_NS1_11comp_targetILNS1_3genE9ELNS1_11target_archE1100ELNS1_3gpuE3ELNS1_3repE0EEENS1_47radix_sort_onesweep_sort_config_static_selectorELNS0_4arch9wavefront6targetE0EEEvSN_.num_agpr, 0
	.set _ZN7rocprim17ROCPRIM_400000_NS6detail17trampoline_kernelINS0_14default_configENS1_35radix_sort_onesweep_config_selectorIjN6thrust23THRUST_200600_302600_NS5tupleIffNS6_9null_typeES8_S8_S8_S8_S8_S8_S8_EEEEZZNS1_29radix_sort_onesweep_iterationIS3_Lb0ENS6_6detail15normal_iteratorINS6_10device_ptrIjEEEESG_NSD_INSE_IS9_EEEESI_jNS0_19identity_decomposerENS1_16block_id_wrapperIjLb0EEEEE10hipError_tT1_PNSt15iterator_traitsISN_E10value_typeET2_T3_PNSO_IST_E10value_typeET4_T5_PSY_SZ_PNS1_23onesweep_lookback_stateEbbT6_jjT7_P12ihipStream_tbENKUlT_T0_SN_SS_E_clISG_SG_SI_SI_EEDaS16_S17_SN_SS_EUlS16_E_NS1_11comp_targetILNS1_3genE9ELNS1_11target_archE1100ELNS1_3gpuE3ELNS1_3repE0EEENS1_47radix_sort_onesweep_sort_config_static_selectorELNS0_4arch9wavefront6targetE0EEEvSN_.numbered_sgpr, 0
	.set _ZN7rocprim17ROCPRIM_400000_NS6detail17trampoline_kernelINS0_14default_configENS1_35radix_sort_onesweep_config_selectorIjN6thrust23THRUST_200600_302600_NS5tupleIffNS6_9null_typeES8_S8_S8_S8_S8_S8_S8_EEEEZZNS1_29radix_sort_onesweep_iterationIS3_Lb0ENS6_6detail15normal_iteratorINS6_10device_ptrIjEEEESG_NSD_INSE_IS9_EEEESI_jNS0_19identity_decomposerENS1_16block_id_wrapperIjLb0EEEEE10hipError_tT1_PNSt15iterator_traitsISN_E10value_typeET2_T3_PNSO_IST_E10value_typeET4_T5_PSY_SZ_PNS1_23onesweep_lookback_stateEbbT6_jjT7_P12ihipStream_tbENKUlT_T0_SN_SS_E_clISG_SG_SI_SI_EEDaS16_S17_SN_SS_EUlS16_E_NS1_11comp_targetILNS1_3genE9ELNS1_11target_archE1100ELNS1_3gpuE3ELNS1_3repE0EEENS1_47radix_sort_onesweep_sort_config_static_selectorELNS0_4arch9wavefront6targetE0EEEvSN_.num_named_barrier, 0
	.set _ZN7rocprim17ROCPRIM_400000_NS6detail17trampoline_kernelINS0_14default_configENS1_35radix_sort_onesweep_config_selectorIjN6thrust23THRUST_200600_302600_NS5tupleIffNS6_9null_typeES8_S8_S8_S8_S8_S8_S8_EEEEZZNS1_29radix_sort_onesweep_iterationIS3_Lb0ENS6_6detail15normal_iteratorINS6_10device_ptrIjEEEESG_NSD_INSE_IS9_EEEESI_jNS0_19identity_decomposerENS1_16block_id_wrapperIjLb0EEEEE10hipError_tT1_PNSt15iterator_traitsISN_E10value_typeET2_T3_PNSO_IST_E10value_typeET4_T5_PSY_SZ_PNS1_23onesweep_lookback_stateEbbT6_jjT7_P12ihipStream_tbENKUlT_T0_SN_SS_E_clISG_SG_SI_SI_EEDaS16_S17_SN_SS_EUlS16_E_NS1_11comp_targetILNS1_3genE9ELNS1_11target_archE1100ELNS1_3gpuE3ELNS1_3repE0EEENS1_47radix_sort_onesweep_sort_config_static_selectorELNS0_4arch9wavefront6targetE0EEEvSN_.private_seg_size, 0
	.set _ZN7rocprim17ROCPRIM_400000_NS6detail17trampoline_kernelINS0_14default_configENS1_35radix_sort_onesweep_config_selectorIjN6thrust23THRUST_200600_302600_NS5tupleIffNS6_9null_typeES8_S8_S8_S8_S8_S8_S8_EEEEZZNS1_29radix_sort_onesweep_iterationIS3_Lb0ENS6_6detail15normal_iteratorINS6_10device_ptrIjEEEESG_NSD_INSE_IS9_EEEESI_jNS0_19identity_decomposerENS1_16block_id_wrapperIjLb0EEEEE10hipError_tT1_PNSt15iterator_traitsISN_E10value_typeET2_T3_PNSO_IST_E10value_typeET4_T5_PSY_SZ_PNS1_23onesweep_lookback_stateEbbT6_jjT7_P12ihipStream_tbENKUlT_T0_SN_SS_E_clISG_SG_SI_SI_EEDaS16_S17_SN_SS_EUlS16_E_NS1_11comp_targetILNS1_3genE9ELNS1_11target_archE1100ELNS1_3gpuE3ELNS1_3repE0EEENS1_47radix_sort_onesweep_sort_config_static_selectorELNS0_4arch9wavefront6targetE0EEEvSN_.uses_vcc, 0
	.set _ZN7rocprim17ROCPRIM_400000_NS6detail17trampoline_kernelINS0_14default_configENS1_35radix_sort_onesweep_config_selectorIjN6thrust23THRUST_200600_302600_NS5tupleIffNS6_9null_typeES8_S8_S8_S8_S8_S8_S8_EEEEZZNS1_29radix_sort_onesweep_iterationIS3_Lb0ENS6_6detail15normal_iteratorINS6_10device_ptrIjEEEESG_NSD_INSE_IS9_EEEESI_jNS0_19identity_decomposerENS1_16block_id_wrapperIjLb0EEEEE10hipError_tT1_PNSt15iterator_traitsISN_E10value_typeET2_T3_PNSO_IST_E10value_typeET4_T5_PSY_SZ_PNS1_23onesweep_lookback_stateEbbT6_jjT7_P12ihipStream_tbENKUlT_T0_SN_SS_E_clISG_SG_SI_SI_EEDaS16_S17_SN_SS_EUlS16_E_NS1_11comp_targetILNS1_3genE9ELNS1_11target_archE1100ELNS1_3gpuE3ELNS1_3repE0EEENS1_47radix_sort_onesweep_sort_config_static_selectorELNS0_4arch9wavefront6targetE0EEEvSN_.uses_flat_scratch, 0
	.set _ZN7rocprim17ROCPRIM_400000_NS6detail17trampoline_kernelINS0_14default_configENS1_35radix_sort_onesweep_config_selectorIjN6thrust23THRUST_200600_302600_NS5tupleIffNS6_9null_typeES8_S8_S8_S8_S8_S8_S8_EEEEZZNS1_29radix_sort_onesweep_iterationIS3_Lb0ENS6_6detail15normal_iteratorINS6_10device_ptrIjEEEESG_NSD_INSE_IS9_EEEESI_jNS0_19identity_decomposerENS1_16block_id_wrapperIjLb0EEEEE10hipError_tT1_PNSt15iterator_traitsISN_E10value_typeET2_T3_PNSO_IST_E10value_typeET4_T5_PSY_SZ_PNS1_23onesweep_lookback_stateEbbT6_jjT7_P12ihipStream_tbENKUlT_T0_SN_SS_E_clISG_SG_SI_SI_EEDaS16_S17_SN_SS_EUlS16_E_NS1_11comp_targetILNS1_3genE9ELNS1_11target_archE1100ELNS1_3gpuE3ELNS1_3repE0EEENS1_47radix_sort_onesweep_sort_config_static_selectorELNS0_4arch9wavefront6targetE0EEEvSN_.has_dyn_sized_stack, 0
	.set _ZN7rocprim17ROCPRIM_400000_NS6detail17trampoline_kernelINS0_14default_configENS1_35radix_sort_onesweep_config_selectorIjN6thrust23THRUST_200600_302600_NS5tupleIffNS6_9null_typeES8_S8_S8_S8_S8_S8_S8_EEEEZZNS1_29radix_sort_onesweep_iterationIS3_Lb0ENS6_6detail15normal_iteratorINS6_10device_ptrIjEEEESG_NSD_INSE_IS9_EEEESI_jNS0_19identity_decomposerENS1_16block_id_wrapperIjLb0EEEEE10hipError_tT1_PNSt15iterator_traitsISN_E10value_typeET2_T3_PNSO_IST_E10value_typeET4_T5_PSY_SZ_PNS1_23onesweep_lookback_stateEbbT6_jjT7_P12ihipStream_tbENKUlT_T0_SN_SS_E_clISG_SG_SI_SI_EEDaS16_S17_SN_SS_EUlS16_E_NS1_11comp_targetILNS1_3genE9ELNS1_11target_archE1100ELNS1_3gpuE3ELNS1_3repE0EEENS1_47radix_sort_onesweep_sort_config_static_selectorELNS0_4arch9wavefront6targetE0EEEvSN_.has_recursion, 0
	.set _ZN7rocprim17ROCPRIM_400000_NS6detail17trampoline_kernelINS0_14default_configENS1_35radix_sort_onesweep_config_selectorIjN6thrust23THRUST_200600_302600_NS5tupleIffNS6_9null_typeES8_S8_S8_S8_S8_S8_S8_EEEEZZNS1_29radix_sort_onesweep_iterationIS3_Lb0ENS6_6detail15normal_iteratorINS6_10device_ptrIjEEEESG_NSD_INSE_IS9_EEEESI_jNS0_19identity_decomposerENS1_16block_id_wrapperIjLb0EEEEE10hipError_tT1_PNSt15iterator_traitsISN_E10value_typeET2_T3_PNSO_IST_E10value_typeET4_T5_PSY_SZ_PNS1_23onesweep_lookback_stateEbbT6_jjT7_P12ihipStream_tbENKUlT_T0_SN_SS_E_clISG_SG_SI_SI_EEDaS16_S17_SN_SS_EUlS16_E_NS1_11comp_targetILNS1_3genE9ELNS1_11target_archE1100ELNS1_3gpuE3ELNS1_3repE0EEENS1_47radix_sort_onesweep_sort_config_static_selectorELNS0_4arch9wavefront6targetE0EEEvSN_.has_indirect_call, 0
	.section	.AMDGPU.csdata,"",@progbits
; Kernel info:
; codeLenInByte = 0
; TotalNumSgprs: 0
; NumVgprs: 0
; ScratchSize: 0
; MemoryBound: 0
; FloatMode: 240
; IeeeMode: 1
; LDSByteSize: 0 bytes/workgroup (compile time only)
; SGPRBlocks: 0
; VGPRBlocks: 0
; NumSGPRsForWavesPerEU: 1
; NumVGPRsForWavesPerEU: 1
; Occupancy: 16
; WaveLimiterHint : 0
; COMPUTE_PGM_RSRC2:SCRATCH_EN: 0
; COMPUTE_PGM_RSRC2:USER_SGPR: 6
; COMPUTE_PGM_RSRC2:TRAP_HANDLER: 0
; COMPUTE_PGM_RSRC2:TGID_X_EN: 1
; COMPUTE_PGM_RSRC2:TGID_Y_EN: 0
; COMPUTE_PGM_RSRC2:TGID_Z_EN: 0
; COMPUTE_PGM_RSRC2:TIDIG_COMP_CNT: 0
	.section	.text._ZN7rocprim17ROCPRIM_400000_NS6detail17trampoline_kernelINS0_14default_configENS1_35radix_sort_onesweep_config_selectorIjN6thrust23THRUST_200600_302600_NS5tupleIffNS6_9null_typeES8_S8_S8_S8_S8_S8_S8_EEEEZZNS1_29radix_sort_onesweep_iterationIS3_Lb0ENS6_6detail15normal_iteratorINS6_10device_ptrIjEEEESG_NSD_INSE_IS9_EEEESI_jNS0_19identity_decomposerENS1_16block_id_wrapperIjLb0EEEEE10hipError_tT1_PNSt15iterator_traitsISN_E10value_typeET2_T3_PNSO_IST_E10value_typeET4_T5_PSY_SZ_PNS1_23onesweep_lookback_stateEbbT6_jjT7_P12ihipStream_tbENKUlT_T0_SN_SS_E_clISG_SG_SI_SI_EEDaS16_S17_SN_SS_EUlS16_E_NS1_11comp_targetILNS1_3genE8ELNS1_11target_archE1030ELNS1_3gpuE2ELNS1_3repE0EEENS1_47radix_sort_onesweep_sort_config_static_selectorELNS0_4arch9wavefront6targetE0EEEvSN_,"axG",@progbits,_ZN7rocprim17ROCPRIM_400000_NS6detail17trampoline_kernelINS0_14default_configENS1_35radix_sort_onesweep_config_selectorIjN6thrust23THRUST_200600_302600_NS5tupleIffNS6_9null_typeES8_S8_S8_S8_S8_S8_S8_EEEEZZNS1_29radix_sort_onesweep_iterationIS3_Lb0ENS6_6detail15normal_iteratorINS6_10device_ptrIjEEEESG_NSD_INSE_IS9_EEEESI_jNS0_19identity_decomposerENS1_16block_id_wrapperIjLb0EEEEE10hipError_tT1_PNSt15iterator_traitsISN_E10value_typeET2_T3_PNSO_IST_E10value_typeET4_T5_PSY_SZ_PNS1_23onesweep_lookback_stateEbbT6_jjT7_P12ihipStream_tbENKUlT_T0_SN_SS_E_clISG_SG_SI_SI_EEDaS16_S17_SN_SS_EUlS16_E_NS1_11comp_targetILNS1_3genE8ELNS1_11target_archE1030ELNS1_3gpuE2ELNS1_3repE0EEENS1_47radix_sort_onesweep_sort_config_static_selectorELNS0_4arch9wavefront6targetE0EEEvSN_,comdat
	.protected	_ZN7rocprim17ROCPRIM_400000_NS6detail17trampoline_kernelINS0_14default_configENS1_35radix_sort_onesweep_config_selectorIjN6thrust23THRUST_200600_302600_NS5tupleIffNS6_9null_typeES8_S8_S8_S8_S8_S8_S8_EEEEZZNS1_29radix_sort_onesweep_iterationIS3_Lb0ENS6_6detail15normal_iteratorINS6_10device_ptrIjEEEESG_NSD_INSE_IS9_EEEESI_jNS0_19identity_decomposerENS1_16block_id_wrapperIjLb0EEEEE10hipError_tT1_PNSt15iterator_traitsISN_E10value_typeET2_T3_PNSO_IST_E10value_typeET4_T5_PSY_SZ_PNS1_23onesweep_lookback_stateEbbT6_jjT7_P12ihipStream_tbENKUlT_T0_SN_SS_E_clISG_SG_SI_SI_EEDaS16_S17_SN_SS_EUlS16_E_NS1_11comp_targetILNS1_3genE8ELNS1_11target_archE1030ELNS1_3gpuE2ELNS1_3repE0EEENS1_47radix_sort_onesweep_sort_config_static_selectorELNS0_4arch9wavefront6targetE0EEEvSN_ ; -- Begin function _ZN7rocprim17ROCPRIM_400000_NS6detail17trampoline_kernelINS0_14default_configENS1_35radix_sort_onesweep_config_selectorIjN6thrust23THRUST_200600_302600_NS5tupleIffNS6_9null_typeES8_S8_S8_S8_S8_S8_S8_EEEEZZNS1_29radix_sort_onesweep_iterationIS3_Lb0ENS6_6detail15normal_iteratorINS6_10device_ptrIjEEEESG_NSD_INSE_IS9_EEEESI_jNS0_19identity_decomposerENS1_16block_id_wrapperIjLb0EEEEE10hipError_tT1_PNSt15iterator_traitsISN_E10value_typeET2_T3_PNSO_IST_E10value_typeET4_T5_PSY_SZ_PNS1_23onesweep_lookback_stateEbbT6_jjT7_P12ihipStream_tbENKUlT_T0_SN_SS_E_clISG_SG_SI_SI_EEDaS16_S17_SN_SS_EUlS16_E_NS1_11comp_targetILNS1_3genE8ELNS1_11target_archE1030ELNS1_3gpuE2ELNS1_3repE0EEENS1_47radix_sort_onesweep_sort_config_static_selectorELNS0_4arch9wavefront6targetE0EEEvSN_
	.globl	_ZN7rocprim17ROCPRIM_400000_NS6detail17trampoline_kernelINS0_14default_configENS1_35radix_sort_onesweep_config_selectorIjN6thrust23THRUST_200600_302600_NS5tupleIffNS6_9null_typeES8_S8_S8_S8_S8_S8_S8_EEEEZZNS1_29radix_sort_onesweep_iterationIS3_Lb0ENS6_6detail15normal_iteratorINS6_10device_ptrIjEEEESG_NSD_INSE_IS9_EEEESI_jNS0_19identity_decomposerENS1_16block_id_wrapperIjLb0EEEEE10hipError_tT1_PNSt15iterator_traitsISN_E10value_typeET2_T3_PNSO_IST_E10value_typeET4_T5_PSY_SZ_PNS1_23onesweep_lookback_stateEbbT6_jjT7_P12ihipStream_tbENKUlT_T0_SN_SS_E_clISG_SG_SI_SI_EEDaS16_S17_SN_SS_EUlS16_E_NS1_11comp_targetILNS1_3genE8ELNS1_11target_archE1030ELNS1_3gpuE2ELNS1_3repE0EEENS1_47radix_sort_onesweep_sort_config_static_selectorELNS0_4arch9wavefront6targetE0EEEvSN_
	.p2align	8
	.type	_ZN7rocprim17ROCPRIM_400000_NS6detail17trampoline_kernelINS0_14default_configENS1_35radix_sort_onesweep_config_selectorIjN6thrust23THRUST_200600_302600_NS5tupleIffNS6_9null_typeES8_S8_S8_S8_S8_S8_S8_EEEEZZNS1_29radix_sort_onesweep_iterationIS3_Lb0ENS6_6detail15normal_iteratorINS6_10device_ptrIjEEEESG_NSD_INSE_IS9_EEEESI_jNS0_19identity_decomposerENS1_16block_id_wrapperIjLb0EEEEE10hipError_tT1_PNSt15iterator_traitsISN_E10value_typeET2_T3_PNSO_IST_E10value_typeET4_T5_PSY_SZ_PNS1_23onesweep_lookback_stateEbbT6_jjT7_P12ihipStream_tbENKUlT_T0_SN_SS_E_clISG_SG_SI_SI_EEDaS16_S17_SN_SS_EUlS16_E_NS1_11comp_targetILNS1_3genE8ELNS1_11target_archE1030ELNS1_3gpuE2ELNS1_3repE0EEENS1_47radix_sort_onesweep_sort_config_static_selectorELNS0_4arch9wavefront6targetE0EEEvSN_,@function
_ZN7rocprim17ROCPRIM_400000_NS6detail17trampoline_kernelINS0_14default_configENS1_35radix_sort_onesweep_config_selectorIjN6thrust23THRUST_200600_302600_NS5tupleIffNS6_9null_typeES8_S8_S8_S8_S8_S8_S8_EEEEZZNS1_29radix_sort_onesweep_iterationIS3_Lb0ENS6_6detail15normal_iteratorINS6_10device_ptrIjEEEESG_NSD_INSE_IS9_EEEESI_jNS0_19identity_decomposerENS1_16block_id_wrapperIjLb0EEEEE10hipError_tT1_PNSt15iterator_traitsISN_E10value_typeET2_T3_PNSO_IST_E10value_typeET4_T5_PSY_SZ_PNS1_23onesweep_lookback_stateEbbT6_jjT7_P12ihipStream_tbENKUlT_T0_SN_SS_E_clISG_SG_SI_SI_EEDaS16_S17_SN_SS_EUlS16_E_NS1_11comp_targetILNS1_3genE8ELNS1_11target_archE1030ELNS1_3gpuE2ELNS1_3repE0EEENS1_47radix_sort_onesweep_sort_config_static_selectorELNS0_4arch9wavefront6targetE0EEEvSN_: ; @_ZN7rocprim17ROCPRIM_400000_NS6detail17trampoline_kernelINS0_14default_configENS1_35radix_sort_onesweep_config_selectorIjN6thrust23THRUST_200600_302600_NS5tupleIffNS6_9null_typeES8_S8_S8_S8_S8_S8_S8_EEEEZZNS1_29radix_sort_onesweep_iterationIS3_Lb0ENS6_6detail15normal_iteratorINS6_10device_ptrIjEEEESG_NSD_INSE_IS9_EEEESI_jNS0_19identity_decomposerENS1_16block_id_wrapperIjLb0EEEEE10hipError_tT1_PNSt15iterator_traitsISN_E10value_typeET2_T3_PNSO_IST_E10value_typeET4_T5_PSY_SZ_PNS1_23onesweep_lookback_stateEbbT6_jjT7_P12ihipStream_tbENKUlT_T0_SN_SS_E_clISG_SG_SI_SI_EEDaS16_S17_SN_SS_EUlS16_E_NS1_11comp_targetILNS1_3genE8ELNS1_11target_archE1030ELNS1_3gpuE2ELNS1_3repE0EEENS1_47radix_sort_onesweep_sort_config_static_selectorELNS0_4arch9wavefront6targetE0EEEvSN_
; %bb.0:
	s_clause 0x3
	s_load_dwordx4 s[28:31], s[4:5], 0x44
	s_load_dwordx8 s[16:23], s[4:5], 0x0
	s_load_dwordx4 s[24:27], s[4:5], 0x28
	s_load_dwordx2 s[14:15], s[4:5], 0x38
	v_mbcnt_lo_u32_b32 v18, -1, 0
	v_lshlrev_b32_e32 v17, 2, v0
	s_mov_b32 s0, -1
	s_waitcnt lgkmcnt(0)
	s_cmp_ge_u32 s6, s30
	s_cbranch_scc0 .LBB210_64
; %bb.1:
	s_load_dword s2, s[4:5], 0x20
	s_lshl_b32 s3, s30, 12
	s_lshl_b32 s30, s6, 12
	s_mov_b32 s31, 0
	v_and_b32_e32 v11, 0xf80, v17
	v_lshlrev_b32_e32 v3, 2, v18
	s_lshl_b64 s[0:1], s[30:31], 2
	v_mov_b32_e32 v12, -1
	v_mov_b32_e32 v13, -1
	v_lshlrev_b32_e32 v4, 2, v11
	v_or_b32_e32 v5, v18, v11
	s_waitcnt lgkmcnt(0)
	s_sub_i32 s33, s2, s3
	s_add_u32 s0, s16, s0
	s_addc_u32 s1, s17, s1
	v_add_co_u32 v3, s0, s0, v3
	v_add_co_ci_u32_e64 v6, null, s1, 0, s0
	v_cmp_gt_u32_e64 s1, s33, v5
	v_add_co_u32 v3, vcc_lo, v3, v4
	v_add_co_ci_u32_e64 v4, null, 0, v6, vcc_lo
	s_and_saveexec_b32 s0, s1
	s_cbranch_execz .LBB210_3
; %bb.2:
	global_load_dword v13, v[3:4], off
.LBB210_3:
	s_or_b32 exec_lo, exec_lo, s0
	v_or_b32_e32 v6, 32, v5
	v_cmp_gt_u32_e64 s2, s33, v6
	s_and_saveexec_b32 s0, s2
	s_cbranch_execz .LBB210_5
; %bb.4:
	global_load_dword v12, v[3:4], off offset:128
.LBB210_5:
	s_or_b32 exec_lo, exec_lo, s0
	v_or_b32_e32 v6, 64, v5
	v_mov_b32_e32 v14, -1
	v_mov_b32_e32 v15, -1
	v_cmp_gt_u32_e64 s0, s33, v6
	s_and_saveexec_b32 s3, s0
	s_cbranch_execz .LBB210_7
; %bb.6:
	global_load_dword v15, v[3:4], off offset:256
.LBB210_7:
	s_or_b32 exec_lo, exec_lo, s3
	v_or_b32_e32 v5, 0x60, v5
	v_cmp_gt_u32_e32 vcc_lo, s33, v5
	s_and_saveexec_b32 s3, vcc_lo
	s_cbranch_execz .LBB210_9
; %bb.8:
	global_load_dword v14, v[3:4], off offset:384
.LBB210_9:
	s_or_b32 exec_lo, exec_lo, s3
	s_clause 0x1
	s_load_dword s3, s[4:5], 0x64
	s_load_dword s13, s[4:5], 0x58
	s_add_u32 s7, s4, 0x58
	s_addc_u32 s9, s5, 0
	v_mov_b32_e32 v5, 0
	s_waitcnt vmcnt(0)
	v_lshrrev_b32_e32 v4, s28, v13
	s_waitcnt lgkmcnt(0)
	s_lshr_b32 s10, s3, 16
	s_cmp_lt_u32 s6, s13
	s_cselect_b32 s3, 12, 18
	s_add_u32 s8, s7, s3
	s_addc_u32 s9, s9, 0
	s_lshl_b32 s3, -1, s29
	global_load_ushort v3, v5, s[8:9]
	s_not_b32 s34, s3
	v_and_b32_e32 v6, s34, v4
	v_and_b32_e32 v4, 1, v6
	v_lshlrev_b32_e32 v7, 30, v6
	v_lshlrev_b32_e32 v8, 29, v6
	;; [unrolled: 1-line block ×4, first 2 shown]
	v_add_co_u32 v4, s3, v4, -1
	v_cndmask_b32_e64 v9, 0, 1, s3
	v_not_b32_e32 v20, v7
	v_cmp_gt_i32_e64 s7, 0, v7
	v_not_b32_e32 v7, v8
	v_lshlrev_b32_e32 v19, 26, v6
	v_cmp_ne_u32_e64 s3, 0, v9
	v_ashrrev_i32_e32 v20, 31, v20
	v_lshlrev_b32_e32 v9, 25, v6
	v_ashrrev_i32_e32 v7, 31, v7
	v_xor_b32_e32 v4, s3, v4
	v_cmp_gt_i32_e64 s3, 0, v8
	v_not_b32_e32 v8, v10
	v_xor_b32_e32 v20, s7, v20
	v_cmp_gt_i32_e64 s7, 0, v10
	v_and_b32_e32 v4, exec_lo, v4
	v_not_b32_e32 v10, v16
	v_ashrrev_i32_e32 v8, 31, v8
	v_xor_b32_e32 v7, s3, v7
	v_cmp_gt_i32_e64 s3, 0, v16
	v_and_b32_e32 v4, v4, v20
	v_not_b32_e32 v16, v19
	v_ashrrev_i32_e32 v10, 31, v10
	v_xor_b32_e32 v8, s7, v8
	v_cmp_gt_i32_e64 s7, 0, v19
	v_and_b32_e32 v4, v4, v7
	;; [unrolled: 5-line block ×3, first 2 shown]
	v_lshlrev_b32_e32 v8, 24, v6
	v_ashrrev_i32_e32 v7, 31, v7
	v_xor_b32_e32 v9, s7, v16
	v_mul_lo_u32 v6, 0x84, v6
	v_and_b32_e32 v4, v4, v10
	v_not_b32_e32 v10, v8
	v_xor_b32_e32 v7, s3, v7
	v_cmp_gt_i32_e64 s3, 0, v8
	v_mul_u32_u24_e32 v19, 36, v0
	v_and_b32_e32 v4, v4, v9
	v_mad_u32_u24 v9, v2, s10, v1
	v_ashrrev_i32_e32 v8, 31, v10
	ds_write2_b32 v19, v5, v5 offset0:32 offset1:33
	v_and_b32_e32 v7, v4, v7
	ds_write2_b32 v19, v5, v5 offset0:34 offset1:35
	ds_write2_b32 v19, v5, v5 offset0:36 offset1:37
	ds_write2_b32 v19, v5, v5 offset0:38 offset1:39
	ds_write_b32 v19, v5 offset:160
	s_waitcnt vmcnt(0) lgkmcnt(0)
	s_barrier
	buffer_gl0_inv
	; wave barrier
	v_mad_u64_u32 v[3:4], null, v9, v3, v[0:1]
	v_xor_b32_e32 v4, s3, v8
	v_and_b32_e32 v4, v7, v4
	v_lshrrev_b32_e32 v3, 3, v3
	v_mbcnt_lo_u32_b32 v16, v4, 0
	v_and_b32_e32 v3, 0x1ffffffc, v3
	v_cmp_ne_u32_e64 s7, 0, v4
	v_cmp_eq_u32_e64 s3, 0, v16
	v_add_nc_u32_e32 v20, v3, v6
	s_and_b32 s7, s7, s3
	s_and_saveexec_b32 s3, s7
; %bb.10:
	v_bcnt_u32_b32 v4, v4, 0
	ds_write_b32 v20, v4 offset:128
; %bb.11:
	s_or_b32 exec_lo, exec_lo, s3
	v_lshrrev_b32_e32 v4, s28, v12
	; wave barrier
	v_and_b32_e32 v4, s34, v4
	v_and_b32_e32 v6, 1, v4
	v_lshlrev_b32_e32 v7, 30, v4
	v_lshlrev_b32_e32 v8, 29, v4
	;; [unrolled: 1-line block ×4, first 2 shown]
	v_add_co_u32 v6, s3, v6, -1
	v_cndmask_b32_e64 v10, 0, 1, s3
	v_not_b32_e32 v24, v7
	v_cmp_gt_i32_e64 s7, 0, v7
	v_not_b32_e32 v7, v8
	v_lshlrev_b32_e32 v22, 26, v4
	v_cmp_ne_u32_e64 s3, 0, v10
	v_ashrrev_i32_e32 v10, 31, v24
	v_lshlrev_b32_e32 v23, 25, v4
	v_ashrrev_i32_e32 v7, 31, v7
	v_mul_lo_u32 v5, 0x84, v4
	v_xor_b32_e32 v6, s3, v6
	v_cmp_gt_i32_e64 s3, 0, v8
	v_not_b32_e32 v8, v9
	v_xor_b32_e32 v10, s7, v10
	v_cmp_gt_i32_e64 s7, 0, v9
	v_and_b32_e32 v6, exec_lo, v6
	v_not_b32_e32 v9, v21
	v_ashrrev_i32_e32 v8, 31, v8
	v_xor_b32_e32 v7, s3, v7
	v_cmp_gt_i32_e64 s3, 0, v21
	v_and_b32_e32 v6, v6, v10
	v_not_b32_e32 v10, v22
	v_ashrrev_i32_e32 v9, 31, v9
	v_xor_b32_e32 v8, s7, v8
	v_lshlrev_b32_e32 v4, 24, v4
	v_and_b32_e32 v6, v6, v7
	v_cmp_gt_i32_e64 s7, 0, v22
	v_not_b32_e32 v7, v23
	v_ashrrev_i32_e32 v10, 31, v10
	v_xor_b32_e32 v9, s3, v9
	v_and_b32_e32 v6, v6, v8
	v_cmp_gt_i32_e64 s3, 0, v23
	v_not_b32_e32 v8, v4
	v_ashrrev_i32_e32 v7, 31, v7
	v_xor_b32_e32 v10, s7, v10
	v_and_b32_e32 v6, v6, v9
	v_cmp_gt_i32_e64 s7, 0, v4
	v_ashrrev_i32_e32 v4, 31, v8
	v_xor_b32_e32 v7, s3, v7
	v_add_nc_u32_e32 v23, v3, v5
	v_and_b32_e32 v6, v6, v10
	v_xor_b32_e32 v4, s7, v4
	ds_read_b32 v21, v23 offset:128
	v_and_b32_e32 v5, v6, v7
	; wave barrier
	v_and_b32_e32 v4, v5, v4
	v_mbcnt_lo_u32_b32 v22, v4, 0
	v_cmp_ne_u32_e64 s7, 0, v4
	v_cmp_eq_u32_e64 s3, 0, v22
	s_and_b32 s7, s7, s3
	s_and_saveexec_b32 s3, s7
	s_cbranch_execz .LBB210_13
; %bb.12:
	s_waitcnt lgkmcnt(0)
	v_bcnt_u32_b32 v4, v4, v21
	ds_write_b32 v23, v4 offset:128
.LBB210_13:
	s_or_b32 exec_lo, exec_lo, s3
	v_lshrrev_b32_e32 v4, s28, v15
	; wave barrier
	v_and_b32_e32 v4, s34, v4
	v_and_b32_e32 v6, 1, v4
	v_lshlrev_b32_e32 v7, 30, v4
	v_lshlrev_b32_e32 v8, 29, v4
	;; [unrolled: 1-line block ×4, first 2 shown]
	v_add_co_u32 v6, s3, v6, -1
	v_cndmask_b32_e64 v10, 0, 1, s3
	v_not_b32_e32 v27, v7
	v_cmp_gt_i32_e64 s7, 0, v7
	v_not_b32_e32 v7, v8
	v_lshlrev_b32_e32 v25, 26, v4
	v_cmp_ne_u32_e64 s3, 0, v10
	v_ashrrev_i32_e32 v10, 31, v27
	v_lshlrev_b32_e32 v26, 25, v4
	v_ashrrev_i32_e32 v7, 31, v7
	v_mul_lo_u32 v5, 0x84, v4
	v_xor_b32_e32 v6, s3, v6
	v_cmp_gt_i32_e64 s3, 0, v8
	v_not_b32_e32 v8, v9
	v_xor_b32_e32 v10, s7, v10
	v_cmp_gt_i32_e64 s7, 0, v9
	v_and_b32_e32 v6, exec_lo, v6
	v_not_b32_e32 v9, v24
	v_ashrrev_i32_e32 v8, 31, v8
	v_xor_b32_e32 v7, s3, v7
	v_cmp_gt_i32_e64 s3, 0, v24
	v_and_b32_e32 v6, v6, v10
	v_not_b32_e32 v10, v25
	v_ashrrev_i32_e32 v9, 31, v9
	v_xor_b32_e32 v8, s7, v8
	v_lshlrev_b32_e32 v4, 24, v4
	v_and_b32_e32 v6, v6, v7
	v_cmp_gt_i32_e64 s7, 0, v25
	v_not_b32_e32 v7, v26
	v_ashrrev_i32_e32 v10, 31, v10
	v_xor_b32_e32 v9, s3, v9
	v_and_b32_e32 v6, v6, v8
	v_cmp_gt_i32_e64 s3, 0, v26
	v_not_b32_e32 v8, v4
	v_ashrrev_i32_e32 v7, 31, v7
	v_xor_b32_e32 v10, s7, v10
	v_and_b32_e32 v6, v6, v9
	v_cmp_gt_i32_e64 s7, 0, v4
	v_ashrrev_i32_e32 v4, 31, v8
	v_xor_b32_e32 v7, s3, v7
	v_add_nc_u32_e32 v24, v3, v5
	v_and_b32_e32 v6, v6, v10
	v_xor_b32_e32 v4, s7, v4
	ds_read_b32 v25, v24 offset:128
	v_and_b32_e32 v5, v6, v7
	; wave barrier
	v_and_b32_e32 v4, v5, v4
	v_mbcnt_lo_u32_b32 v26, v4, 0
	v_cmp_ne_u32_e64 s7, 0, v4
	v_cmp_eq_u32_e64 s3, 0, v26
	s_and_b32 s7, s7, s3
	s_and_saveexec_b32 s3, s7
	s_cbranch_execz .LBB210_15
; %bb.14:
	s_waitcnt lgkmcnt(0)
	v_bcnt_u32_b32 v4, v4, v25
	ds_write_b32 v24, v4 offset:128
.LBB210_15:
	s_or_b32 exec_lo, exec_lo, s3
	v_lshrrev_b32_e32 v4, s28, v14
	; wave barrier
	v_and_b32_e32 v4, s34, v4
	v_and_b32_e32 v6, 1, v4
	v_lshlrev_b32_e32 v7, 30, v4
	v_lshlrev_b32_e32 v8, 29, v4
	v_lshlrev_b32_e32 v9, 28, v4
	v_lshlrev_b32_e32 v27, 27, v4
	v_add_co_u32 v6, s3, v6, -1
	v_cndmask_b32_e64 v10, 0, 1, s3
	v_not_b32_e32 v30, v7
	v_cmp_gt_i32_e64 s7, 0, v7
	v_not_b32_e32 v7, v8
	v_lshlrev_b32_e32 v28, 26, v4
	v_cmp_ne_u32_e64 s3, 0, v10
	v_ashrrev_i32_e32 v10, 31, v30
	v_lshlrev_b32_e32 v29, 25, v4
	v_ashrrev_i32_e32 v7, 31, v7
	v_mul_lo_u32 v5, 0x84, v4
	v_xor_b32_e32 v6, s3, v6
	v_cmp_gt_i32_e64 s3, 0, v8
	v_not_b32_e32 v8, v9
	v_xor_b32_e32 v10, s7, v10
	v_cmp_gt_i32_e64 s7, 0, v9
	v_and_b32_e32 v6, exec_lo, v6
	v_not_b32_e32 v9, v27
	v_ashrrev_i32_e32 v8, 31, v8
	v_xor_b32_e32 v7, s3, v7
	v_cmp_gt_i32_e64 s3, 0, v27
	v_and_b32_e32 v6, v6, v10
	v_not_b32_e32 v10, v28
	v_ashrrev_i32_e32 v9, 31, v9
	v_xor_b32_e32 v8, s7, v8
	v_lshlrev_b32_e32 v4, 24, v4
	v_and_b32_e32 v6, v6, v7
	v_cmp_gt_i32_e64 s7, 0, v28
	v_not_b32_e32 v7, v29
	v_ashrrev_i32_e32 v10, 31, v10
	v_xor_b32_e32 v9, s3, v9
	v_and_b32_e32 v6, v6, v8
	v_cmp_gt_i32_e64 s3, 0, v29
	v_not_b32_e32 v8, v4
	v_ashrrev_i32_e32 v7, 31, v7
	v_xor_b32_e32 v10, s7, v10
	v_and_b32_e32 v6, v6, v9
	v_cmp_gt_i32_e64 s7, 0, v4
	v_ashrrev_i32_e32 v4, 31, v8
	v_xor_b32_e32 v7, s3, v7
	v_add_nc_u32_e32 v29, v3, v5
	v_and_b32_e32 v6, v6, v10
	v_xor_b32_e32 v3, s7, v4
	ds_read_b32 v27, v29 offset:128
	v_and_b32_e32 v4, v6, v7
	; wave barrier
	v_and_b32_e32 v3, v4, v3
	v_mbcnt_lo_u32_b32 v28, v3, 0
	v_cmp_ne_u32_e64 s7, 0, v3
	v_cmp_eq_u32_e64 s3, 0, v28
	s_and_b32 s7, s7, s3
	s_and_saveexec_b32 s3, s7
	s_cbranch_execz .LBB210_17
; %bb.16:
	s_waitcnt lgkmcnt(0)
	v_bcnt_u32_b32 v3, v3, v27
	ds_write_b32 v29, v3 offset:128
.LBB210_17:
	s_or_b32 exec_lo, exec_lo, s3
	; wave barrier
	s_waitcnt lgkmcnt(0)
	s_barrier
	buffer_gl0_inv
	ds_read2_b32 v[9:10], v19 offset0:32 offset1:33
	ds_read2_b32 v[7:8], v19 offset0:34 offset1:35
	;; [unrolled: 1-line block ×4, first 2 shown]
	ds_read_b32 v30, v19 offset:160
	v_and_b32_e32 v33, 16, v18
	v_and_b32_e32 v34, 31, v0
	s_mov_b32 s12, exec_lo
	v_cmp_eq_u32_e64 s10, 0, v33
	s_waitcnt lgkmcnt(3)
	v_add3_u32 v31, v10, v9, v7
	s_waitcnt lgkmcnt(2)
	v_add3_u32 v31, v31, v8, v5
	;; [unrolled: 2-line block ×4, first 2 shown]
	v_and_b32_e32 v31, 15, v18
	v_mov_b32_dpp v32, v30 row_shr:1 row_mask:0xf bank_mask:0xf
	v_cmp_eq_u32_e64 s3, 0, v31
	v_cmp_lt_u32_e64 s7, 1, v31
	v_cmp_lt_u32_e64 s8, 3, v31
	;; [unrolled: 1-line block ×3, first 2 shown]
	v_cndmask_b32_e64 v32, v32, 0, s3
	v_add_nc_u32_e32 v30, v32, v30
	v_mov_b32_dpp v32, v30 row_shr:2 row_mask:0xf bank_mask:0xf
	v_cndmask_b32_e64 v32, 0, v32, s7
	v_add_nc_u32_e32 v30, v30, v32
	v_mov_b32_dpp v32, v30 row_shr:4 row_mask:0xf bank_mask:0xf
	;; [unrolled: 3-line block ×3, first 2 shown]
	v_cndmask_b32_e64 v31, 0, v32, s9
	v_bfe_i32 v32, v18, 4, 1
	v_add_nc_u32_e32 v30, v30, v31
	ds_swizzle_b32 v31, v30 offset:swizzle(BROADCAST,32,15)
	s_waitcnt lgkmcnt(0)
	v_and_b32_e32 v32, v32, v31
	v_lshrrev_b32_e32 v31, 5, v0
	v_add_nc_u32_e32 v30, v30, v32
	v_cmpx_eq_u32_e32 31, v34
; %bb.18:
	v_lshlrev_b32_e32 v32, 2, v31
	ds_write_b32 v32, v30
; %bb.19:
	s_or_b32 exec_lo, exec_lo, s12
	v_cmp_lt_u32_e64 s11, 31, v0
	s_mov_b32 s35, exec_lo
	s_waitcnt lgkmcnt(0)
	s_barrier
	buffer_gl0_inv
	v_cmpx_gt_u32_e32 32, v0
	s_cbranch_execz .LBB210_21
; %bb.20:
	ds_read_b32 v32, v17
	s_waitcnt lgkmcnt(0)
	v_mov_b32_dpp v33, v32 row_shr:1 row_mask:0xf bank_mask:0xf
	v_cndmask_b32_e64 v33, v33, 0, s3
	v_add_nc_u32_e32 v32, v33, v32
	v_mov_b32_dpp v33, v32 row_shr:2 row_mask:0xf bank_mask:0xf
	v_cndmask_b32_e64 v33, 0, v33, s7
	v_add_nc_u32_e32 v32, v32, v33
	;; [unrolled: 3-line block ×4, first 2 shown]
	ds_swizzle_b32 v33, v32 offset:swizzle(BROADCAST,32,15)
	s_waitcnt lgkmcnt(0)
	v_cndmask_b32_e64 v33, v33, 0, s10
	v_add_nc_u32_e32 v32, v32, v33
	ds_write_b32 v17, v32
.LBB210_21:
	s_or_b32 exec_lo, exec_lo, s35
	v_mov_b32_e32 v32, 0
	s_waitcnt lgkmcnt(0)
	s_barrier
	buffer_gl0_inv
	s_and_saveexec_b32 s3, s11
; %bb.22:
	v_lshl_add_u32 v31, v31, 2, -4
	ds_read_b32 v32, v31
; %bb.23:
	s_or_b32 exec_lo, exec_lo, s3
	v_sub_co_u32 v31, s3, v18, 1
	s_waitcnt lgkmcnt(0)
	v_add_nc_u32_e32 v30, v32, v30
	v_cmp_gt_i32_e64 s7, 0, v31
	v_cndmask_b32_e64 v31, v31, v18, s7
	v_cmp_gt_u32_e64 s7, 0x100, v0
	v_lshlrev_b32_e32 v31, 2, v31
	ds_bpermute_b32 v30, v31, v30
	s_waitcnt lgkmcnt(0)
	v_cndmask_b32_e64 v30, v30, v32, s3
	v_cmp_ne_u32_e64 s3, 0, v0
	v_cndmask_b32_e64 v30, 0, v30, s3
	v_cmp_lt_u32_e64 s3, 0xff, v0
	v_add_nc_u32_e32 v9, v30, v9
	v_add_nc_u32_e32 v10, v9, v10
	v_add_nc_u32_e32 v7, v10, v7
	v_add_nc_u32_e32 v8, v7, v8
	v_add_nc_u32_e32 v5, v8, v5
	v_add_nc_u32_e32 v6, v5, v6
	v_add_nc_u32_e32 v3, v6, v3
	v_add_nc_u32_e32 v4, v3, v4
	ds_write2_b32 v19, v30, v9 offset0:32 offset1:33
	ds_write2_b32 v19, v10, v7 offset0:34 offset1:35
	;; [unrolled: 1-line block ×4, first 2 shown]
	ds_write_b32 v19, v4 offset:160
	s_waitcnt lgkmcnt(0)
	s_barrier
	buffer_gl0_inv
	ds_read_b32 v3, v20 offset:128
	ds_read_b32 v4, v23 offset:128
	;; [unrolled: 1-line block ×4, first 2 shown]
                                        ; implicit-def: $vgpr19
                                        ; implicit-def: $vgpr20
	s_and_saveexec_b32 s9, s7
	s_cbranch_execz .LBB210_27
; %bb.24:
	v_mul_u32_u24_e32 v7, 0x84, v0
	v_add_nc_u32_e32 v8, 1, v0
	s_mov_b32 s10, exec_lo
	ds_read_b32 v19, v7 offset:128
	v_mov_b32_e32 v7, 0x1000
	v_cmpx_ne_u32_e32 0x100, v8
; %bb.25:
	v_mul_u32_u24_e32 v7, 0x84, v8
	ds_read_b32 v7, v7 offset:128
; %bb.26:
	s_or_b32 exec_lo, exec_lo, s10
	s_waitcnt lgkmcnt(0)
	v_sub_nc_u32_e32 v20, v7, v19
.LBB210_27:
	s_or_b32 exec_lo, exec_lo, s9
	s_waitcnt lgkmcnt(3)
	v_add_nc_u32_e32 v24, v3, v16
	s_waitcnt lgkmcnt(2)
	v_add3_u32 v23, v22, v21, v4
	s_waitcnt lgkmcnt(1)
	v_add3_u32 v22, v26, v25, v5
	;; [unrolled: 2-line block ×3, first 2 shown]
	v_mov_b32_e32 v4, 0
	v_lshlrev_b32_e32 v3, 2, v24
	v_lshlrev_b32_e32 v5, 2, v23
	;; [unrolled: 1-line block ×4, first 2 shown]
	s_barrier
	buffer_gl0_inv
	ds_write_b32 v3, v13 offset:1024
	ds_write_b32 v5, v12 offset:1024
	;; [unrolled: 1-line block ×4, first 2 shown]
	s_and_saveexec_b32 s8, s7
	s_cbranch_execz .LBB210_37
; %bb.28:
	v_lshl_add_u32 v3, s6, 8, v0
	v_mov_b32_e32 v9, 0
	s_mov_b32 s9, 0
	s_mov_b32 s10, s6
	v_lshlrev_b64 v[5:6], 2, v[3:4]
	v_or_b32_e32 v3, 2.0, v20
	v_add_co_u32 v5, s7, s14, v5
	v_add_co_ci_u32_e64 v6, null, s15, v6, s7
                                        ; implicit-def: $sgpr7
	global_store_dword v[5:6], v3, off
	s_branch .LBB210_31
	.p2align	6
.LBB210_29:                             ;   in Loop: Header=BB210_31 Depth=1
	s_or_b32 exec_lo, exec_lo, s12
.LBB210_30:                             ;   in Loop: Header=BB210_31 Depth=1
	s_or_b32 exec_lo, exec_lo, s11
	v_and_b32_e32 v7, 0x3fffffff, v3
	v_cmp_gt_i32_e64 s7, -2.0, v3
	v_add_nc_u32_e32 v9, v7, v9
	s_and_b32 s11, exec_lo, s7
	s_or_b32 s9, s11, s9
	s_andn2_b32 exec_lo, exec_lo, s9
	s_cbranch_execz .LBB210_36
.LBB210_31:                             ; =>This Loop Header: Depth=1
                                        ;     Child Loop BB210_34 Depth 2
	s_or_b32 s7, s7, exec_lo
	s_cmp_eq_u32 s10, 0
	s_cbranch_scc1 .LBB210_35
; %bb.32:                               ;   in Loop: Header=BB210_31 Depth=1
	s_add_i32 s10, s10, -1
	s_mov_b32 s11, exec_lo
	v_lshl_or_b32 v3, s10, 8, v0
	v_lshlrev_b64 v[7:8], 2, v[3:4]
	v_add_co_u32 v7, s7, s14, v7
	v_add_co_ci_u32_e64 v8, null, s15, v8, s7
	global_load_dword v3, v[7:8], off glc dlc
	s_waitcnt vmcnt(0)
	v_cmpx_gt_u32_e32 2.0, v3
	s_cbranch_execz .LBB210_30
; %bb.33:                               ;   in Loop: Header=BB210_31 Depth=1
	s_mov_b32 s12, 0
.LBB210_34:                             ;   Parent Loop BB210_31 Depth=1
                                        ; =>  This Inner Loop Header: Depth=2
	global_load_dword v3, v[7:8], off glc dlc
	s_waitcnt vmcnt(0)
	v_cmp_lt_u32_e64 s7, 0x3fffffff, v3
	s_or_b32 s12, s7, s12
	s_andn2_b32 exec_lo, exec_lo, s12
	s_cbranch_execnz .LBB210_34
	s_branch .LBB210_29
.LBB210_35:                             ;   in Loop: Header=BB210_31 Depth=1
                                        ; implicit-def: $sgpr10
	s_and_b32 s11, exec_lo, s7
	s_or_b32 s9, s11, s9
	s_andn2_b32 exec_lo, exec_lo, s9
	s_cbranch_execnz .LBB210_31
.LBB210_36:
	s_or_b32 exec_lo, exec_lo, s9
	v_add_nc_u32_e32 v3, v9, v20
	v_sub_nc_u32_e32 v4, v9, v19
	v_or_b32_e32 v3, 0x80000000, v3
	global_store_dword v[5:6], v3, off
	global_load_dword v3, v17, s[24:25]
	s_waitcnt vmcnt(0)
	v_add_nc_u32_e32 v3, v4, v3
	ds_write_b32 v17, v3
.LBB210_37:
	s_or_b32 exec_lo, exec_lo, s8
	v_mov_b32_e32 v3, 0
	v_cmp_gt_u32_e64 s7, s33, v0
	s_waitcnt lgkmcnt(0)
	s_waitcnt_vscnt null, 0x0
	s_barrier
	buffer_gl0_inv
	v_mov_b32_e32 v4, v3
	v_mov_b32_e32 v5, v3
	;; [unrolled: 1-line block ×3, first 2 shown]
	s_and_saveexec_b32 s9, s7
	s_cbranch_execz .LBB210_39
; %bb.38:
	ds_read_b32 v10, v17 offset:1024
	v_mov_b32_e32 v6, v3
	v_mov_b32_e32 v7, v3
	s_waitcnt lgkmcnt(0)
	v_lshrrev_b32_e32 v4, s28, v10
	v_and_b32_e32 v4, s34, v4
	v_lshlrev_b32_e32 v5, 2, v4
	ds_read_b32 v5, v5
	s_waitcnt lgkmcnt(0)
	v_add_nc_u32_e32 v5, v5, v0
	v_lshlrev_b64 v[8:9], 2, v[5:6]
	v_mov_b32_e32 v5, v3
	v_mov_b32_e32 v3, v4
	;; [unrolled: 1-line block ×5, first 2 shown]
	v_add_co_u32 v8, s8, s18, v8
	v_add_co_ci_u32_e64 v9, null, s19, v9, s8
	global_store_dword v[8:9], v10, off
.LBB210_39:
	s_or_b32 exec_lo, exec_lo, s9
	v_or_b32_e32 v25, 0x400, v0
	v_cmp_gt_u32_e64 s8, s33, v25
	s_and_saveexec_b32 s10, s8
	s_cbranch_execz .LBB210_41
; %bb.40:
	ds_read_b32 v9, v17 offset:5120
	v_mov_b32_e32 v8, 0
	s_waitcnt lgkmcnt(0)
	v_lshrrev_b32_e32 v4, s28, v9
	v_and_b32_e32 v4, s34, v4
	v_lshlrev_b32_e32 v7, 2, v4
	ds_read_b32 v7, v7
	s_waitcnt lgkmcnt(0)
	v_add_nc_u32_e32 v7, v7, v25
	v_lshlrev_b64 v[7:8], 2, v[7:8]
	v_add_co_u32 v7, s9, s18, v7
	v_add_co_ci_u32_e64 v8, null, s19, v8, s9
	global_store_dword v[7:8], v9, off
.LBB210_41:
	s_or_b32 exec_lo, exec_lo, s10
	v_or_b32_e32 v26, 0x800, v0
	v_cmp_gt_u32_e64 s9, s33, v26
	s_and_saveexec_b32 s11, s9
	s_cbranch_execz .LBB210_43
; %bb.42:
	ds_read_b32 v9, v17 offset:9216
	v_mov_b32_e32 v8, 0
	s_waitcnt lgkmcnt(0)
	v_lshrrev_b32_e32 v5, s28, v9
	v_and_b32_e32 v5, s34, v5
	v_lshlrev_b32_e32 v7, 2, v5
	ds_read_b32 v7, v7
	s_waitcnt lgkmcnt(0)
	v_add_nc_u32_e32 v7, v7, v26
	v_lshlrev_b64 v[7:8], 2, v[7:8]
	v_add_co_u32 v7, s10, s18, v7
	v_add_co_ci_u32_e64 v8, null, s19, v8, s10
	global_store_dword v[7:8], v9, off
.LBB210_43:
	;; [unrolled: 20-line block ×3, first 2 shown]
	s_or_b32 exec_lo, exec_lo, s12
	v_lshlrev_b32_e32 v7, 3, v18
	s_lshl_b64 s[30:31], s[30:31], 3
	v_lshlrev_b32_e32 v9, 3, v11
	s_add_u32 s11, s20, s30
	s_addc_u32 s12, s21, s31
	v_add_co_u32 v7, s11, s11, v7
	v_add_co_ci_u32_e64 v10, null, s12, 0, s11
	v_mov_b32_e32 v8, 0
	v_add_co_u32 v13, s11, v7, v9
	v_add_co_ci_u32_e64 v14, null, 0, v10, s11
	v_mov_b32_e32 v10, 0
	v_mov_b32_e32 v9, 0
	s_and_saveexec_b32 s11, s1
	s_cbranch_execz .LBB210_47
; %bb.46:
	global_load_dwordx2 v[9:10], v[13:14], off
.LBB210_47:
	s_or_b32 exec_lo, exec_lo, s11
	v_mov_b32_e32 v7, 0
	s_and_saveexec_b32 s1, s2
	s_cbranch_execz .LBB210_49
; %bb.48:
	global_load_dwordx2 v[7:8], v[13:14], off offset:256
.LBB210_49:
	s_or_b32 exec_lo, exec_lo, s1
	v_mov_b32_e32 v12, 0
	v_mov_b32_e32 v16, 0
	;; [unrolled: 1-line block ×3, first 2 shown]
	s_and_saveexec_b32 s1, s0
	s_cbranch_execz .LBB210_51
; %bb.50:
	global_load_dwordx2 v[15:16], v[13:14], off offset:512
.LBB210_51:
	s_or_b32 exec_lo, exec_lo, s1
	v_mov_b32_e32 v11, 0
	s_and_saveexec_b32 s0, vcc_lo
	s_cbranch_execz .LBB210_53
; %bb.52:
	global_load_dwordx2 v[11:12], v[13:14], off offset:768
.LBB210_53:
	s_or_b32 exec_lo, exec_lo, s0
	v_min_u32_e32 v13, 0x1000, v24
	v_min_u32_e32 v14, 0x1000, v23
	;; [unrolled: 1-line block ×4, first 2 shown]
	s_waitcnt vmcnt(0)
	s_waitcnt_vscnt null, 0x0
	v_lshlrev_b32_e32 v13, 3, v13
	v_lshlrev_b32_e32 v14, 3, v14
	;; [unrolled: 1-line block ×3, first 2 shown]
	s_barrier
	buffer_gl0_inv
	v_lshlrev_b32_e32 v21, 3, v21
	ds_write_b64 v13, v[9:10] offset:1024
	ds_write_b64 v14, v[7:8] offset:1024
	;; [unrolled: 1-line block ×3, first 2 shown]
	v_lshlrev_b32_e32 v7, 3, v0
	ds_write_b64 v21, v[11:12] offset:1024
	s_waitcnt lgkmcnt(0)
	s_barrier
	buffer_gl0_inv
	s_and_saveexec_b32 s0, s7
	s_cbranch_execz .LBB210_57
; %bb.54:
	v_lshlrev_b32_e32 v3, 2, v3
	v_mov_b32_e32 v11, 0
	ds_read_b32 v3, v3
	ds_read_b64 v[8:9], v7 offset:1024
	s_waitcnt lgkmcnt(1)
	v_add_nc_u32_e32 v10, v3, v0
	v_lshlrev_b64 v[10:11], 3, v[10:11]
	v_add_co_u32 v10, vcc_lo, s22, v10
	v_add_co_ci_u32_e64 v11, null, s23, v11, vcc_lo
	s_waitcnt lgkmcnt(0)
	global_store_dwordx2 v[10:11], v[8:9], off
	s_or_b32 exec_lo, exec_lo, s0
	s_and_saveexec_b32 s0, s8
	s_cbranch_execnz .LBB210_58
.LBB210_55:
	s_or_b32 exec_lo, exec_lo, s0
	s_and_saveexec_b32 s0, s9
	s_cbranch_execz .LBB210_59
.LBB210_56:
	v_lshlrev_b32_e32 v3, 2, v5
	v_mov_b32_e32 v9, 0
	ds_read_b32 v5, v3
	ds_read_b64 v[3:4], v7 offset:17408
	s_waitcnt lgkmcnt(1)
	v_add_nc_u32_e32 v8, v5, v26
	v_lshlrev_b64 v[8:9], 3, v[8:9]
	v_add_co_u32 v8, vcc_lo, s22, v8
	v_add_co_ci_u32_e64 v9, null, s23, v9, vcc_lo
	s_waitcnt lgkmcnt(0)
	global_store_dwordx2 v[8:9], v[3:4], off
	s_or_b32 exec_lo, exec_lo, s0
	s_and_saveexec_b32 s0, s10
	s_cbranch_execnz .LBB210_60
	s_branch .LBB210_61
.LBB210_57:
	s_or_b32 exec_lo, exec_lo, s0
	s_and_saveexec_b32 s0, s8
	s_cbranch_execz .LBB210_55
.LBB210_58:
	v_lshlrev_b32_e32 v3, 2, v4
	v_mov_b32_e32 v9, 0
	ds_read_b32 v8, v3
	ds_read_b64 v[3:4], v7 offset:9216
	s_waitcnt lgkmcnt(1)
	v_add_nc_u32_e32 v8, v8, v25
	v_lshlrev_b64 v[8:9], 3, v[8:9]
	v_add_co_u32 v8, vcc_lo, s22, v8
	v_add_co_ci_u32_e64 v9, null, s23, v9, vcc_lo
	s_waitcnt lgkmcnt(0)
	global_store_dwordx2 v[8:9], v[3:4], off
	s_or_b32 exec_lo, exec_lo, s0
	s_and_saveexec_b32 s0, s9
	s_cbranch_execnz .LBB210_56
.LBB210_59:
	s_or_b32 exec_lo, exec_lo, s0
	s_and_saveexec_b32 s0, s10
	s_cbranch_execz .LBB210_61
.LBB210_60:
	v_lshlrev_b32_e32 v3, 2, v6
	v_mov_b32_e32 v6, 0
	ds_read_b32 v5, v3
	ds_read_b64 v[3:4], v7 offset:25600
	s_waitcnt lgkmcnt(1)
	v_add_nc_u32_e32 v5, v5, v27
	v_lshlrev_b64 v[5:6], 3, v[5:6]
	v_add_co_u32 v5, vcc_lo, s22, v5
	v_add_co_ci_u32_e64 v6, null, s23, v6, vcc_lo
	s_waitcnt lgkmcnt(0)
	global_store_dwordx2 v[5:6], v[3:4], off
.LBB210_61:
	s_or_b32 exec_lo, exec_lo, s0
	s_add_i32 s13, s13, -1
	s_cmp_eq_u32 s6, s13
	s_cselect_b32 s0, -1, 0
	s_xor_b32 s1, s3, -1
	s_and_b32 s1, s1, s0
	s_and_saveexec_b32 s0, s1
	s_cbranch_execz .LBB210_63
; %bb.62:
	ds_read_b32 v3, v17
	s_waitcnt lgkmcnt(0)
	v_add3_u32 v3, v19, v20, v3
	global_store_dword v17, v3, s[26:27]
.LBB210_63:
	s_or_b32 exec_lo, exec_lo, s0
	s_mov_b32 s0, 0
.LBB210_64:
	s_and_b32 vcc_lo, exec_lo, s0
	s_cbranch_vccz .LBB210_95
; %bb.65:
	s_lshl_b32 s8, s6, 12
	s_mov_b32 s9, 0
	v_and_b32_e32 v9, 0xf80, v17
	v_lshlrev_b32_e32 v3, 2, v18
	s_lshl_b64 s[0:1], s[8:9], 2
	s_add_u32 s0, s16, s0
	s_addc_u32 s1, s17, s1
	v_lshlrev_b32_e32 v4, 2, v9
	v_add_co_u32 v3, s0, s0, v3
	v_add_co_ci_u32_e64 v5, null, s1, 0, s0
	s_add_u32 s1, s4, 0x58
	v_add_co_u32 v3, vcc_lo, v3, v4
	v_add_co_ci_u32_e64 v4, null, 0, v5, vcc_lo
	s_addc_u32 s2, s5, 0
	v_mov_b32_e32 v5, 0
	global_load_dword v10, v[3:4], off
	s_clause 0x1
	s_load_dword s0, s[4:5], 0x64
	s_load_dword s7, s[4:5], 0x58
	s_waitcnt lgkmcnt(0)
	s_lshr_b32 s3, s0, 16
	s_cmp_lt_u32 s6, s7
	v_mad_u32_u24 v1, v2, s3, v1
	s_cselect_b32 s0, 12, 18
	s_add_u32 s0, s1, s0
	s_addc_u32 s1, s2, 0
	global_load_ushort v6, v5, s[0:1]
	s_clause 0x2
	global_load_dword v11, v[3:4], off offset:128
	global_load_dword v12, v[3:4], off offset:256
	;; [unrolled: 1-line block ×3, first 2 shown]
	s_lshl_b32 s0, -1, s29
	s_not_b32 s10, s0
	s_waitcnt vmcnt(4)
	v_lshrrev_b32_e32 v3, s28, v10
	v_and_b32_e32 v3, s10, v3
	v_and_b32_e32 v4, 1, v3
	v_lshlrev_b32_e32 v7, 30, v3
	v_lshlrev_b32_e32 v8, 29, v3
	;; [unrolled: 1-line block ×4, first 2 shown]
	v_add_co_u32 v4, s0, v4, -1
	v_cndmask_b32_e64 v15, 0, 1, s0
	v_not_b32_e32 v21, v7
	v_cmp_gt_i32_e64 s0, 0, v7
	v_not_b32_e32 v7, v8
	v_lshlrev_b32_e32 v19, 26, v3
	v_cmp_ne_u32_e32 vcc_lo, 0, v15
	v_ashrrev_i32_e32 v21, 31, v21
	v_lshlrev_b32_e32 v20, 25, v3
	v_ashrrev_i32_e32 v7, 31, v7
	v_lshlrev_b32_e32 v15, 24, v3
	v_xor_b32_e32 v4, vcc_lo, v4
	v_cmp_gt_i32_e32 vcc_lo, 0, v8
	v_not_b32_e32 v8, v14
	v_xor_b32_e32 v21, s0, v21
	v_cmp_gt_i32_e64 s0, 0, v14
	v_and_b32_e32 v4, exec_lo, v4
	v_not_b32_e32 v14, v16
	v_ashrrev_i32_e32 v8, 31, v8
	v_xor_b32_e32 v7, vcc_lo, v7
	v_cmp_gt_i32_e32 vcc_lo, 0, v16
	v_and_b32_e32 v4, v4, v21
	v_not_b32_e32 v16, v19
	v_ashrrev_i32_e32 v14, 31, v14
	v_xor_b32_e32 v8, s0, v8
	v_cmp_gt_i32_e64 s0, 0, v19
	v_and_b32_e32 v4, v4, v7
	v_not_b32_e32 v7, v20
	v_ashrrev_i32_e32 v16, 31, v16
	v_xor_b32_e32 v14, vcc_lo, v14
	v_cmp_gt_i32_e32 vcc_lo, 0, v20
	v_and_b32_e32 v4, v4, v8
	v_not_b32_e32 v8, v15
	v_ashrrev_i32_e32 v7, 31, v7
	v_xor_b32_e32 v16, s0, v16
	v_cmp_gt_i32_e64 s0, 0, v15
	v_and_b32_e32 v4, v4, v14
	v_ashrrev_i32_e32 v8, 31, v8
	v_xor_b32_e32 v7, vcc_lo, v7
	s_waitcnt vmcnt(3)
	v_mad_u64_u32 v[1:2], null, v1, v6, v[0:1]
	v_and_b32_e32 v4, v4, v16
	v_xor_b32_e32 v2, s0, v8
	v_mul_lo_u32 v3, 0x84, v3
	v_mul_u32_u24_e32 v15, 36, v0
	v_and_b32_e32 v4, v4, v7
	v_lshrrev_b32_e32 v1, 3, v1
	ds_write2_b32 v15, v5, v5 offset0:32 offset1:33
	ds_write2_b32 v15, v5, v5 offset0:34 offset1:35
	;; [unrolled: 1-line block ×3, first 2 shown]
	v_and_b32_e32 v2, v4, v2
	v_and_b32_e32 v1, 0x1ffffffc, v1
	ds_write2_b32 v15, v5, v5 offset0:38 offset1:39
	ds_write_b32 v15, v5 offset:160
	s_waitcnt vmcnt(0) lgkmcnt(0)
	s_waitcnt_vscnt null, 0x0
	s_barrier
	v_mbcnt_lo_u32_b32 v14, v2, 0
	v_cmp_ne_u32_e64 s0, 0, v2
	v_add_nc_u32_e32 v16, v1, v3
	buffer_gl0_inv
	v_cmp_eq_u32_e32 vcc_lo, 0, v14
	; wave barrier
	s_and_b32 s1, s0, vcc_lo
	s_and_saveexec_b32 s0, s1
; %bb.66:
	v_bcnt_u32_b32 v2, v2, 0
	ds_write_b32 v16, v2 offset:128
; %bb.67:
	s_or_b32 exec_lo, exec_lo, s0
	v_lshrrev_b32_e32 v2, s28, v11
	; wave barrier
	v_and_b32_e32 v2, s10, v2
	v_and_b32_e32 v4, 1, v2
	v_lshlrev_b32_e32 v5, 30, v2
	v_lshlrev_b32_e32 v6, 29, v2
	;; [unrolled: 1-line block ×4, first 2 shown]
	v_add_co_u32 v4, s0, v4, -1
	v_cndmask_b32_e64 v8, 0, 1, s0
	v_not_b32_e32 v22, v5
	v_cmp_gt_i32_e64 s0, 0, v5
	v_not_b32_e32 v5, v6
	v_lshlrev_b32_e32 v20, 26, v2
	v_cmp_ne_u32_e32 vcc_lo, 0, v8
	v_ashrrev_i32_e32 v8, 31, v22
	v_lshlrev_b32_e32 v21, 25, v2
	v_ashrrev_i32_e32 v5, 31, v5
	v_mul_lo_u32 v3, 0x84, v2
	v_xor_b32_e32 v4, vcc_lo, v4
	v_cmp_gt_i32_e32 vcc_lo, 0, v6
	v_not_b32_e32 v6, v7
	v_xor_b32_e32 v8, s0, v8
	v_cmp_gt_i32_e64 s0, 0, v7
	v_and_b32_e32 v4, exec_lo, v4
	v_not_b32_e32 v7, v19
	v_ashrrev_i32_e32 v6, 31, v6
	v_xor_b32_e32 v5, vcc_lo, v5
	v_cmp_gt_i32_e32 vcc_lo, 0, v19
	v_and_b32_e32 v4, v4, v8
	v_not_b32_e32 v8, v20
	v_ashrrev_i32_e32 v7, 31, v7
	v_xor_b32_e32 v6, s0, v6
	v_lshlrev_b32_e32 v2, 24, v2
	v_and_b32_e32 v4, v4, v5
	v_cmp_gt_i32_e64 s0, 0, v20
	v_not_b32_e32 v5, v21
	v_ashrrev_i32_e32 v8, 31, v8
	v_xor_b32_e32 v7, vcc_lo, v7
	v_and_b32_e32 v4, v4, v6
	v_cmp_gt_i32_e32 vcc_lo, 0, v21
	v_not_b32_e32 v6, v2
	v_ashrrev_i32_e32 v5, 31, v5
	v_xor_b32_e32 v8, s0, v8
	v_and_b32_e32 v4, v4, v7
	v_cmp_gt_i32_e64 s0, 0, v2
	v_ashrrev_i32_e32 v2, 31, v6
	v_xor_b32_e32 v5, vcc_lo, v5
	v_add_nc_u32_e32 v21, v1, v3
	v_and_b32_e32 v4, v4, v8
	v_xor_b32_e32 v2, s0, v2
	ds_read_b32 v19, v21 offset:128
	v_and_b32_e32 v3, v4, v5
	; wave barrier
	v_and_b32_e32 v2, v3, v2
	v_mbcnt_lo_u32_b32 v20, v2, 0
	v_cmp_ne_u32_e64 s0, 0, v2
	v_cmp_eq_u32_e32 vcc_lo, 0, v20
	s_and_b32 s1, s0, vcc_lo
	s_and_saveexec_b32 s0, s1
	s_cbranch_execz .LBB210_69
; %bb.68:
	s_waitcnt lgkmcnt(0)
	v_bcnt_u32_b32 v2, v2, v19
	ds_write_b32 v21, v2 offset:128
.LBB210_69:
	s_or_b32 exec_lo, exec_lo, s0
	v_lshrrev_b32_e32 v2, s28, v12
	; wave barrier
	v_and_b32_e32 v2, s10, v2
	v_and_b32_e32 v4, 1, v2
	v_lshlrev_b32_e32 v5, 30, v2
	v_lshlrev_b32_e32 v6, 29, v2
	v_lshlrev_b32_e32 v7, 28, v2
	v_lshlrev_b32_e32 v22, 27, v2
	v_add_co_u32 v4, s0, v4, -1
	v_cndmask_b32_e64 v8, 0, 1, s0
	v_not_b32_e32 v25, v5
	v_cmp_gt_i32_e64 s0, 0, v5
	v_not_b32_e32 v5, v6
	v_lshlrev_b32_e32 v23, 26, v2
	v_cmp_ne_u32_e32 vcc_lo, 0, v8
	v_ashrrev_i32_e32 v8, 31, v25
	v_lshlrev_b32_e32 v24, 25, v2
	v_ashrrev_i32_e32 v5, 31, v5
	v_mul_lo_u32 v3, 0x84, v2
	v_xor_b32_e32 v4, vcc_lo, v4
	v_cmp_gt_i32_e32 vcc_lo, 0, v6
	v_not_b32_e32 v6, v7
	v_xor_b32_e32 v8, s0, v8
	v_cmp_gt_i32_e64 s0, 0, v7
	v_and_b32_e32 v4, exec_lo, v4
	v_not_b32_e32 v7, v22
	v_ashrrev_i32_e32 v6, 31, v6
	v_xor_b32_e32 v5, vcc_lo, v5
	v_cmp_gt_i32_e32 vcc_lo, 0, v22
	v_and_b32_e32 v4, v4, v8
	v_not_b32_e32 v8, v23
	v_ashrrev_i32_e32 v7, 31, v7
	v_xor_b32_e32 v6, s0, v6
	v_lshlrev_b32_e32 v2, 24, v2
	v_and_b32_e32 v4, v4, v5
	v_cmp_gt_i32_e64 s0, 0, v23
	v_not_b32_e32 v5, v24
	v_ashrrev_i32_e32 v8, 31, v8
	v_xor_b32_e32 v7, vcc_lo, v7
	v_and_b32_e32 v4, v4, v6
	v_cmp_gt_i32_e32 vcc_lo, 0, v24
	v_not_b32_e32 v6, v2
	v_ashrrev_i32_e32 v5, 31, v5
	v_xor_b32_e32 v8, s0, v8
	v_and_b32_e32 v4, v4, v7
	v_cmp_gt_i32_e64 s0, 0, v2
	v_ashrrev_i32_e32 v2, 31, v6
	v_xor_b32_e32 v5, vcc_lo, v5
	v_add_nc_u32_e32 v24, v1, v3
	v_and_b32_e32 v4, v4, v8
	v_xor_b32_e32 v2, s0, v2
	ds_read_b32 v22, v24 offset:128
	v_and_b32_e32 v3, v4, v5
	; wave barrier
	v_and_b32_e32 v2, v3, v2
	v_mbcnt_lo_u32_b32 v23, v2, 0
	v_cmp_ne_u32_e64 s0, 0, v2
	v_cmp_eq_u32_e32 vcc_lo, 0, v23
	s_and_b32 s1, s0, vcc_lo
	s_and_saveexec_b32 s0, s1
	s_cbranch_execz .LBB210_71
; %bb.70:
	s_waitcnt lgkmcnt(0)
	v_bcnt_u32_b32 v2, v2, v22
	ds_write_b32 v24, v2 offset:128
.LBB210_71:
	s_or_b32 exec_lo, exec_lo, s0
	v_lshrrev_b32_e32 v2, s28, v13
	; wave barrier
	v_and_b32_e32 v2, s10, v2
	v_and_b32_e32 v4, 1, v2
	v_lshlrev_b32_e32 v5, 30, v2
	v_lshlrev_b32_e32 v6, 29, v2
	;; [unrolled: 1-line block ×4, first 2 shown]
	v_add_co_u32 v4, s0, v4, -1
	v_cndmask_b32_e64 v8, 0, 1, s0
	v_not_b32_e32 v28, v5
	v_cmp_gt_i32_e64 s0, 0, v5
	v_not_b32_e32 v5, v6
	v_lshlrev_b32_e32 v26, 26, v2
	v_cmp_ne_u32_e32 vcc_lo, 0, v8
	v_ashrrev_i32_e32 v8, 31, v28
	v_lshlrev_b32_e32 v27, 25, v2
	v_ashrrev_i32_e32 v5, 31, v5
	v_mul_lo_u32 v3, 0x84, v2
	v_xor_b32_e32 v4, vcc_lo, v4
	v_cmp_gt_i32_e32 vcc_lo, 0, v6
	v_not_b32_e32 v6, v7
	v_xor_b32_e32 v8, s0, v8
	v_cmp_gt_i32_e64 s0, 0, v7
	v_and_b32_e32 v4, exec_lo, v4
	v_not_b32_e32 v7, v25
	v_ashrrev_i32_e32 v6, 31, v6
	v_xor_b32_e32 v5, vcc_lo, v5
	v_cmp_gt_i32_e32 vcc_lo, 0, v25
	v_and_b32_e32 v4, v4, v8
	v_not_b32_e32 v8, v26
	v_ashrrev_i32_e32 v7, 31, v7
	v_xor_b32_e32 v6, s0, v6
	v_lshlrev_b32_e32 v2, 24, v2
	v_and_b32_e32 v4, v4, v5
	v_cmp_gt_i32_e64 s0, 0, v26
	v_not_b32_e32 v5, v27
	v_ashrrev_i32_e32 v8, 31, v8
	v_xor_b32_e32 v7, vcc_lo, v7
	v_and_b32_e32 v4, v4, v6
	v_cmp_gt_i32_e32 vcc_lo, 0, v27
	v_not_b32_e32 v6, v2
	v_ashrrev_i32_e32 v5, 31, v5
	v_xor_b32_e32 v8, s0, v8
	v_and_b32_e32 v4, v4, v7
	v_cmp_gt_i32_e64 s0, 0, v2
	v_ashrrev_i32_e32 v2, 31, v6
	v_xor_b32_e32 v5, vcc_lo, v5
	v_add_nc_u32_e32 v27, v1, v3
	v_and_b32_e32 v4, v4, v8
	v_xor_b32_e32 v1, s0, v2
	ds_read_b32 v25, v27 offset:128
	v_and_b32_e32 v2, v4, v5
	; wave barrier
	v_and_b32_e32 v1, v2, v1
	v_mbcnt_lo_u32_b32 v26, v1, 0
	v_cmp_ne_u32_e64 s0, 0, v1
	v_cmp_eq_u32_e32 vcc_lo, 0, v26
	s_and_b32 s1, s0, vcc_lo
	s_and_saveexec_b32 s0, s1
	s_cbranch_execz .LBB210_73
; %bb.72:
	s_waitcnt lgkmcnt(0)
	v_bcnt_u32_b32 v1, v1, v25
	ds_write_b32 v27, v1 offset:128
.LBB210_73:
	s_or_b32 exec_lo, exec_lo, s0
	; wave barrier
	s_waitcnt lgkmcnt(0)
	s_barrier
	buffer_gl0_inv
	ds_read2_b32 v[7:8], v15 offset0:32 offset1:33
	ds_read2_b32 v[5:6], v15 offset0:34 offset1:35
	;; [unrolled: 1-line block ×4, first 2 shown]
	ds_read_b32 v28, v15 offset:160
	v_and_b32_e32 v31, 16, v18
	v_and_b32_e32 v32, 31, v0
	s_mov_b32 s5, exec_lo
	v_cmp_eq_u32_e64 s3, 0, v31
	s_waitcnt lgkmcnt(3)
	v_add3_u32 v29, v8, v7, v5
	s_waitcnt lgkmcnt(2)
	v_add3_u32 v29, v29, v6, v3
	;; [unrolled: 2-line block ×4, first 2 shown]
	v_and_b32_e32 v29, 15, v18
	v_mov_b32_dpp v30, v28 row_shr:1 row_mask:0xf bank_mask:0xf
	v_cmp_eq_u32_e32 vcc_lo, 0, v29
	v_cmp_lt_u32_e64 s0, 1, v29
	v_cmp_lt_u32_e64 s1, 3, v29
	;; [unrolled: 1-line block ×3, first 2 shown]
	v_cndmask_b32_e64 v30, v30, 0, vcc_lo
	v_add_nc_u32_e32 v28, v30, v28
	v_mov_b32_dpp v30, v28 row_shr:2 row_mask:0xf bank_mask:0xf
	v_cndmask_b32_e64 v30, 0, v30, s0
	v_add_nc_u32_e32 v28, v28, v30
	v_mov_b32_dpp v30, v28 row_shr:4 row_mask:0xf bank_mask:0xf
	v_cndmask_b32_e64 v30, 0, v30, s1
	;; [unrolled: 3-line block ×3, first 2 shown]
	v_bfe_i32 v30, v18, 4, 1
	v_add_nc_u32_e32 v28, v28, v29
	ds_swizzle_b32 v29, v28 offset:swizzle(BROADCAST,32,15)
	s_waitcnt lgkmcnt(0)
	v_and_b32_e32 v30, v30, v29
	v_lshrrev_b32_e32 v29, 5, v0
	v_add_nc_u32_e32 v28, v28, v30
	v_cmpx_eq_u32_e32 31, v32
; %bb.74:
	v_lshlrev_b32_e32 v30, 2, v29
	ds_write_b32 v30, v28
; %bb.75:
	s_or_b32 exec_lo, exec_lo, s5
	v_cmp_lt_u32_e64 s4, 31, v0
	s_mov_b32 s11, exec_lo
	s_waitcnt lgkmcnt(0)
	s_barrier
	buffer_gl0_inv
	v_cmpx_gt_u32_e32 32, v0
	s_cbranch_execz .LBB210_77
; %bb.76:
	ds_read_b32 v30, v17
	s_waitcnt lgkmcnt(0)
	v_mov_b32_dpp v31, v30 row_shr:1 row_mask:0xf bank_mask:0xf
	v_cndmask_b32_e64 v31, v31, 0, vcc_lo
	v_add_nc_u32_e32 v30, v31, v30
	v_mov_b32_dpp v31, v30 row_shr:2 row_mask:0xf bank_mask:0xf
	v_cndmask_b32_e64 v31, 0, v31, s0
	v_add_nc_u32_e32 v30, v30, v31
	v_mov_b32_dpp v31, v30 row_shr:4 row_mask:0xf bank_mask:0xf
	v_cndmask_b32_e64 v31, 0, v31, s1
	;; [unrolled: 3-line block ×3, first 2 shown]
	v_add_nc_u32_e32 v30, v30, v31
	ds_swizzle_b32 v31, v30 offset:swizzle(BROADCAST,32,15)
	s_waitcnt lgkmcnt(0)
	v_cndmask_b32_e64 v31, v31, 0, s3
	v_add_nc_u32_e32 v30, v30, v31
	ds_write_b32 v17, v30
.LBB210_77:
	s_or_b32 exec_lo, exec_lo, s11
	v_mov_b32_e32 v30, 0
	s_waitcnt lgkmcnt(0)
	s_barrier
	buffer_gl0_inv
	s_and_saveexec_b32 s0, s4
; %bb.78:
	v_lshl_add_u32 v29, v29, 2, -4
	ds_read_b32 v30, v29
; %bb.79:
	s_or_b32 exec_lo, exec_lo, s0
	v_sub_co_u32 v29, vcc_lo, v18, 1
	s_waitcnt lgkmcnt(0)
	v_add_nc_u32_e32 v28, v30, v28
	v_cmp_gt_i32_e64 s0, 0, v29
	v_cndmask_b32_e64 v29, v29, v18, s0
	v_cmp_gt_u32_e64 s0, 0x100, v0
	v_lshlrev_b32_e32 v29, 2, v29
	ds_bpermute_b32 v28, v29, v28
	s_waitcnt lgkmcnt(0)
	v_cndmask_b32_e32 v28, v28, v30, vcc_lo
	v_cmp_ne_u32_e32 vcc_lo, 0, v0
	v_cndmask_b32_e32 v28, 0, v28, vcc_lo
	v_cmp_lt_u32_e32 vcc_lo, 0xff, v0
	v_add_nc_u32_e32 v7, v28, v7
	v_add_nc_u32_e32 v8, v7, v8
	;; [unrolled: 1-line block ×8, first 2 shown]
	ds_write2_b32 v15, v28, v7 offset0:32 offset1:33
	ds_write2_b32 v15, v8, v5 offset0:34 offset1:35
	;; [unrolled: 1-line block ×4, first 2 shown]
	ds_write_b32 v15, v2 offset:160
	s_waitcnt lgkmcnt(0)
	s_barrier
	buffer_gl0_inv
	ds_read_b32 v1, v16 offset:128
	ds_read_b32 v2, v21 offset:128
	;; [unrolled: 1-line block ×4, first 2 shown]
                                        ; implicit-def: $vgpr7
                                        ; implicit-def: $vgpr8
	s_and_saveexec_b32 s2, s0
	s_cbranch_execz .LBB210_83
; %bb.80:
	v_mul_u32_u24_e32 v5, 0x84, v0
	v_add_nc_u32_e32 v6, 1, v0
	s_mov_b32 s3, exec_lo
	ds_read_b32 v7, v5 offset:128
	v_mov_b32_e32 v5, 0x1000
	v_cmpx_ne_u32_e32 0x100, v6
; %bb.81:
	v_mul_u32_u24_e32 v5, 0x84, v6
	ds_read_b32 v5, v5 offset:128
; %bb.82:
	s_or_b32 exec_lo, exec_lo, s3
	s_waitcnt lgkmcnt(0)
	v_sub_nc_u32_e32 v8, v5, v7
.LBB210_83:
	s_or_b32 exec_lo, exec_lo, s2
	s_waitcnt lgkmcnt(3)
	v_add_nc_u32_e32 v21, v1, v14
	s_waitcnt lgkmcnt(2)
	v_add3_u32 v16, v20, v19, v2
	s_waitcnt lgkmcnt(1)
	v_add3_u32 v15, v23, v22, v3
	;; [unrolled: 2-line block ×3, first 2 shown]
	v_mov_b32_e32 v2, 0
	v_lshlrev_b32_e32 v1, 2, v21
	v_lshlrev_b32_e32 v3, 2, v16
	;; [unrolled: 1-line block ×4, first 2 shown]
	s_barrier
	buffer_gl0_inv
	ds_write_b32 v1, v10 offset:1024
	ds_write_b32 v3, v11 offset:1024
	;; [unrolled: 1-line block ×4, first 2 shown]
	s_and_saveexec_b32 s1, s0
	s_cbranch_execz .LBB210_93
; %bb.84:
	v_lshl_add_u32 v1, s6, 8, v0
	v_mov_b32_e32 v10, 0
	s_mov_b32 s2, 0
	s_mov_b32 s3, s6
	v_lshlrev_b64 v[3:4], 2, v[1:2]
	v_or_b32_e32 v1, 2.0, v8
	v_add_co_u32 v3, s0, s14, v3
	v_add_co_ci_u32_e64 v4, null, s15, v4, s0
                                        ; implicit-def: $sgpr0
	global_store_dword v[3:4], v1, off
	s_branch .LBB210_87
	.p2align	6
.LBB210_85:                             ;   in Loop: Header=BB210_87 Depth=1
	s_or_b32 exec_lo, exec_lo, s5
.LBB210_86:                             ;   in Loop: Header=BB210_87 Depth=1
	s_or_b32 exec_lo, exec_lo, s4
	v_and_b32_e32 v5, 0x3fffffff, v1
	v_cmp_gt_i32_e64 s0, -2.0, v1
	v_add_nc_u32_e32 v10, v5, v10
	s_and_b32 s4, exec_lo, s0
	s_or_b32 s2, s4, s2
	s_andn2_b32 exec_lo, exec_lo, s2
	s_cbranch_execz .LBB210_92
.LBB210_87:                             ; =>This Loop Header: Depth=1
                                        ;     Child Loop BB210_90 Depth 2
	s_or_b32 s0, s0, exec_lo
	s_cmp_eq_u32 s3, 0
	s_cbranch_scc1 .LBB210_91
; %bb.88:                               ;   in Loop: Header=BB210_87 Depth=1
	s_add_i32 s3, s3, -1
	s_mov_b32 s4, exec_lo
	v_lshl_or_b32 v1, s3, 8, v0
	v_lshlrev_b64 v[5:6], 2, v[1:2]
	v_add_co_u32 v5, s0, s14, v5
	v_add_co_ci_u32_e64 v6, null, s15, v6, s0
	global_load_dword v1, v[5:6], off glc dlc
	s_waitcnt vmcnt(0)
	v_cmpx_gt_u32_e32 2.0, v1
	s_cbranch_execz .LBB210_86
; %bb.89:                               ;   in Loop: Header=BB210_87 Depth=1
	s_mov_b32 s5, 0
.LBB210_90:                             ;   Parent Loop BB210_87 Depth=1
                                        ; =>  This Inner Loop Header: Depth=2
	global_load_dword v1, v[5:6], off glc dlc
	s_waitcnt vmcnt(0)
	v_cmp_lt_u32_e64 s0, 0x3fffffff, v1
	s_or_b32 s5, s0, s5
	s_andn2_b32 exec_lo, exec_lo, s5
	s_cbranch_execnz .LBB210_90
	s_branch .LBB210_85
.LBB210_91:                             ;   in Loop: Header=BB210_87 Depth=1
                                        ; implicit-def: $sgpr3
	s_and_b32 s4, exec_lo, s0
	s_or_b32 s2, s4, s2
	s_andn2_b32 exec_lo, exec_lo, s2
	s_cbranch_execnz .LBB210_87
.LBB210_92:
	s_or_b32 exec_lo, exec_lo, s2
	v_add_nc_u32_e32 v1, v10, v8
	v_sub_nc_u32_e32 v2, v10, v7
	v_or_b32_e32 v1, 0x80000000, v1
	global_store_dword v[3:4], v1, off
	global_load_dword v1, v17, s[24:25]
	s_waitcnt vmcnt(0)
	v_add_nc_u32_e32 v1, v2, v1
	ds_write_b32 v17, v1
.LBB210_93:
	s_or_b32 exec_lo, exec_lo, s1
	s_waitcnt lgkmcnt(0)
	s_waitcnt_vscnt null, 0x0
	s_barrier
	buffer_gl0_inv
	ds_read2st64_b32 v[1:2], v17 offset0:4 offset1:20
	ds_read2st64_b32 v[3:4], v17 offset0:36 offset1:52
	v_or_b32_e32 v28, 0x400, v0
	v_or_b32_e32 v29, 0x800, v0
	v_lshlrev_b32_e32 v12, 3, v18
	v_lshlrev_b32_e32 v24, 3, v9
	s_lshl_b64 s[0:1], s[8:9], 3
	v_or_b32_e32 v30, 0xc00, v0
	s_add_u32 s0, s20, s0
	s_addc_u32 s1, s21, s1
	v_add_co_u32 v25, s0, s0, v12
	v_add_co_ci_u32_e64 v31, null, s1, 0, s0
	v_min_u32_e32 v16, 0x1000, v16
	v_min_u32_e32 v15, 0x1000, v15
	;; [unrolled: 1-line block ×3, first 2 shown]
	s_add_i32 s7, s7, -1
	v_lshlrev_b32_e32 v16, 3, v16
	s_waitcnt lgkmcnt(1)
	v_lshrrev_b32_e32 v5, s28, v1
	v_lshrrev_b32_e32 v6, s28, v2
	v_lshlrev_b32_e32 v15, 3, v15
	v_lshlrev_b32_e32 v14, 3, v14
	s_cmp_eq_u32 s6, s7
	v_and_b32_e32 v5, s10, v5
	v_lshlrev_b32_e32 v13, 2, v5
	v_and_b32_e32 v5, s10, v6
	s_waitcnt lgkmcnt(0)
	v_lshrrev_b32_e32 v6, s28, v3
	ds_read_b32 v10, v13
	v_lshlrev_b32_e32 v20, 2, v5
	v_and_b32_e32 v5, s10, v6
	v_lshrrev_b32_e32 v6, s28, v4
	ds_read_b32 v11, v20
	v_lshlrev_b32_e32 v26, 2, v5
	v_and_b32_e32 v5, s10, v6
	v_mov_b32_e32 v6, 0
	ds_read_b32 v19, v26
	v_lshlrev_b32_e32 v27, 2, v5
	ds_read_b32 v22, v27
	s_waitcnt lgkmcnt(3)
	v_add_nc_u32_e32 v5, v10, v0
	v_lshlrev_b64 v[9:10], 2, v[5:6]
	s_waitcnt lgkmcnt(2)
	v_add_nc_u32_e32 v5, v11, v28
	v_lshlrev_b64 v[11:12], 2, v[5:6]
	s_waitcnt lgkmcnt(1)
	v_add_nc_u32_e32 v5, v19, v29
	v_add_co_u32 v9, s0, s18, v9
	v_add_co_ci_u32_e64 v10, null, s19, v10, s0
	v_lshlrev_b64 v[18:19], 2, v[5:6]
	s_waitcnt lgkmcnt(0)
	v_add_nc_u32_e32 v5, v22, v30
	v_add_co_u32 v11, s0, s18, v11
	v_add_co_ci_u32_e64 v12, null, s19, v12, s0
	v_lshlrev_b64 v[22:23], 2, v[5:6]
	v_add_co_u32 v18, s0, s18, v18
	v_add_co_ci_u32_e64 v19, null, s19, v19, s0
	v_min_u32_e32 v5, 0x1000, v21
	v_add_co_u32 v22, s0, s18, v22
	v_add_co_ci_u32_e64 v23, null, s19, v23, s0
	v_add_co_u32 v24, s0, v25, v24
	v_add_co_ci_u32_e64 v25, null, 0, v31, s0
	global_store_dword v[9:10], v1, off
	global_store_dword v[11:12], v2, off
	global_store_dword v[18:19], v3, off
	global_store_dword v[22:23], v4, off
	s_clause 0x3
	global_load_dwordx2 v[1:2], v[24:25], off
	global_load_dwordx2 v[3:4], v[24:25], off offset:256
	global_load_dwordx2 v[9:10], v[24:25], off offset:512
	;; [unrolled: 1-line block ×3, first 2 shown]
	v_lshlrev_b32_e32 v5, 3, v5
	s_waitcnt vmcnt(0)
	s_waitcnt_vscnt null, 0x0
	s_barrier
	buffer_gl0_inv
	ds_write_b64 v5, v[1:2] offset:1024
	ds_write_b64 v16, v[3:4] offset:1024
	;; [unrolled: 1-line block ×4, first 2 shown]
	s_waitcnt lgkmcnt(0)
	s_barrier
	buffer_gl0_inv
	ds_read_b32 v1, v13
	ds_read_b32 v4, v20
	;; [unrolled: 1-line block ×4, first 2 shown]
	v_add_nc_u32_e32 v9, v17, v17
	s_waitcnt lgkmcnt(3)
	v_add_nc_u32_e32 v5, v1, v0
	ds_read2st64_b64 v[0:3], v9 offset0:2 offset1:18
	ds_read2st64_b64 v[9:12], v9 offset0:34 offset1:50
	v_lshlrev_b64 v[13:14], 3, v[5:6]
	s_waitcnt lgkmcnt(4)
	v_add_nc_u32_e32 v5, v4, v28
	v_lshlrev_b64 v[15:16], 3, v[5:6]
	s_waitcnt lgkmcnt(3)
	v_add_nc_u32_e32 v5, v18, v29
	v_add_co_u32 v13, s0, s22, v13
	v_add_co_ci_u32_e64 v14, null, s23, v14, s0
	v_lshlrev_b64 v[18:19], 3, v[5:6]
	s_waitcnt lgkmcnt(2)
	v_add_nc_u32_e32 v5, v20, v30
	v_add_co_u32 v15, s0, s22, v15
	v_add_co_ci_u32_e64 v16, null, s23, v16, s0
	s_waitcnt lgkmcnt(1)
	global_store_dwordx2 v[13:14], v[0:1], off
	v_lshlrev_b64 v[0:1], 3, v[5:6]
	global_store_dwordx2 v[15:16], v[2:3], off
	v_add_co_u32 v2, s0, s22, v18
	v_add_co_ci_u32_e64 v3, null, s23, v19, s0
	v_add_co_u32 v0, s0, s22, v0
	v_add_co_ci_u32_e64 v1, null, s23, v1, s0
	s_cselect_b32 s0, -1, 0
	s_xor_b32 s1, vcc_lo, -1
	s_waitcnt lgkmcnt(0)
	global_store_dwordx2 v[2:3], v[9:10], off
	s_and_b32 s0, s1, s0
	global_store_dwordx2 v[0:1], v[11:12], off
	s_and_saveexec_b32 s1, s0
	s_cbranch_execz .LBB210_95
; %bb.94:
	ds_read_b32 v0, v17
	s_waitcnt lgkmcnt(0)
	v_add3_u32 v0, v7, v8, v0
	global_store_dword v17, v0, s[26:27]
.LBB210_95:
	s_endpgm
	.section	.rodata,"a",@progbits
	.p2align	6, 0x0
	.amdhsa_kernel _ZN7rocprim17ROCPRIM_400000_NS6detail17trampoline_kernelINS0_14default_configENS1_35radix_sort_onesweep_config_selectorIjN6thrust23THRUST_200600_302600_NS5tupleIffNS6_9null_typeES8_S8_S8_S8_S8_S8_S8_EEEEZZNS1_29radix_sort_onesweep_iterationIS3_Lb0ENS6_6detail15normal_iteratorINS6_10device_ptrIjEEEESG_NSD_INSE_IS9_EEEESI_jNS0_19identity_decomposerENS1_16block_id_wrapperIjLb0EEEEE10hipError_tT1_PNSt15iterator_traitsISN_E10value_typeET2_T3_PNSO_IST_E10value_typeET4_T5_PSY_SZ_PNS1_23onesweep_lookback_stateEbbT6_jjT7_P12ihipStream_tbENKUlT_T0_SN_SS_E_clISG_SG_SI_SI_EEDaS16_S17_SN_SS_EUlS16_E_NS1_11comp_targetILNS1_3genE8ELNS1_11target_archE1030ELNS1_3gpuE2ELNS1_3repE0EEENS1_47radix_sort_onesweep_sort_config_static_selectorELNS0_4arch9wavefront6targetE0EEEvSN_
		.amdhsa_group_segment_fixed_size 37000
		.amdhsa_private_segment_fixed_size 0
		.amdhsa_kernarg_size 344
		.amdhsa_user_sgpr_count 6
		.amdhsa_user_sgpr_private_segment_buffer 1
		.amdhsa_user_sgpr_dispatch_ptr 0
		.amdhsa_user_sgpr_queue_ptr 0
		.amdhsa_user_sgpr_kernarg_segment_ptr 1
		.amdhsa_user_sgpr_dispatch_id 0
		.amdhsa_user_sgpr_flat_scratch_init 0
		.amdhsa_user_sgpr_private_segment_size 0
		.amdhsa_wavefront_size32 1
		.amdhsa_uses_dynamic_stack 0
		.amdhsa_system_sgpr_private_segment_wavefront_offset 0
		.amdhsa_system_sgpr_workgroup_id_x 1
		.amdhsa_system_sgpr_workgroup_id_y 0
		.amdhsa_system_sgpr_workgroup_id_z 0
		.amdhsa_system_sgpr_workgroup_info 0
		.amdhsa_system_vgpr_workitem_id 2
		.amdhsa_next_free_vgpr 35
		.amdhsa_next_free_sgpr 36
		.amdhsa_reserve_vcc 1
		.amdhsa_reserve_flat_scratch 0
		.amdhsa_float_round_mode_32 0
		.amdhsa_float_round_mode_16_64 0
		.amdhsa_float_denorm_mode_32 3
		.amdhsa_float_denorm_mode_16_64 3
		.amdhsa_dx10_clamp 1
		.amdhsa_ieee_mode 1
		.amdhsa_fp16_overflow 0
		.amdhsa_workgroup_processor_mode 1
		.amdhsa_memory_ordered 1
		.amdhsa_forward_progress 1
		.amdhsa_shared_vgpr_count 0
		.amdhsa_exception_fp_ieee_invalid_op 0
		.amdhsa_exception_fp_denorm_src 0
		.amdhsa_exception_fp_ieee_div_zero 0
		.amdhsa_exception_fp_ieee_overflow 0
		.amdhsa_exception_fp_ieee_underflow 0
		.amdhsa_exception_fp_ieee_inexact 0
		.amdhsa_exception_int_div_zero 0
	.end_amdhsa_kernel
	.section	.text._ZN7rocprim17ROCPRIM_400000_NS6detail17trampoline_kernelINS0_14default_configENS1_35radix_sort_onesweep_config_selectorIjN6thrust23THRUST_200600_302600_NS5tupleIffNS6_9null_typeES8_S8_S8_S8_S8_S8_S8_EEEEZZNS1_29radix_sort_onesweep_iterationIS3_Lb0ENS6_6detail15normal_iteratorINS6_10device_ptrIjEEEESG_NSD_INSE_IS9_EEEESI_jNS0_19identity_decomposerENS1_16block_id_wrapperIjLb0EEEEE10hipError_tT1_PNSt15iterator_traitsISN_E10value_typeET2_T3_PNSO_IST_E10value_typeET4_T5_PSY_SZ_PNS1_23onesweep_lookback_stateEbbT6_jjT7_P12ihipStream_tbENKUlT_T0_SN_SS_E_clISG_SG_SI_SI_EEDaS16_S17_SN_SS_EUlS16_E_NS1_11comp_targetILNS1_3genE8ELNS1_11target_archE1030ELNS1_3gpuE2ELNS1_3repE0EEENS1_47radix_sort_onesweep_sort_config_static_selectorELNS0_4arch9wavefront6targetE0EEEvSN_,"axG",@progbits,_ZN7rocprim17ROCPRIM_400000_NS6detail17trampoline_kernelINS0_14default_configENS1_35radix_sort_onesweep_config_selectorIjN6thrust23THRUST_200600_302600_NS5tupleIffNS6_9null_typeES8_S8_S8_S8_S8_S8_S8_EEEEZZNS1_29radix_sort_onesweep_iterationIS3_Lb0ENS6_6detail15normal_iteratorINS6_10device_ptrIjEEEESG_NSD_INSE_IS9_EEEESI_jNS0_19identity_decomposerENS1_16block_id_wrapperIjLb0EEEEE10hipError_tT1_PNSt15iterator_traitsISN_E10value_typeET2_T3_PNSO_IST_E10value_typeET4_T5_PSY_SZ_PNS1_23onesweep_lookback_stateEbbT6_jjT7_P12ihipStream_tbENKUlT_T0_SN_SS_E_clISG_SG_SI_SI_EEDaS16_S17_SN_SS_EUlS16_E_NS1_11comp_targetILNS1_3genE8ELNS1_11target_archE1030ELNS1_3gpuE2ELNS1_3repE0EEENS1_47radix_sort_onesweep_sort_config_static_selectorELNS0_4arch9wavefront6targetE0EEEvSN_,comdat
.Lfunc_end210:
	.size	_ZN7rocprim17ROCPRIM_400000_NS6detail17trampoline_kernelINS0_14default_configENS1_35radix_sort_onesweep_config_selectorIjN6thrust23THRUST_200600_302600_NS5tupleIffNS6_9null_typeES8_S8_S8_S8_S8_S8_S8_EEEEZZNS1_29radix_sort_onesweep_iterationIS3_Lb0ENS6_6detail15normal_iteratorINS6_10device_ptrIjEEEESG_NSD_INSE_IS9_EEEESI_jNS0_19identity_decomposerENS1_16block_id_wrapperIjLb0EEEEE10hipError_tT1_PNSt15iterator_traitsISN_E10value_typeET2_T3_PNSO_IST_E10value_typeET4_T5_PSY_SZ_PNS1_23onesweep_lookback_stateEbbT6_jjT7_P12ihipStream_tbENKUlT_T0_SN_SS_E_clISG_SG_SI_SI_EEDaS16_S17_SN_SS_EUlS16_E_NS1_11comp_targetILNS1_3genE8ELNS1_11target_archE1030ELNS1_3gpuE2ELNS1_3repE0EEENS1_47radix_sort_onesweep_sort_config_static_selectorELNS0_4arch9wavefront6targetE0EEEvSN_, .Lfunc_end210-_ZN7rocprim17ROCPRIM_400000_NS6detail17trampoline_kernelINS0_14default_configENS1_35radix_sort_onesweep_config_selectorIjN6thrust23THRUST_200600_302600_NS5tupleIffNS6_9null_typeES8_S8_S8_S8_S8_S8_S8_EEEEZZNS1_29radix_sort_onesweep_iterationIS3_Lb0ENS6_6detail15normal_iteratorINS6_10device_ptrIjEEEESG_NSD_INSE_IS9_EEEESI_jNS0_19identity_decomposerENS1_16block_id_wrapperIjLb0EEEEE10hipError_tT1_PNSt15iterator_traitsISN_E10value_typeET2_T3_PNSO_IST_E10value_typeET4_T5_PSY_SZ_PNS1_23onesweep_lookback_stateEbbT6_jjT7_P12ihipStream_tbENKUlT_T0_SN_SS_E_clISG_SG_SI_SI_EEDaS16_S17_SN_SS_EUlS16_E_NS1_11comp_targetILNS1_3genE8ELNS1_11target_archE1030ELNS1_3gpuE2ELNS1_3repE0EEENS1_47radix_sort_onesweep_sort_config_static_selectorELNS0_4arch9wavefront6targetE0EEEvSN_
                                        ; -- End function
	.set _ZN7rocprim17ROCPRIM_400000_NS6detail17trampoline_kernelINS0_14default_configENS1_35radix_sort_onesweep_config_selectorIjN6thrust23THRUST_200600_302600_NS5tupleIffNS6_9null_typeES8_S8_S8_S8_S8_S8_S8_EEEEZZNS1_29radix_sort_onesweep_iterationIS3_Lb0ENS6_6detail15normal_iteratorINS6_10device_ptrIjEEEESG_NSD_INSE_IS9_EEEESI_jNS0_19identity_decomposerENS1_16block_id_wrapperIjLb0EEEEE10hipError_tT1_PNSt15iterator_traitsISN_E10value_typeET2_T3_PNSO_IST_E10value_typeET4_T5_PSY_SZ_PNS1_23onesweep_lookback_stateEbbT6_jjT7_P12ihipStream_tbENKUlT_T0_SN_SS_E_clISG_SG_SI_SI_EEDaS16_S17_SN_SS_EUlS16_E_NS1_11comp_targetILNS1_3genE8ELNS1_11target_archE1030ELNS1_3gpuE2ELNS1_3repE0EEENS1_47radix_sort_onesweep_sort_config_static_selectorELNS0_4arch9wavefront6targetE0EEEvSN_.num_vgpr, 35
	.set _ZN7rocprim17ROCPRIM_400000_NS6detail17trampoline_kernelINS0_14default_configENS1_35radix_sort_onesweep_config_selectorIjN6thrust23THRUST_200600_302600_NS5tupleIffNS6_9null_typeES8_S8_S8_S8_S8_S8_S8_EEEEZZNS1_29radix_sort_onesweep_iterationIS3_Lb0ENS6_6detail15normal_iteratorINS6_10device_ptrIjEEEESG_NSD_INSE_IS9_EEEESI_jNS0_19identity_decomposerENS1_16block_id_wrapperIjLb0EEEEE10hipError_tT1_PNSt15iterator_traitsISN_E10value_typeET2_T3_PNSO_IST_E10value_typeET4_T5_PSY_SZ_PNS1_23onesweep_lookback_stateEbbT6_jjT7_P12ihipStream_tbENKUlT_T0_SN_SS_E_clISG_SG_SI_SI_EEDaS16_S17_SN_SS_EUlS16_E_NS1_11comp_targetILNS1_3genE8ELNS1_11target_archE1030ELNS1_3gpuE2ELNS1_3repE0EEENS1_47radix_sort_onesweep_sort_config_static_selectorELNS0_4arch9wavefront6targetE0EEEvSN_.num_agpr, 0
	.set _ZN7rocprim17ROCPRIM_400000_NS6detail17trampoline_kernelINS0_14default_configENS1_35radix_sort_onesweep_config_selectorIjN6thrust23THRUST_200600_302600_NS5tupleIffNS6_9null_typeES8_S8_S8_S8_S8_S8_S8_EEEEZZNS1_29radix_sort_onesweep_iterationIS3_Lb0ENS6_6detail15normal_iteratorINS6_10device_ptrIjEEEESG_NSD_INSE_IS9_EEEESI_jNS0_19identity_decomposerENS1_16block_id_wrapperIjLb0EEEEE10hipError_tT1_PNSt15iterator_traitsISN_E10value_typeET2_T3_PNSO_IST_E10value_typeET4_T5_PSY_SZ_PNS1_23onesweep_lookback_stateEbbT6_jjT7_P12ihipStream_tbENKUlT_T0_SN_SS_E_clISG_SG_SI_SI_EEDaS16_S17_SN_SS_EUlS16_E_NS1_11comp_targetILNS1_3genE8ELNS1_11target_archE1030ELNS1_3gpuE2ELNS1_3repE0EEENS1_47radix_sort_onesweep_sort_config_static_selectorELNS0_4arch9wavefront6targetE0EEEvSN_.numbered_sgpr, 36
	.set _ZN7rocprim17ROCPRIM_400000_NS6detail17trampoline_kernelINS0_14default_configENS1_35radix_sort_onesweep_config_selectorIjN6thrust23THRUST_200600_302600_NS5tupleIffNS6_9null_typeES8_S8_S8_S8_S8_S8_S8_EEEEZZNS1_29radix_sort_onesweep_iterationIS3_Lb0ENS6_6detail15normal_iteratorINS6_10device_ptrIjEEEESG_NSD_INSE_IS9_EEEESI_jNS0_19identity_decomposerENS1_16block_id_wrapperIjLb0EEEEE10hipError_tT1_PNSt15iterator_traitsISN_E10value_typeET2_T3_PNSO_IST_E10value_typeET4_T5_PSY_SZ_PNS1_23onesweep_lookback_stateEbbT6_jjT7_P12ihipStream_tbENKUlT_T0_SN_SS_E_clISG_SG_SI_SI_EEDaS16_S17_SN_SS_EUlS16_E_NS1_11comp_targetILNS1_3genE8ELNS1_11target_archE1030ELNS1_3gpuE2ELNS1_3repE0EEENS1_47radix_sort_onesweep_sort_config_static_selectorELNS0_4arch9wavefront6targetE0EEEvSN_.num_named_barrier, 0
	.set _ZN7rocprim17ROCPRIM_400000_NS6detail17trampoline_kernelINS0_14default_configENS1_35radix_sort_onesweep_config_selectorIjN6thrust23THRUST_200600_302600_NS5tupleIffNS6_9null_typeES8_S8_S8_S8_S8_S8_S8_EEEEZZNS1_29radix_sort_onesweep_iterationIS3_Lb0ENS6_6detail15normal_iteratorINS6_10device_ptrIjEEEESG_NSD_INSE_IS9_EEEESI_jNS0_19identity_decomposerENS1_16block_id_wrapperIjLb0EEEEE10hipError_tT1_PNSt15iterator_traitsISN_E10value_typeET2_T3_PNSO_IST_E10value_typeET4_T5_PSY_SZ_PNS1_23onesweep_lookback_stateEbbT6_jjT7_P12ihipStream_tbENKUlT_T0_SN_SS_E_clISG_SG_SI_SI_EEDaS16_S17_SN_SS_EUlS16_E_NS1_11comp_targetILNS1_3genE8ELNS1_11target_archE1030ELNS1_3gpuE2ELNS1_3repE0EEENS1_47radix_sort_onesweep_sort_config_static_selectorELNS0_4arch9wavefront6targetE0EEEvSN_.private_seg_size, 0
	.set _ZN7rocprim17ROCPRIM_400000_NS6detail17trampoline_kernelINS0_14default_configENS1_35radix_sort_onesweep_config_selectorIjN6thrust23THRUST_200600_302600_NS5tupleIffNS6_9null_typeES8_S8_S8_S8_S8_S8_S8_EEEEZZNS1_29radix_sort_onesweep_iterationIS3_Lb0ENS6_6detail15normal_iteratorINS6_10device_ptrIjEEEESG_NSD_INSE_IS9_EEEESI_jNS0_19identity_decomposerENS1_16block_id_wrapperIjLb0EEEEE10hipError_tT1_PNSt15iterator_traitsISN_E10value_typeET2_T3_PNSO_IST_E10value_typeET4_T5_PSY_SZ_PNS1_23onesweep_lookback_stateEbbT6_jjT7_P12ihipStream_tbENKUlT_T0_SN_SS_E_clISG_SG_SI_SI_EEDaS16_S17_SN_SS_EUlS16_E_NS1_11comp_targetILNS1_3genE8ELNS1_11target_archE1030ELNS1_3gpuE2ELNS1_3repE0EEENS1_47radix_sort_onesweep_sort_config_static_selectorELNS0_4arch9wavefront6targetE0EEEvSN_.uses_vcc, 1
	.set _ZN7rocprim17ROCPRIM_400000_NS6detail17trampoline_kernelINS0_14default_configENS1_35radix_sort_onesweep_config_selectorIjN6thrust23THRUST_200600_302600_NS5tupleIffNS6_9null_typeES8_S8_S8_S8_S8_S8_S8_EEEEZZNS1_29radix_sort_onesweep_iterationIS3_Lb0ENS6_6detail15normal_iteratorINS6_10device_ptrIjEEEESG_NSD_INSE_IS9_EEEESI_jNS0_19identity_decomposerENS1_16block_id_wrapperIjLb0EEEEE10hipError_tT1_PNSt15iterator_traitsISN_E10value_typeET2_T3_PNSO_IST_E10value_typeET4_T5_PSY_SZ_PNS1_23onesweep_lookback_stateEbbT6_jjT7_P12ihipStream_tbENKUlT_T0_SN_SS_E_clISG_SG_SI_SI_EEDaS16_S17_SN_SS_EUlS16_E_NS1_11comp_targetILNS1_3genE8ELNS1_11target_archE1030ELNS1_3gpuE2ELNS1_3repE0EEENS1_47radix_sort_onesweep_sort_config_static_selectorELNS0_4arch9wavefront6targetE0EEEvSN_.uses_flat_scratch, 0
	.set _ZN7rocprim17ROCPRIM_400000_NS6detail17trampoline_kernelINS0_14default_configENS1_35radix_sort_onesweep_config_selectorIjN6thrust23THRUST_200600_302600_NS5tupleIffNS6_9null_typeES8_S8_S8_S8_S8_S8_S8_EEEEZZNS1_29radix_sort_onesweep_iterationIS3_Lb0ENS6_6detail15normal_iteratorINS6_10device_ptrIjEEEESG_NSD_INSE_IS9_EEEESI_jNS0_19identity_decomposerENS1_16block_id_wrapperIjLb0EEEEE10hipError_tT1_PNSt15iterator_traitsISN_E10value_typeET2_T3_PNSO_IST_E10value_typeET4_T5_PSY_SZ_PNS1_23onesweep_lookback_stateEbbT6_jjT7_P12ihipStream_tbENKUlT_T0_SN_SS_E_clISG_SG_SI_SI_EEDaS16_S17_SN_SS_EUlS16_E_NS1_11comp_targetILNS1_3genE8ELNS1_11target_archE1030ELNS1_3gpuE2ELNS1_3repE0EEENS1_47radix_sort_onesweep_sort_config_static_selectorELNS0_4arch9wavefront6targetE0EEEvSN_.has_dyn_sized_stack, 0
	.set _ZN7rocprim17ROCPRIM_400000_NS6detail17trampoline_kernelINS0_14default_configENS1_35radix_sort_onesweep_config_selectorIjN6thrust23THRUST_200600_302600_NS5tupleIffNS6_9null_typeES8_S8_S8_S8_S8_S8_S8_EEEEZZNS1_29radix_sort_onesweep_iterationIS3_Lb0ENS6_6detail15normal_iteratorINS6_10device_ptrIjEEEESG_NSD_INSE_IS9_EEEESI_jNS0_19identity_decomposerENS1_16block_id_wrapperIjLb0EEEEE10hipError_tT1_PNSt15iterator_traitsISN_E10value_typeET2_T3_PNSO_IST_E10value_typeET4_T5_PSY_SZ_PNS1_23onesweep_lookback_stateEbbT6_jjT7_P12ihipStream_tbENKUlT_T0_SN_SS_E_clISG_SG_SI_SI_EEDaS16_S17_SN_SS_EUlS16_E_NS1_11comp_targetILNS1_3genE8ELNS1_11target_archE1030ELNS1_3gpuE2ELNS1_3repE0EEENS1_47radix_sort_onesweep_sort_config_static_selectorELNS0_4arch9wavefront6targetE0EEEvSN_.has_recursion, 0
	.set _ZN7rocprim17ROCPRIM_400000_NS6detail17trampoline_kernelINS0_14default_configENS1_35radix_sort_onesweep_config_selectorIjN6thrust23THRUST_200600_302600_NS5tupleIffNS6_9null_typeES8_S8_S8_S8_S8_S8_S8_EEEEZZNS1_29radix_sort_onesweep_iterationIS3_Lb0ENS6_6detail15normal_iteratorINS6_10device_ptrIjEEEESG_NSD_INSE_IS9_EEEESI_jNS0_19identity_decomposerENS1_16block_id_wrapperIjLb0EEEEE10hipError_tT1_PNSt15iterator_traitsISN_E10value_typeET2_T3_PNSO_IST_E10value_typeET4_T5_PSY_SZ_PNS1_23onesweep_lookback_stateEbbT6_jjT7_P12ihipStream_tbENKUlT_T0_SN_SS_E_clISG_SG_SI_SI_EEDaS16_S17_SN_SS_EUlS16_E_NS1_11comp_targetILNS1_3genE8ELNS1_11target_archE1030ELNS1_3gpuE2ELNS1_3repE0EEENS1_47radix_sort_onesweep_sort_config_static_selectorELNS0_4arch9wavefront6targetE0EEEvSN_.has_indirect_call, 0
	.section	.AMDGPU.csdata,"",@progbits
; Kernel info:
; codeLenInByte = 7684
; TotalNumSgprs: 38
; NumVgprs: 35
; ScratchSize: 0
; MemoryBound: 0
; FloatMode: 240
; IeeeMode: 1
; LDSByteSize: 37000 bytes/workgroup (compile time only)
; SGPRBlocks: 0
; VGPRBlocks: 4
; NumSGPRsForWavesPerEU: 38
; NumVGPRsForWavesPerEU: 35
; Occupancy: 16
; WaveLimiterHint : 1
; COMPUTE_PGM_RSRC2:SCRATCH_EN: 0
; COMPUTE_PGM_RSRC2:USER_SGPR: 6
; COMPUTE_PGM_RSRC2:TRAP_HANDLER: 0
; COMPUTE_PGM_RSRC2:TGID_X_EN: 1
; COMPUTE_PGM_RSRC2:TGID_Y_EN: 0
; COMPUTE_PGM_RSRC2:TGID_Z_EN: 0
; COMPUTE_PGM_RSRC2:TIDIG_COMP_CNT: 2
	.section	.text._ZN7rocprim17ROCPRIM_400000_NS6detail17trampoline_kernelINS0_14default_configENS1_35radix_sort_onesweep_config_selectorIjN6thrust23THRUST_200600_302600_NS5tupleIffNS6_9null_typeES8_S8_S8_S8_S8_S8_S8_EEEEZZNS1_29radix_sort_onesweep_iterationIS3_Lb0ENS6_6detail15normal_iteratorINS6_10device_ptrIjEEEESG_NSD_INSE_IS9_EEEESI_jNS0_19identity_decomposerENS1_16block_id_wrapperIjLb0EEEEE10hipError_tT1_PNSt15iterator_traitsISN_E10value_typeET2_T3_PNSO_IST_E10value_typeET4_T5_PSY_SZ_PNS1_23onesweep_lookback_stateEbbT6_jjT7_P12ihipStream_tbENKUlT_T0_SN_SS_E_clISG_PjSI_PS9_EEDaS16_S17_SN_SS_EUlS16_E_NS1_11comp_targetILNS1_3genE0ELNS1_11target_archE4294967295ELNS1_3gpuE0ELNS1_3repE0EEENS1_47radix_sort_onesweep_sort_config_static_selectorELNS0_4arch9wavefront6targetE0EEEvSN_,"axG",@progbits,_ZN7rocprim17ROCPRIM_400000_NS6detail17trampoline_kernelINS0_14default_configENS1_35radix_sort_onesweep_config_selectorIjN6thrust23THRUST_200600_302600_NS5tupleIffNS6_9null_typeES8_S8_S8_S8_S8_S8_S8_EEEEZZNS1_29radix_sort_onesweep_iterationIS3_Lb0ENS6_6detail15normal_iteratorINS6_10device_ptrIjEEEESG_NSD_INSE_IS9_EEEESI_jNS0_19identity_decomposerENS1_16block_id_wrapperIjLb0EEEEE10hipError_tT1_PNSt15iterator_traitsISN_E10value_typeET2_T3_PNSO_IST_E10value_typeET4_T5_PSY_SZ_PNS1_23onesweep_lookback_stateEbbT6_jjT7_P12ihipStream_tbENKUlT_T0_SN_SS_E_clISG_PjSI_PS9_EEDaS16_S17_SN_SS_EUlS16_E_NS1_11comp_targetILNS1_3genE0ELNS1_11target_archE4294967295ELNS1_3gpuE0ELNS1_3repE0EEENS1_47radix_sort_onesweep_sort_config_static_selectorELNS0_4arch9wavefront6targetE0EEEvSN_,comdat
	.protected	_ZN7rocprim17ROCPRIM_400000_NS6detail17trampoline_kernelINS0_14default_configENS1_35radix_sort_onesweep_config_selectorIjN6thrust23THRUST_200600_302600_NS5tupleIffNS6_9null_typeES8_S8_S8_S8_S8_S8_S8_EEEEZZNS1_29radix_sort_onesweep_iterationIS3_Lb0ENS6_6detail15normal_iteratorINS6_10device_ptrIjEEEESG_NSD_INSE_IS9_EEEESI_jNS0_19identity_decomposerENS1_16block_id_wrapperIjLb0EEEEE10hipError_tT1_PNSt15iterator_traitsISN_E10value_typeET2_T3_PNSO_IST_E10value_typeET4_T5_PSY_SZ_PNS1_23onesweep_lookback_stateEbbT6_jjT7_P12ihipStream_tbENKUlT_T0_SN_SS_E_clISG_PjSI_PS9_EEDaS16_S17_SN_SS_EUlS16_E_NS1_11comp_targetILNS1_3genE0ELNS1_11target_archE4294967295ELNS1_3gpuE0ELNS1_3repE0EEENS1_47radix_sort_onesweep_sort_config_static_selectorELNS0_4arch9wavefront6targetE0EEEvSN_ ; -- Begin function _ZN7rocprim17ROCPRIM_400000_NS6detail17trampoline_kernelINS0_14default_configENS1_35radix_sort_onesweep_config_selectorIjN6thrust23THRUST_200600_302600_NS5tupleIffNS6_9null_typeES8_S8_S8_S8_S8_S8_S8_EEEEZZNS1_29radix_sort_onesweep_iterationIS3_Lb0ENS6_6detail15normal_iteratorINS6_10device_ptrIjEEEESG_NSD_INSE_IS9_EEEESI_jNS0_19identity_decomposerENS1_16block_id_wrapperIjLb0EEEEE10hipError_tT1_PNSt15iterator_traitsISN_E10value_typeET2_T3_PNSO_IST_E10value_typeET4_T5_PSY_SZ_PNS1_23onesweep_lookback_stateEbbT6_jjT7_P12ihipStream_tbENKUlT_T0_SN_SS_E_clISG_PjSI_PS9_EEDaS16_S17_SN_SS_EUlS16_E_NS1_11comp_targetILNS1_3genE0ELNS1_11target_archE4294967295ELNS1_3gpuE0ELNS1_3repE0EEENS1_47radix_sort_onesweep_sort_config_static_selectorELNS0_4arch9wavefront6targetE0EEEvSN_
	.globl	_ZN7rocprim17ROCPRIM_400000_NS6detail17trampoline_kernelINS0_14default_configENS1_35radix_sort_onesweep_config_selectorIjN6thrust23THRUST_200600_302600_NS5tupleIffNS6_9null_typeES8_S8_S8_S8_S8_S8_S8_EEEEZZNS1_29radix_sort_onesweep_iterationIS3_Lb0ENS6_6detail15normal_iteratorINS6_10device_ptrIjEEEESG_NSD_INSE_IS9_EEEESI_jNS0_19identity_decomposerENS1_16block_id_wrapperIjLb0EEEEE10hipError_tT1_PNSt15iterator_traitsISN_E10value_typeET2_T3_PNSO_IST_E10value_typeET4_T5_PSY_SZ_PNS1_23onesweep_lookback_stateEbbT6_jjT7_P12ihipStream_tbENKUlT_T0_SN_SS_E_clISG_PjSI_PS9_EEDaS16_S17_SN_SS_EUlS16_E_NS1_11comp_targetILNS1_3genE0ELNS1_11target_archE4294967295ELNS1_3gpuE0ELNS1_3repE0EEENS1_47radix_sort_onesweep_sort_config_static_selectorELNS0_4arch9wavefront6targetE0EEEvSN_
	.p2align	8
	.type	_ZN7rocprim17ROCPRIM_400000_NS6detail17trampoline_kernelINS0_14default_configENS1_35radix_sort_onesweep_config_selectorIjN6thrust23THRUST_200600_302600_NS5tupleIffNS6_9null_typeES8_S8_S8_S8_S8_S8_S8_EEEEZZNS1_29radix_sort_onesweep_iterationIS3_Lb0ENS6_6detail15normal_iteratorINS6_10device_ptrIjEEEESG_NSD_INSE_IS9_EEEESI_jNS0_19identity_decomposerENS1_16block_id_wrapperIjLb0EEEEE10hipError_tT1_PNSt15iterator_traitsISN_E10value_typeET2_T3_PNSO_IST_E10value_typeET4_T5_PSY_SZ_PNS1_23onesweep_lookback_stateEbbT6_jjT7_P12ihipStream_tbENKUlT_T0_SN_SS_E_clISG_PjSI_PS9_EEDaS16_S17_SN_SS_EUlS16_E_NS1_11comp_targetILNS1_3genE0ELNS1_11target_archE4294967295ELNS1_3gpuE0ELNS1_3repE0EEENS1_47radix_sort_onesweep_sort_config_static_selectorELNS0_4arch9wavefront6targetE0EEEvSN_,@function
_ZN7rocprim17ROCPRIM_400000_NS6detail17trampoline_kernelINS0_14default_configENS1_35radix_sort_onesweep_config_selectorIjN6thrust23THRUST_200600_302600_NS5tupleIffNS6_9null_typeES8_S8_S8_S8_S8_S8_S8_EEEEZZNS1_29radix_sort_onesweep_iterationIS3_Lb0ENS6_6detail15normal_iteratorINS6_10device_ptrIjEEEESG_NSD_INSE_IS9_EEEESI_jNS0_19identity_decomposerENS1_16block_id_wrapperIjLb0EEEEE10hipError_tT1_PNSt15iterator_traitsISN_E10value_typeET2_T3_PNSO_IST_E10value_typeET4_T5_PSY_SZ_PNS1_23onesweep_lookback_stateEbbT6_jjT7_P12ihipStream_tbENKUlT_T0_SN_SS_E_clISG_PjSI_PS9_EEDaS16_S17_SN_SS_EUlS16_E_NS1_11comp_targetILNS1_3genE0ELNS1_11target_archE4294967295ELNS1_3gpuE0ELNS1_3repE0EEENS1_47radix_sort_onesweep_sort_config_static_selectorELNS0_4arch9wavefront6targetE0EEEvSN_: ; @_ZN7rocprim17ROCPRIM_400000_NS6detail17trampoline_kernelINS0_14default_configENS1_35radix_sort_onesweep_config_selectorIjN6thrust23THRUST_200600_302600_NS5tupleIffNS6_9null_typeES8_S8_S8_S8_S8_S8_S8_EEEEZZNS1_29radix_sort_onesweep_iterationIS3_Lb0ENS6_6detail15normal_iteratorINS6_10device_ptrIjEEEESG_NSD_INSE_IS9_EEEESI_jNS0_19identity_decomposerENS1_16block_id_wrapperIjLb0EEEEE10hipError_tT1_PNSt15iterator_traitsISN_E10value_typeET2_T3_PNSO_IST_E10value_typeET4_T5_PSY_SZ_PNS1_23onesweep_lookback_stateEbbT6_jjT7_P12ihipStream_tbENKUlT_T0_SN_SS_E_clISG_PjSI_PS9_EEDaS16_S17_SN_SS_EUlS16_E_NS1_11comp_targetILNS1_3genE0ELNS1_11target_archE4294967295ELNS1_3gpuE0ELNS1_3repE0EEENS1_47radix_sort_onesweep_sort_config_static_selectorELNS0_4arch9wavefront6targetE0EEEvSN_
; %bb.0:
	.section	.rodata,"a",@progbits
	.p2align	6, 0x0
	.amdhsa_kernel _ZN7rocprim17ROCPRIM_400000_NS6detail17trampoline_kernelINS0_14default_configENS1_35radix_sort_onesweep_config_selectorIjN6thrust23THRUST_200600_302600_NS5tupleIffNS6_9null_typeES8_S8_S8_S8_S8_S8_S8_EEEEZZNS1_29radix_sort_onesweep_iterationIS3_Lb0ENS6_6detail15normal_iteratorINS6_10device_ptrIjEEEESG_NSD_INSE_IS9_EEEESI_jNS0_19identity_decomposerENS1_16block_id_wrapperIjLb0EEEEE10hipError_tT1_PNSt15iterator_traitsISN_E10value_typeET2_T3_PNSO_IST_E10value_typeET4_T5_PSY_SZ_PNS1_23onesweep_lookback_stateEbbT6_jjT7_P12ihipStream_tbENKUlT_T0_SN_SS_E_clISG_PjSI_PS9_EEDaS16_S17_SN_SS_EUlS16_E_NS1_11comp_targetILNS1_3genE0ELNS1_11target_archE4294967295ELNS1_3gpuE0ELNS1_3repE0EEENS1_47radix_sort_onesweep_sort_config_static_selectorELNS0_4arch9wavefront6targetE0EEEvSN_
		.amdhsa_group_segment_fixed_size 0
		.amdhsa_private_segment_fixed_size 0
		.amdhsa_kernarg_size 88
		.amdhsa_user_sgpr_count 6
		.amdhsa_user_sgpr_private_segment_buffer 1
		.amdhsa_user_sgpr_dispatch_ptr 0
		.amdhsa_user_sgpr_queue_ptr 0
		.amdhsa_user_sgpr_kernarg_segment_ptr 1
		.amdhsa_user_sgpr_dispatch_id 0
		.amdhsa_user_sgpr_flat_scratch_init 0
		.amdhsa_user_sgpr_private_segment_size 0
		.amdhsa_wavefront_size32 1
		.amdhsa_uses_dynamic_stack 0
		.amdhsa_system_sgpr_private_segment_wavefront_offset 0
		.amdhsa_system_sgpr_workgroup_id_x 1
		.amdhsa_system_sgpr_workgroup_id_y 0
		.amdhsa_system_sgpr_workgroup_id_z 0
		.amdhsa_system_sgpr_workgroup_info 0
		.amdhsa_system_vgpr_workitem_id 0
		.amdhsa_next_free_vgpr 1
		.amdhsa_next_free_sgpr 1
		.amdhsa_reserve_vcc 0
		.amdhsa_reserve_flat_scratch 0
		.amdhsa_float_round_mode_32 0
		.amdhsa_float_round_mode_16_64 0
		.amdhsa_float_denorm_mode_32 3
		.amdhsa_float_denorm_mode_16_64 3
		.amdhsa_dx10_clamp 1
		.amdhsa_ieee_mode 1
		.amdhsa_fp16_overflow 0
		.amdhsa_workgroup_processor_mode 1
		.amdhsa_memory_ordered 1
		.amdhsa_forward_progress 1
		.amdhsa_shared_vgpr_count 0
		.amdhsa_exception_fp_ieee_invalid_op 0
		.amdhsa_exception_fp_denorm_src 0
		.amdhsa_exception_fp_ieee_div_zero 0
		.amdhsa_exception_fp_ieee_overflow 0
		.amdhsa_exception_fp_ieee_underflow 0
		.amdhsa_exception_fp_ieee_inexact 0
		.amdhsa_exception_int_div_zero 0
	.end_amdhsa_kernel
	.section	.text._ZN7rocprim17ROCPRIM_400000_NS6detail17trampoline_kernelINS0_14default_configENS1_35radix_sort_onesweep_config_selectorIjN6thrust23THRUST_200600_302600_NS5tupleIffNS6_9null_typeES8_S8_S8_S8_S8_S8_S8_EEEEZZNS1_29radix_sort_onesweep_iterationIS3_Lb0ENS6_6detail15normal_iteratorINS6_10device_ptrIjEEEESG_NSD_INSE_IS9_EEEESI_jNS0_19identity_decomposerENS1_16block_id_wrapperIjLb0EEEEE10hipError_tT1_PNSt15iterator_traitsISN_E10value_typeET2_T3_PNSO_IST_E10value_typeET4_T5_PSY_SZ_PNS1_23onesweep_lookback_stateEbbT6_jjT7_P12ihipStream_tbENKUlT_T0_SN_SS_E_clISG_PjSI_PS9_EEDaS16_S17_SN_SS_EUlS16_E_NS1_11comp_targetILNS1_3genE0ELNS1_11target_archE4294967295ELNS1_3gpuE0ELNS1_3repE0EEENS1_47radix_sort_onesweep_sort_config_static_selectorELNS0_4arch9wavefront6targetE0EEEvSN_,"axG",@progbits,_ZN7rocprim17ROCPRIM_400000_NS6detail17trampoline_kernelINS0_14default_configENS1_35radix_sort_onesweep_config_selectorIjN6thrust23THRUST_200600_302600_NS5tupleIffNS6_9null_typeES8_S8_S8_S8_S8_S8_S8_EEEEZZNS1_29radix_sort_onesweep_iterationIS3_Lb0ENS6_6detail15normal_iteratorINS6_10device_ptrIjEEEESG_NSD_INSE_IS9_EEEESI_jNS0_19identity_decomposerENS1_16block_id_wrapperIjLb0EEEEE10hipError_tT1_PNSt15iterator_traitsISN_E10value_typeET2_T3_PNSO_IST_E10value_typeET4_T5_PSY_SZ_PNS1_23onesweep_lookback_stateEbbT6_jjT7_P12ihipStream_tbENKUlT_T0_SN_SS_E_clISG_PjSI_PS9_EEDaS16_S17_SN_SS_EUlS16_E_NS1_11comp_targetILNS1_3genE0ELNS1_11target_archE4294967295ELNS1_3gpuE0ELNS1_3repE0EEENS1_47radix_sort_onesweep_sort_config_static_selectorELNS0_4arch9wavefront6targetE0EEEvSN_,comdat
.Lfunc_end211:
	.size	_ZN7rocprim17ROCPRIM_400000_NS6detail17trampoline_kernelINS0_14default_configENS1_35radix_sort_onesweep_config_selectorIjN6thrust23THRUST_200600_302600_NS5tupleIffNS6_9null_typeES8_S8_S8_S8_S8_S8_S8_EEEEZZNS1_29radix_sort_onesweep_iterationIS3_Lb0ENS6_6detail15normal_iteratorINS6_10device_ptrIjEEEESG_NSD_INSE_IS9_EEEESI_jNS0_19identity_decomposerENS1_16block_id_wrapperIjLb0EEEEE10hipError_tT1_PNSt15iterator_traitsISN_E10value_typeET2_T3_PNSO_IST_E10value_typeET4_T5_PSY_SZ_PNS1_23onesweep_lookback_stateEbbT6_jjT7_P12ihipStream_tbENKUlT_T0_SN_SS_E_clISG_PjSI_PS9_EEDaS16_S17_SN_SS_EUlS16_E_NS1_11comp_targetILNS1_3genE0ELNS1_11target_archE4294967295ELNS1_3gpuE0ELNS1_3repE0EEENS1_47radix_sort_onesweep_sort_config_static_selectorELNS0_4arch9wavefront6targetE0EEEvSN_, .Lfunc_end211-_ZN7rocprim17ROCPRIM_400000_NS6detail17trampoline_kernelINS0_14default_configENS1_35radix_sort_onesweep_config_selectorIjN6thrust23THRUST_200600_302600_NS5tupleIffNS6_9null_typeES8_S8_S8_S8_S8_S8_S8_EEEEZZNS1_29radix_sort_onesweep_iterationIS3_Lb0ENS6_6detail15normal_iteratorINS6_10device_ptrIjEEEESG_NSD_INSE_IS9_EEEESI_jNS0_19identity_decomposerENS1_16block_id_wrapperIjLb0EEEEE10hipError_tT1_PNSt15iterator_traitsISN_E10value_typeET2_T3_PNSO_IST_E10value_typeET4_T5_PSY_SZ_PNS1_23onesweep_lookback_stateEbbT6_jjT7_P12ihipStream_tbENKUlT_T0_SN_SS_E_clISG_PjSI_PS9_EEDaS16_S17_SN_SS_EUlS16_E_NS1_11comp_targetILNS1_3genE0ELNS1_11target_archE4294967295ELNS1_3gpuE0ELNS1_3repE0EEENS1_47radix_sort_onesweep_sort_config_static_selectorELNS0_4arch9wavefront6targetE0EEEvSN_
                                        ; -- End function
	.set _ZN7rocprim17ROCPRIM_400000_NS6detail17trampoline_kernelINS0_14default_configENS1_35radix_sort_onesweep_config_selectorIjN6thrust23THRUST_200600_302600_NS5tupleIffNS6_9null_typeES8_S8_S8_S8_S8_S8_S8_EEEEZZNS1_29radix_sort_onesweep_iterationIS3_Lb0ENS6_6detail15normal_iteratorINS6_10device_ptrIjEEEESG_NSD_INSE_IS9_EEEESI_jNS0_19identity_decomposerENS1_16block_id_wrapperIjLb0EEEEE10hipError_tT1_PNSt15iterator_traitsISN_E10value_typeET2_T3_PNSO_IST_E10value_typeET4_T5_PSY_SZ_PNS1_23onesweep_lookback_stateEbbT6_jjT7_P12ihipStream_tbENKUlT_T0_SN_SS_E_clISG_PjSI_PS9_EEDaS16_S17_SN_SS_EUlS16_E_NS1_11comp_targetILNS1_3genE0ELNS1_11target_archE4294967295ELNS1_3gpuE0ELNS1_3repE0EEENS1_47radix_sort_onesweep_sort_config_static_selectorELNS0_4arch9wavefront6targetE0EEEvSN_.num_vgpr, 0
	.set _ZN7rocprim17ROCPRIM_400000_NS6detail17trampoline_kernelINS0_14default_configENS1_35radix_sort_onesweep_config_selectorIjN6thrust23THRUST_200600_302600_NS5tupleIffNS6_9null_typeES8_S8_S8_S8_S8_S8_S8_EEEEZZNS1_29radix_sort_onesweep_iterationIS3_Lb0ENS6_6detail15normal_iteratorINS6_10device_ptrIjEEEESG_NSD_INSE_IS9_EEEESI_jNS0_19identity_decomposerENS1_16block_id_wrapperIjLb0EEEEE10hipError_tT1_PNSt15iterator_traitsISN_E10value_typeET2_T3_PNSO_IST_E10value_typeET4_T5_PSY_SZ_PNS1_23onesweep_lookback_stateEbbT6_jjT7_P12ihipStream_tbENKUlT_T0_SN_SS_E_clISG_PjSI_PS9_EEDaS16_S17_SN_SS_EUlS16_E_NS1_11comp_targetILNS1_3genE0ELNS1_11target_archE4294967295ELNS1_3gpuE0ELNS1_3repE0EEENS1_47radix_sort_onesweep_sort_config_static_selectorELNS0_4arch9wavefront6targetE0EEEvSN_.num_agpr, 0
	.set _ZN7rocprim17ROCPRIM_400000_NS6detail17trampoline_kernelINS0_14default_configENS1_35radix_sort_onesweep_config_selectorIjN6thrust23THRUST_200600_302600_NS5tupleIffNS6_9null_typeES8_S8_S8_S8_S8_S8_S8_EEEEZZNS1_29radix_sort_onesweep_iterationIS3_Lb0ENS6_6detail15normal_iteratorINS6_10device_ptrIjEEEESG_NSD_INSE_IS9_EEEESI_jNS0_19identity_decomposerENS1_16block_id_wrapperIjLb0EEEEE10hipError_tT1_PNSt15iterator_traitsISN_E10value_typeET2_T3_PNSO_IST_E10value_typeET4_T5_PSY_SZ_PNS1_23onesweep_lookback_stateEbbT6_jjT7_P12ihipStream_tbENKUlT_T0_SN_SS_E_clISG_PjSI_PS9_EEDaS16_S17_SN_SS_EUlS16_E_NS1_11comp_targetILNS1_3genE0ELNS1_11target_archE4294967295ELNS1_3gpuE0ELNS1_3repE0EEENS1_47radix_sort_onesweep_sort_config_static_selectorELNS0_4arch9wavefront6targetE0EEEvSN_.numbered_sgpr, 0
	.set _ZN7rocprim17ROCPRIM_400000_NS6detail17trampoline_kernelINS0_14default_configENS1_35radix_sort_onesweep_config_selectorIjN6thrust23THRUST_200600_302600_NS5tupleIffNS6_9null_typeES8_S8_S8_S8_S8_S8_S8_EEEEZZNS1_29radix_sort_onesweep_iterationIS3_Lb0ENS6_6detail15normal_iteratorINS6_10device_ptrIjEEEESG_NSD_INSE_IS9_EEEESI_jNS0_19identity_decomposerENS1_16block_id_wrapperIjLb0EEEEE10hipError_tT1_PNSt15iterator_traitsISN_E10value_typeET2_T3_PNSO_IST_E10value_typeET4_T5_PSY_SZ_PNS1_23onesweep_lookback_stateEbbT6_jjT7_P12ihipStream_tbENKUlT_T0_SN_SS_E_clISG_PjSI_PS9_EEDaS16_S17_SN_SS_EUlS16_E_NS1_11comp_targetILNS1_3genE0ELNS1_11target_archE4294967295ELNS1_3gpuE0ELNS1_3repE0EEENS1_47radix_sort_onesweep_sort_config_static_selectorELNS0_4arch9wavefront6targetE0EEEvSN_.num_named_barrier, 0
	.set _ZN7rocprim17ROCPRIM_400000_NS6detail17trampoline_kernelINS0_14default_configENS1_35radix_sort_onesweep_config_selectorIjN6thrust23THRUST_200600_302600_NS5tupleIffNS6_9null_typeES8_S8_S8_S8_S8_S8_S8_EEEEZZNS1_29radix_sort_onesweep_iterationIS3_Lb0ENS6_6detail15normal_iteratorINS6_10device_ptrIjEEEESG_NSD_INSE_IS9_EEEESI_jNS0_19identity_decomposerENS1_16block_id_wrapperIjLb0EEEEE10hipError_tT1_PNSt15iterator_traitsISN_E10value_typeET2_T3_PNSO_IST_E10value_typeET4_T5_PSY_SZ_PNS1_23onesweep_lookback_stateEbbT6_jjT7_P12ihipStream_tbENKUlT_T0_SN_SS_E_clISG_PjSI_PS9_EEDaS16_S17_SN_SS_EUlS16_E_NS1_11comp_targetILNS1_3genE0ELNS1_11target_archE4294967295ELNS1_3gpuE0ELNS1_3repE0EEENS1_47radix_sort_onesweep_sort_config_static_selectorELNS0_4arch9wavefront6targetE0EEEvSN_.private_seg_size, 0
	.set _ZN7rocprim17ROCPRIM_400000_NS6detail17trampoline_kernelINS0_14default_configENS1_35radix_sort_onesweep_config_selectorIjN6thrust23THRUST_200600_302600_NS5tupleIffNS6_9null_typeES8_S8_S8_S8_S8_S8_S8_EEEEZZNS1_29radix_sort_onesweep_iterationIS3_Lb0ENS6_6detail15normal_iteratorINS6_10device_ptrIjEEEESG_NSD_INSE_IS9_EEEESI_jNS0_19identity_decomposerENS1_16block_id_wrapperIjLb0EEEEE10hipError_tT1_PNSt15iterator_traitsISN_E10value_typeET2_T3_PNSO_IST_E10value_typeET4_T5_PSY_SZ_PNS1_23onesweep_lookback_stateEbbT6_jjT7_P12ihipStream_tbENKUlT_T0_SN_SS_E_clISG_PjSI_PS9_EEDaS16_S17_SN_SS_EUlS16_E_NS1_11comp_targetILNS1_3genE0ELNS1_11target_archE4294967295ELNS1_3gpuE0ELNS1_3repE0EEENS1_47radix_sort_onesweep_sort_config_static_selectorELNS0_4arch9wavefront6targetE0EEEvSN_.uses_vcc, 0
	.set _ZN7rocprim17ROCPRIM_400000_NS6detail17trampoline_kernelINS0_14default_configENS1_35radix_sort_onesweep_config_selectorIjN6thrust23THRUST_200600_302600_NS5tupleIffNS6_9null_typeES8_S8_S8_S8_S8_S8_S8_EEEEZZNS1_29radix_sort_onesweep_iterationIS3_Lb0ENS6_6detail15normal_iteratorINS6_10device_ptrIjEEEESG_NSD_INSE_IS9_EEEESI_jNS0_19identity_decomposerENS1_16block_id_wrapperIjLb0EEEEE10hipError_tT1_PNSt15iterator_traitsISN_E10value_typeET2_T3_PNSO_IST_E10value_typeET4_T5_PSY_SZ_PNS1_23onesweep_lookback_stateEbbT6_jjT7_P12ihipStream_tbENKUlT_T0_SN_SS_E_clISG_PjSI_PS9_EEDaS16_S17_SN_SS_EUlS16_E_NS1_11comp_targetILNS1_3genE0ELNS1_11target_archE4294967295ELNS1_3gpuE0ELNS1_3repE0EEENS1_47radix_sort_onesweep_sort_config_static_selectorELNS0_4arch9wavefront6targetE0EEEvSN_.uses_flat_scratch, 0
	.set _ZN7rocprim17ROCPRIM_400000_NS6detail17trampoline_kernelINS0_14default_configENS1_35radix_sort_onesweep_config_selectorIjN6thrust23THRUST_200600_302600_NS5tupleIffNS6_9null_typeES8_S8_S8_S8_S8_S8_S8_EEEEZZNS1_29radix_sort_onesweep_iterationIS3_Lb0ENS6_6detail15normal_iteratorINS6_10device_ptrIjEEEESG_NSD_INSE_IS9_EEEESI_jNS0_19identity_decomposerENS1_16block_id_wrapperIjLb0EEEEE10hipError_tT1_PNSt15iterator_traitsISN_E10value_typeET2_T3_PNSO_IST_E10value_typeET4_T5_PSY_SZ_PNS1_23onesweep_lookback_stateEbbT6_jjT7_P12ihipStream_tbENKUlT_T0_SN_SS_E_clISG_PjSI_PS9_EEDaS16_S17_SN_SS_EUlS16_E_NS1_11comp_targetILNS1_3genE0ELNS1_11target_archE4294967295ELNS1_3gpuE0ELNS1_3repE0EEENS1_47radix_sort_onesweep_sort_config_static_selectorELNS0_4arch9wavefront6targetE0EEEvSN_.has_dyn_sized_stack, 0
	.set _ZN7rocprim17ROCPRIM_400000_NS6detail17trampoline_kernelINS0_14default_configENS1_35radix_sort_onesweep_config_selectorIjN6thrust23THRUST_200600_302600_NS5tupleIffNS6_9null_typeES8_S8_S8_S8_S8_S8_S8_EEEEZZNS1_29radix_sort_onesweep_iterationIS3_Lb0ENS6_6detail15normal_iteratorINS6_10device_ptrIjEEEESG_NSD_INSE_IS9_EEEESI_jNS0_19identity_decomposerENS1_16block_id_wrapperIjLb0EEEEE10hipError_tT1_PNSt15iterator_traitsISN_E10value_typeET2_T3_PNSO_IST_E10value_typeET4_T5_PSY_SZ_PNS1_23onesweep_lookback_stateEbbT6_jjT7_P12ihipStream_tbENKUlT_T0_SN_SS_E_clISG_PjSI_PS9_EEDaS16_S17_SN_SS_EUlS16_E_NS1_11comp_targetILNS1_3genE0ELNS1_11target_archE4294967295ELNS1_3gpuE0ELNS1_3repE0EEENS1_47radix_sort_onesweep_sort_config_static_selectorELNS0_4arch9wavefront6targetE0EEEvSN_.has_recursion, 0
	.set _ZN7rocprim17ROCPRIM_400000_NS6detail17trampoline_kernelINS0_14default_configENS1_35radix_sort_onesweep_config_selectorIjN6thrust23THRUST_200600_302600_NS5tupleIffNS6_9null_typeES8_S8_S8_S8_S8_S8_S8_EEEEZZNS1_29radix_sort_onesweep_iterationIS3_Lb0ENS6_6detail15normal_iteratorINS6_10device_ptrIjEEEESG_NSD_INSE_IS9_EEEESI_jNS0_19identity_decomposerENS1_16block_id_wrapperIjLb0EEEEE10hipError_tT1_PNSt15iterator_traitsISN_E10value_typeET2_T3_PNSO_IST_E10value_typeET4_T5_PSY_SZ_PNS1_23onesweep_lookback_stateEbbT6_jjT7_P12ihipStream_tbENKUlT_T0_SN_SS_E_clISG_PjSI_PS9_EEDaS16_S17_SN_SS_EUlS16_E_NS1_11comp_targetILNS1_3genE0ELNS1_11target_archE4294967295ELNS1_3gpuE0ELNS1_3repE0EEENS1_47radix_sort_onesweep_sort_config_static_selectorELNS0_4arch9wavefront6targetE0EEEvSN_.has_indirect_call, 0
	.section	.AMDGPU.csdata,"",@progbits
; Kernel info:
; codeLenInByte = 0
; TotalNumSgprs: 0
; NumVgprs: 0
; ScratchSize: 0
; MemoryBound: 0
; FloatMode: 240
; IeeeMode: 1
; LDSByteSize: 0 bytes/workgroup (compile time only)
; SGPRBlocks: 0
; VGPRBlocks: 0
; NumSGPRsForWavesPerEU: 1
; NumVGPRsForWavesPerEU: 1
; Occupancy: 16
; WaveLimiterHint : 0
; COMPUTE_PGM_RSRC2:SCRATCH_EN: 0
; COMPUTE_PGM_RSRC2:USER_SGPR: 6
; COMPUTE_PGM_RSRC2:TRAP_HANDLER: 0
; COMPUTE_PGM_RSRC2:TGID_X_EN: 1
; COMPUTE_PGM_RSRC2:TGID_Y_EN: 0
; COMPUTE_PGM_RSRC2:TGID_Z_EN: 0
; COMPUTE_PGM_RSRC2:TIDIG_COMP_CNT: 0
	.section	.text._ZN7rocprim17ROCPRIM_400000_NS6detail17trampoline_kernelINS0_14default_configENS1_35radix_sort_onesweep_config_selectorIjN6thrust23THRUST_200600_302600_NS5tupleIffNS6_9null_typeES8_S8_S8_S8_S8_S8_S8_EEEEZZNS1_29radix_sort_onesweep_iterationIS3_Lb0ENS6_6detail15normal_iteratorINS6_10device_ptrIjEEEESG_NSD_INSE_IS9_EEEESI_jNS0_19identity_decomposerENS1_16block_id_wrapperIjLb0EEEEE10hipError_tT1_PNSt15iterator_traitsISN_E10value_typeET2_T3_PNSO_IST_E10value_typeET4_T5_PSY_SZ_PNS1_23onesweep_lookback_stateEbbT6_jjT7_P12ihipStream_tbENKUlT_T0_SN_SS_E_clISG_PjSI_PS9_EEDaS16_S17_SN_SS_EUlS16_E_NS1_11comp_targetILNS1_3genE6ELNS1_11target_archE950ELNS1_3gpuE13ELNS1_3repE0EEENS1_47radix_sort_onesweep_sort_config_static_selectorELNS0_4arch9wavefront6targetE0EEEvSN_,"axG",@progbits,_ZN7rocprim17ROCPRIM_400000_NS6detail17trampoline_kernelINS0_14default_configENS1_35radix_sort_onesweep_config_selectorIjN6thrust23THRUST_200600_302600_NS5tupleIffNS6_9null_typeES8_S8_S8_S8_S8_S8_S8_EEEEZZNS1_29radix_sort_onesweep_iterationIS3_Lb0ENS6_6detail15normal_iteratorINS6_10device_ptrIjEEEESG_NSD_INSE_IS9_EEEESI_jNS0_19identity_decomposerENS1_16block_id_wrapperIjLb0EEEEE10hipError_tT1_PNSt15iterator_traitsISN_E10value_typeET2_T3_PNSO_IST_E10value_typeET4_T5_PSY_SZ_PNS1_23onesweep_lookback_stateEbbT6_jjT7_P12ihipStream_tbENKUlT_T0_SN_SS_E_clISG_PjSI_PS9_EEDaS16_S17_SN_SS_EUlS16_E_NS1_11comp_targetILNS1_3genE6ELNS1_11target_archE950ELNS1_3gpuE13ELNS1_3repE0EEENS1_47radix_sort_onesweep_sort_config_static_selectorELNS0_4arch9wavefront6targetE0EEEvSN_,comdat
	.protected	_ZN7rocprim17ROCPRIM_400000_NS6detail17trampoline_kernelINS0_14default_configENS1_35radix_sort_onesweep_config_selectorIjN6thrust23THRUST_200600_302600_NS5tupleIffNS6_9null_typeES8_S8_S8_S8_S8_S8_S8_EEEEZZNS1_29radix_sort_onesweep_iterationIS3_Lb0ENS6_6detail15normal_iteratorINS6_10device_ptrIjEEEESG_NSD_INSE_IS9_EEEESI_jNS0_19identity_decomposerENS1_16block_id_wrapperIjLb0EEEEE10hipError_tT1_PNSt15iterator_traitsISN_E10value_typeET2_T3_PNSO_IST_E10value_typeET4_T5_PSY_SZ_PNS1_23onesweep_lookback_stateEbbT6_jjT7_P12ihipStream_tbENKUlT_T0_SN_SS_E_clISG_PjSI_PS9_EEDaS16_S17_SN_SS_EUlS16_E_NS1_11comp_targetILNS1_3genE6ELNS1_11target_archE950ELNS1_3gpuE13ELNS1_3repE0EEENS1_47radix_sort_onesweep_sort_config_static_selectorELNS0_4arch9wavefront6targetE0EEEvSN_ ; -- Begin function _ZN7rocprim17ROCPRIM_400000_NS6detail17trampoline_kernelINS0_14default_configENS1_35radix_sort_onesweep_config_selectorIjN6thrust23THRUST_200600_302600_NS5tupleIffNS6_9null_typeES8_S8_S8_S8_S8_S8_S8_EEEEZZNS1_29radix_sort_onesweep_iterationIS3_Lb0ENS6_6detail15normal_iteratorINS6_10device_ptrIjEEEESG_NSD_INSE_IS9_EEEESI_jNS0_19identity_decomposerENS1_16block_id_wrapperIjLb0EEEEE10hipError_tT1_PNSt15iterator_traitsISN_E10value_typeET2_T3_PNSO_IST_E10value_typeET4_T5_PSY_SZ_PNS1_23onesweep_lookback_stateEbbT6_jjT7_P12ihipStream_tbENKUlT_T0_SN_SS_E_clISG_PjSI_PS9_EEDaS16_S17_SN_SS_EUlS16_E_NS1_11comp_targetILNS1_3genE6ELNS1_11target_archE950ELNS1_3gpuE13ELNS1_3repE0EEENS1_47radix_sort_onesweep_sort_config_static_selectorELNS0_4arch9wavefront6targetE0EEEvSN_
	.globl	_ZN7rocprim17ROCPRIM_400000_NS6detail17trampoline_kernelINS0_14default_configENS1_35radix_sort_onesweep_config_selectorIjN6thrust23THRUST_200600_302600_NS5tupleIffNS6_9null_typeES8_S8_S8_S8_S8_S8_S8_EEEEZZNS1_29radix_sort_onesweep_iterationIS3_Lb0ENS6_6detail15normal_iteratorINS6_10device_ptrIjEEEESG_NSD_INSE_IS9_EEEESI_jNS0_19identity_decomposerENS1_16block_id_wrapperIjLb0EEEEE10hipError_tT1_PNSt15iterator_traitsISN_E10value_typeET2_T3_PNSO_IST_E10value_typeET4_T5_PSY_SZ_PNS1_23onesweep_lookback_stateEbbT6_jjT7_P12ihipStream_tbENKUlT_T0_SN_SS_E_clISG_PjSI_PS9_EEDaS16_S17_SN_SS_EUlS16_E_NS1_11comp_targetILNS1_3genE6ELNS1_11target_archE950ELNS1_3gpuE13ELNS1_3repE0EEENS1_47radix_sort_onesweep_sort_config_static_selectorELNS0_4arch9wavefront6targetE0EEEvSN_
	.p2align	8
	.type	_ZN7rocprim17ROCPRIM_400000_NS6detail17trampoline_kernelINS0_14default_configENS1_35radix_sort_onesweep_config_selectorIjN6thrust23THRUST_200600_302600_NS5tupleIffNS6_9null_typeES8_S8_S8_S8_S8_S8_S8_EEEEZZNS1_29radix_sort_onesweep_iterationIS3_Lb0ENS6_6detail15normal_iteratorINS6_10device_ptrIjEEEESG_NSD_INSE_IS9_EEEESI_jNS0_19identity_decomposerENS1_16block_id_wrapperIjLb0EEEEE10hipError_tT1_PNSt15iterator_traitsISN_E10value_typeET2_T3_PNSO_IST_E10value_typeET4_T5_PSY_SZ_PNS1_23onesweep_lookback_stateEbbT6_jjT7_P12ihipStream_tbENKUlT_T0_SN_SS_E_clISG_PjSI_PS9_EEDaS16_S17_SN_SS_EUlS16_E_NS1_11comp_targetILNS1_3genE6ELNS1_11target_archE950ELNS1_3gpuE13ELNS1_3repE0EEENS1_47radix_sort_onesweep_sort_config_static_selectorELNS0_4arch9wavefront6targetE0EEEvSN_,@function
_ZN7rocprim17ROCPRIM_400000_NS6detail17trampoline_kernelINS0_14default_configENS1_35radix_sort_onesweep_config_selectorIjN6thrust23THRUST_200600_302600_NS5tupleIffNS6_9null_typeES8_S8_S8_S8_S8_S8_S8_EEEEZZNS1_29radix_sort_onesweep_iterationIS3_Lb0ENS6_6detail15normal_iteratorINS6_10device_ptrIjEEEESG_NSD_INSE_IS9_EEEESI_jNS0_19identity_decomposerENS1_16block_id_wrapperIjLb0EEEEE10hipError_tT1_PNSt15iterator_traitsISN_E10value_typeET2_T3_PNSO_IST_E10value_typeET4_T5_PSY_SZ_PNS1_23onesweep_lookback_stateEbbT6_jjT7_P12ihipStream_tbENKUlT_T0_SN_SS_E_clISG_PjSI_PS9_EEDaS16_S17_SN_SS_EUlS16_E_NS1_11comp_targetILNS1_3genE6ELNS1_11target_archE950ELNS1_3gpuE13ELNS1_3repE0EEENS1_47radix_sort_onesweep_sort_config_static_selectorELNS0_4arch9wavefront6targetE0EEEvSN_: ; @_ZN7rocprim17ROCPRIM_400000_NS6detail17trampoline_kernelINS0_14default_configENS1_35radix_sort_onesweep_config_selectorIjN6thrust23THRUST_200600_302600_NS5tupleIffNS6_9null_typeES8_S8_S8_S8_S8_S8_S8_EEEEZZNS1_29radix_sort_onesweep_iterationIS3_Lb0ENS6_6detail15normal_iteratorINS6_10device_ptrIjEEEESG_NSD_INSE_IS9_EEEESI_jNS0_19identity_decomposerENS1_16block_id_wrapperIjLb0EEEEE10hipError_tT1_PNSt15iterator_traitsISN_E10value_typeET2_T3_PNSO_IST_E10value_typeET4_T5_PSY_SZ_PNS1_23onesweep_lookback_stateEbbT6_jjT7_P12ihipStream_tbENKUlT_T0_SN_SS_E_clISG_PjSI_PS9_EEDaS16_S17_SN_SS_EUlS16_E_NS1_11comp_targetILNS1_3genE6ELNS1_11target_archE950ELNS1_3gpuE13ELNS1_3repE0EEENS1_47radix_sort_onesweep_sort_config_static_selectorELNS0_4arch9wavefront6targetE0EEEvSN_
; %bb.0:
	.section	.rodata,"a",@progbits
	.p2align	6, 0x0
	.amdhsa_kernel _ZN7rocprim17ROCPRIM_400000_NS6detail17trampoline_kernelINS0_14default_configENS1_35radix_sort_onesweep_config_selectorIjN6thrust23THRUST_200600_302600_NS5tupleIffNS6_9null_typeES8_S8_S8_S8_S8_S8_S8_EEEEZZNS1_29radix_sort_onesweep_iterationIS3_Lb0ENS6_6detail15normal_iteratorINS6_10device_ptrIjEEEESG_NSD_INSE_IS9_EEEESI_jNS0_19identity_decomposerENS1_16block_id_wrapperIjLb0EEEEE10hipError_tT1_PNSt15iterator_traitsISN_E10value_typeET2_T3_PNSO_IST_E10value_typeET4_T5_PSY_SZ_PNS1_23onesweep_lookback_stateEbbT6_jjT7_P12ihipStream_tbENKUlT_T0_SN_SS_E_clISG_PjSI_PS9_EEDaS16_S17_SN_SS_EUlS16_E_NS1_11comp_targetILNS1_3genE6ELNS1_11target_archE950ELNS1_3gpuE13ELNS1_3repE0EEENS1_47radix_sort_onesweep_sort_config_static_selectorELNS0_4arch9wavefront6targetE0EEEvSN_
		.amdhsa_group_segment_fixed_size 0
		.amdhsa_private_segment_fixed_size 0
		.amdhsa_kernarg_size 88
		.amdhsa_user_sgpr_count 6
		.amdhsa_user_sgpr_private_segment_buffer 1
		.amdhsa_user_sgpr_dispatch_ptr 0
		.amdhsa_user_sgpr_queue_ptr 0
		.amdhsa_user_sgpr_kernarg_segment_ptr 1
		.amdhsa_user_sgpr_dispatch_id 0
		.amdhsa_user_sgpr_flat_scratch_init 0
		.amdhsa_user_sgpr_private_segment_size 0
		.amdhsa_wavefront_size32 1
		.amdhsa_uses_dynamic_stack 0
		.amdhsa_system_sgpr_private_segment_wavefront_offset 0
		.amdhsa_system_sgpr_workgroup_id_x 1
		.amdhsa_system_sgpr_workgroup_id_y 0
		.amdhsa_system_sgpr_workgroup_id_z 0
		.amdhsa_system_sgpr_workgroup_info 0
		.amdhsa_system_vgpr_workitem_id 0
		.amdhsa_next_free_vgpr 1
		.amdhsa_next_free_sgpr 1
		.amdhsa_reserve_vcc 0
		.amdhsa_reserve_flat_scratch 0
		.amdhsa_float_round_mode_32 0
		.amdhsa_float_round_mode_16_64 0
		.amdhsa_float_denorm_mode_32 3
		.amdhsa_float_denorm_mode_16_64 3
		.amdhsa_dx10_clamp 1
		.amdhsa_ieee_mode 1
		.amdhsa_fp16_overflow 0
		.amdhsa_workgroup_processor_mode 1
		.amdhsa_memory_ordered 1
		.amdhsa_forward_progress 1
		.amdhsa_shared_vgpr_count 0
		.amdhsa_exception_fp_ieee_invalid_op 0
		.amdhsa_exception_fp_denorm_src 0
		.amdhsa_exception_fp_ieee_div_zero 0
		.amdhsa_exception_fp_ieee_overflow 0
		.amdhsa_exception_fp_ieee_underflow 0
		.amdhsa_exception_fp_ieee_inexact 0
		.amdhsa_exception_int_div_zero 0
	.end_amdhsa_kernel
	.section	.text._ZN7rocprim17ROCPRIM_400000_NS6detail17trampoline_kernelINS0_14default_configENS1_35radix_sort_onesweep_config_selectorIjN6thrust23THRUST_200600_302600_NS5tupleIffNS6_9null_typeES8_S8_S8_S8_S8_S8_S8_EEEEZZNS1_29radix_sort_onesweep_iterationIS3_Lb0ENS6_6detail15normal_iteratorINS6_10device_ptrIjEEEESG_NSD_INSE_IS9_EEEESI_jNS0_19identity_decomposerENS1_16block_id_wrapperIjLb0EEEEE10hipError_tT1_PNSt15iterator_traitsISN_E10value_typeET2_T3_PNSO_IST_E10value_typeET4_T5_PSY_SZ_PNS1_23onesweep_lookback_stateEbbT6_jjT7_P12ihipStream_tbENKUlT_T0_SN_SS_E_clISG_PjSI_PS9_EEDaS16_S17_SN_SS_EUlS16_E_NS1_11comp_targetILNS1_3genE6ELNS1_11target_archE950ELNS1_3gpuE13ELNS1_3repE0EEENS1_47radix_sort_onesweep_sort_config_static_selectorELNS0_4arch9wavefront6targetE0EEEvSN_,"axG",@progbits,_ZN7rocprim17ROCPRIM_400000_NS6detail17trampoline_kernelINS0_14default_configENS1_35radix_sort_onesweep_config_selectorIjN6thrust23THRUST_200600_302600_NS5tupleIffNS6_9null_typeES8_S8_S8_S8_S8_S8_S8_EEEEZZNS1_29radix_sort_onesweep_iterationIS3_Lb0ENS6_6detail15normal_iteratorINS6_10device_ptrIjEEEESG_NSD_INSE_IS9_EEEESI_jNS0_19identity_decomposerENS1_16block_id_wrapperIjLb0EEEEE10hipError_tT1_PNSt15iterator_traitsISN_E10value_typeET2_T3_PNSO_IST_E10value_typeET4_T5_PSY_SZ_PNS1_23onesweep_lookback_stateEbbT6_jjT7_P12ihipStream_tbENKUlT_T0_SN_SS_E_clISG_PjSI_PS9_EEDaS16_S17_SN_SS_EUlS16_E_NS1_11comp_targetILNS1_3genE6ELNS1_11target_archE950ELNS1_3gpuE13ELNS1_3repE0EEENS1_47radix_sort_onesweep_sort_config_static_selectorELNS0_4arch9wavefront6targetE0EEEvSN_,comdat
.Lfunc_end212:
	.size	_ZN7rocprim17ROCPRIM_400000_NS6detail17trampoline_kernelINS0_14default_configENS1_35radix_sort_onesweep_config_selectorIjN6thrust23THRUST_200600_302600_NS5tupleIffNS6_9null_typeES8_S8_S8_S8_S8_S8_S8_EEEEZZNS1_29radix_sort_onesweep_iterationIS3_Lb0ENS6_6detail15normal_iteratorINS6_10device_ptrIjEEEESG_NSD_INSE_IS9_EEEESI_jNS0_19identity_decomposerENS1_16block_id_wrapperIjLb0EEEEE10hipError_tT1_PNSt15iterator_traitsISN_E10value_typeET2_T3_PNSO_IST_E10value_typeET4_T5_PSY_SZ_PNS1_23onesweep_lookback_stateEbbT6_jjT7_P12ihipStream_tbENKUlT_T0_SN_SS_E_clISG_PjSI_PS9_EEDaS16_S17_SN_SS_EUlS16_E_NS1_11comp_targetILNS1_3genE6ELNS1_11target_archE950ELNS1_3gpuE13ELNS1_3repE0EEENS1_47radix_sort_onesweep_sort_config_static_selectorELNS0_4arch9wavefront6targetE0EEEvSN_, .Lfunc_end212-_ZN7rocprim17ROCPRIM_400000_NS6detail17trampoline_kernelINS0_14default_configENS1_35radix_sort_onesweep_config_selectorIjN6thrust23THRUST_200600_302600_NS5tupleIffNS6_9null_typeES8_S8_S8_S8_S8_S8_S8_EEEEZZNS1_29radix_sort_onesweep_iterationIS3_Lb0ENS6_6detail15normal_iteratorINS6_10device_ptrIjEEEESG_NSD_INSE_IS9_EEEESI_jNS0_19identity_decomposerENS1_16block_id_wrapperIjLb0EEEEE10hipError_tT1_PNSt15iterator_traitsISN_E10value_typeET2_T3_PNSO_IST_E10value_typeET4_T5_PSY_SZ_PNS1_23onesweep_lookback_stateEbbT6_jjT7_P12ihipStream_tbENKUlT_T0_SN_SS_E_clISG_PjSI_PS9_EEDaS16_S17_SN_SS_EUlS16_E_NS1_11comp_targetILNS1_3genE6ELNS1_11target_archE950ELNS1_3gpuE13ELNS1_3repE0EEENS1_47radix_sort_onesweep_sort_config_static_selectorELNS0_4arch9wavefront6targetE0EEEvSN_
                                        ; -- End function
	.set _ZN7rocprim17ROCPRIM_400000_NS6detail17trampoline_kernelINS0_14default_configENS1_35radix_sort_onesweep_config_selectorIjN6thrust23THRUST_200600_302600_NS5tupleIffNS6_9null_typeES8_S8_S8_S8_S8_S8_S8_EEEEZZNS1_29radix_sort_onesweep_iterationIS3_Lb0ENS6_6detail15normal_iteratorINS6_10device_ptrIjEEEESG_NSD_INSE_IS9_EEEESI_jNS0_19identity_decomposerENS1_16block_id_wrapperIjLb0EEEEE10hipError_tT1_PNSt15iterator_traitsISN_E10value_typeET2_T3_PNSO_IST_E10value_typeET4_T5_PSY_SZ_PNS1_23onesweep_lookback_stateEbbT6_jjT7_P12ihipStream_tbENKUlT_T0_SN_SS_E_clISG_PjSI_PS9_EEDaS16_S17_SN_SS_EUlS16_E_NS1_11comp_targetILNS1_3genE6ELNS1_11target_archE950ELNS1_3gpuE13ELNS1_3repE0EEENS1_47radix_sort_onesweep_sort_config_static_selectorELNS0_4arch9wavefront6targetE0EEEvSN_.num_vgpr, 0
	.set _ZN7rocprim17ROCPRIM_400000_NS6detail17trampoline_kernelINS0_14default_configENS1_35radix_sort_onesweep_config_selectorIjN6thrust23THRUST_200600_302600_NS5tupleIffNS6_9null_typeES8_S8_S8_S8_S8_S8_S8_EEEEZZNS1_29radix_sort_onesweep_iterationIS3_Lb0ENS6_6detail15normal_iteratorINS6_10device_ptrIjEEEESG_NSD_INSE_IS9_EEEESI_jNS0_19identity_decomposerENS1_16block_id_wrapperIjLb0EEEEE10hipError_tT1_PNSt15iterator_traitsISN_E10value_typeET2_T3_PNSO_IST_E10value_typeET4_T5_PSY_SZ_PNS1_23onesweep_lookback_stateEbbT6_jjT7_P12ihipStream_tbENKUlT_T0_SN_SS_E_clISG_PjSI_PS9_EEDaS16_S17_SN_SS_EUlS16_E_NS1_11comp_targetILNS1_3genE6ELNS1_11target_archE950ELNS1_3gpuE13ELNS1_3repE0EEENS1_47radix_sort_onesweep_sort_config_static_selectorELNS0_4arch9wavefront6targetE0EEEvSN_.num_agpr, 0
	.set _ZN7rocprim17ROCPRIM_400000_NS6detail17trampoline_kernelINS0_14default_configENS1_35radix_sort_onesweep_config_selectorIjN6thrust23THRUST_200600_302600_NS5tupleIffNS6_9null_typeES8_S8_S8_S8_S8_S8_S8_EEEEZZNS1_29radix_sort_onesweep_iterationIS3_Lb0ENS6_6detail15normal_iteratorINS6_10device_ptrIjEEEESG_NSD_INSE_IS9_EEEESI_jNS0_19identity_decomposerENS1_16block_id_wrapperIjLb0EEEEE10hipError_tT1_PNSt15iterator_traitsISN_E10value_typeET2_T3_PNSO_IST_E10value_typeET4_T5_PSY_SZ_PNS1_23onesweep_lookback_stateEbbT6_jjT7_P12ihipStream_tbENKUlT_T0_SN_SS_E_clISG_PjSI_PS9_EEDaS16_S17_SN_SS_EUlS16_E_NS1_11comp_targetILNS1_3genE6ELNS1_11target_archE950ELNS1_3gpuE13ELNS1_3repE0EEENS1_47radix_sort_onesweep_sort_config_static_selectorELNS0_4arch9wavefront6targetE0EEEvSN_.numbered_sgpr, 0
	.set _ZN7rocprim17ROCPRIM_400000_NS6detail17trampoline_kernelINS0_14default_configENS1_35radix_sort_onesweep_config_selectorIjN6thrust23THRUST_200600_302600_NS5tupleIffNS6_9null_typeES8_S8_S8_S8_S8_S8_S8_EEEEZZNS1_29radix_sort_onesweep_iterationIS3_Lb0ENS6_6detail15normal_iteratorINS6_10device_ptrIjEEEESG_NSD_INSE_IS9_EEEESI_jNS0_19identity_decomposerENS1_16block_id_wrapperIjLb0EEEEE10hipError_tT1_PNSt15iterator_traitsISN_E10value_typeET2_T3_PNSO_IST_E10value_typeET4_T5_PSY_SZ_PNS1_23onesweep_lookback_stateEbbT6_jjT7_P12ihipStream_tbENKUlT_T0_SN_SS_E_clISG_PjSI_PS9_EEDaS16_S17_SN_SS_EUlS16_E_NS1_11comp_targetILNS1_3genE6ELNS1_11target_archE950ELNS1_3gpuE13ELNS1_3repE0EEENS1_47radix_sort_onesweep_sort_config_static_selectorELNS0_4arch9wavefront6targetE0EEEvSN_.num_named_barrier, 0
	.set _ZN7rocprim17ROCPRIM_400000_NS6detail17trampoline_kernelINS0_14default_configENS1_35radix_sort_onesweep_config_selectorIjN6thrust23THRUST_200600_302600_NS5tupleIffNS6_9null_typeES8_S8_S8_S8_S8_S8_S8_EEEEZZNS1_29radix_sort_onesweep_iterationIS3_Lb0ENS6_6detail15normal_iteratorINS6_10device_ptrIjEEEESG_NSD_INSE_IS9_EEEESI_jNS0_19identity_decomposerENS1_16block_id_wrapperIjLb0EEEEE10hipError_tT1_PNSt15iterator_traitsISN_E10value_typeET2_T3_PNSO_IST_E10value_typeET4_T5_PSY_SZ_PNS1_23onesweep_lookback_stateEbbT6_jjT7_P12ihipStream_tbENKUlT_T0_SN_SS_E_clISG_PjSI_PS9_EEDaS16_S17_SN_SS_EUlS16_E_NS1_11comp_targetILNS1_3genE6ELNS1_11target_archE950ELNS1_3gpuE13ELNS1_3repE0EEENS1_47radix_sort_onesweep_sort_config_static_selectorELNS0_4arch9wavefront6targetE0EEEvSN_.private_seg_size, 0
	.set _ZN7rocprim17ROCPRIM_400000_NS6detail17trampoline_kernelINS0_14default_configENS1_35radix_sort_onesweep_config_selectorIjN6thrust23THRUST_200600_302600_NS5tupleIffNS6_9null_typeES8_S8_S8_S8_S8_S8_S8_EEEEZZNS1_29radix_sort_onesweep_iterationIS3_Lb0ENS6_6detail15normal_iteratorINS6_10device_ptrIjEEEESG_NSD_INSE_IS9_EEEESI_jNS0_19identity_decomposerENS1_16block_id_wrapperIjLb0EEEEE10hipError_tT1_PNSt15iterator_traitsISN_E10value_typeET2_T3_PNSO_IST_E10value_typeET4_T5_PSY_SZ_PNS1_23onesweep_lookback_stateEbbT6_jjT7_P12ihipStream_tbENKUlT_T0_SN_SS_E_clISG_PjSI_PS9_EEDaS16_S17_SN_SS_EUlS16_E_NS1_11comp_targetILNS1_3genE6ELNS1_11target_archE950ELNS1_3gpuE13ELNS1_3repE0EEENS1_47radix_sort_onesweep_sort_config_static_selectorELNS0_4arch9wavefront6targetE0EEEvSN_.uses_vcc, 0
	.set _ZN7rocprim17ROCPRIM_400000_NS6detail17trampoline_kernelINS0_14default_configENS1_35radix_sort_onesweep_config_selectorIjN6thrust23THRUST_200600_302600_NS5tupleIffNS6_9null_typeES8_S8_S8_S8_S8_S8_S8_EEEEZZNS1_29radix_sort_onesweep_iterationIS3_Lb0ENS6_6detail15normal_iteratorINS6_10device_ptrIjEEEESG_NSD_INSE_IS9_EEEESI_jNS0_19identity_decomposerENS1_16block_id_wrapperIjLb0EEEEE10hipError_tT1_PNSt15iterator_traitsISN_E10value_typeET2_T3_PNSO_IST_E10value_typeET4_T5_PSY_SZ_PNS1_23onesweep_lookback_stateEbbT6_jjT7_P12ihipStream_tbENKUlT_T0_SN_SS_E_clISG_PjSI_PS9_EEDaS16_S17_SN_SS_EUlS16_E_NS1_11comp_targetILNS1_3genE6ELNS1_11target_archE950ELNS1_3gpuE13ELNS1_3repE0EEENS1_47radix_sort_onesweep_sort_config_static_selectorELNS0_4arch9wavefront6targetE0EEEvSN_.uses_flat_scratch, 0
	.set _ZN7rocprim17ROCPRIM_400000_NS6detail17trampoline_kernelINS0_14default_configENS1_35radix_sort_onesweep_config_selectorIjN6thrust23THRUST_200600_302600_NS5tupleIffNS6_9null_typeES8_S8_S8_S8_S8_S8_S8_EEEEZZNS1_29radix_sort_onesweep_iterationIS3_Lb0ENS6_6detail15normal_iteratorINS6_10device_ptrIjEEEESG_NSD_INSE_IS9_EEEESI_jNS0_19identity_decomposerENS1_16block_id_wrapperIjLb0EEEEE10hipError_tT1_PNSt15iterator_traitsISN_E10value_typeET2_T3_PNSO_IST_E10value_typeET4_T5_PSY_SZ_PNS1_23onesweep_lookback_stateEbbT6_jjT7_P12ihipStream_tbENKUlT_T0_SN_SS_E_clISG_PjSI_PS9_EEDaS16_S17_SN_SS_EUlS16_E_NS1_11comp_targetILNS1_3genE6ELNS1_11target_archE950ELNS1_3gpuE13ELNS1_3repE0EEENS1_47radix_sort_onesweep_sort_config_static_selectorELNS0_4arch9wavefront6targetE0EEEvSN_.has_dyn_sized_stack, 0
	.set _ZN7rocprim17ROCPRIM_400000_NS6detail17trampoline_kernelINS0_14default_configENS1_35radix_sort_onesweep_config_selectorIjN6thrust23THRUST_200600_302600_NS5tupleIffNS6_9null_typeES8_S8_S8_S8_S8_S8_S8_EEEEZZNS1_29radix_sort_onesweep_iterationIS3_Lb0ENS6_6detail15normal_iteratorINS6_10device_ptrIjEEEESG_NSD_INSE_IS9_EEEESI_jNS0_19identity_decomposerENS1_16block_id_wrapperIjLb0EEEEE10hipError_tT1_PNSt15iterator_traitsISN_E10value_typeET2_T3_PNSO_IST_E10value_typeET4_T5_PSY_SZ_PNS1_23onesweep_lookback_stateEbbT6_jjT7_P12ihipStream_tbENKUlT_T0_SN_SS_E_clISG_PjSI_PS9_EEDaS16_S17_SN_SS_EUlS16_E_NS1_11comp_targetILNS1_3genE6ELNS1_11target_archE950ELNS1_3gpuE13ELNS1_3repE0EEENS1_47radix_sort_onesweep_sort_config_static_selectorELNS0_4arch9wavefront6targetE0EEEvSN_.has_recursion, 0
	.set _ZN7rocprim17ROCPRIM_400000_NS6detail17trampoline_kernelINS0_14default_configENS1_35radix_sort_onesweep_config_selectorIjN6thrust23THRUST_200600_302600_NS5tupleIffNS6_9null_typeES8_S8_S8_S8_S8_S8_S8_EEEEZZNS1_29radix_sort_onesweep_iterationIS3_Lb0ENS6_6detail15normal_iteratorINS6_10device_ptrIjEEEESG_NSD_INSE_IS9_EEEESI_jNS0_19identity_decomposerENS1_16block_id_wrapperIjLb0EEEEE10hipError_tT1_PNSt15iterator_traitsISN_E10value_typeET2_T3_PNSO_IST_E10value_typeET4_T5_PSY_SZ_PNS1_23onesweep_lookback_stateEbbT6_jjT7_P12ihipStream_tbENKUlT_T0_SN_SS_E_clISG_PjSI_PS9_EEDaS16_S17_SN_SS_EUlS16_E_NS1_11comp_targetILNS1_3genE6ELNS1_11target_archE950ELNS1_3gpuE13ELNS1_3repE0EEENS1_47radix_sort_onesweep_sort_config_static_selectorELNS0_4arch9wavefront6targetE0EEEvSN_.has_indirect_call, 0
	.section	.AMDGPU.csdata,"",@progbits
; Kernel info:
; codeLenInByte = 0
; TotalNumSgprs: 0
; NumVgprs: 0
; ScratchSize: 0
; MemoryBound: 0
; FloatMode: 240
; IeeeMode: 1
; LDSByteSize: 0 bytes/workgroup (compile time only)
; SGPRBlocks: 0
; VGPRBlocks: 0
; NumSGPRsForWavesPerEU: 1
; NumVGPRsForWavesPerEU: 1
; Occupancy: 16
; WaveLimiterHint : 0
; COMPUTE_PGM_RSRC2:SCRATCH_EN: 0
; COMPUTE_PGM_RSRC2:USER_SGPR: 6
; COMPUTE_PGM_RSRC2:TRAP_HANDLER: 0
; COMPUTE_PGM_RSRC2:TGID_X_EN: 1
; COMPUTE_PGM_RSRC2:TGID_Y_EN: 0
; COMPUTE_PGM_RSRC2:TGID_Z_EN: 0
; COMPUTE_PGM_RSRC2:TIDIG_COMP_CNT: 0
	.section	.text._ZN7rocprim17ROCPRIM_400000_NS6detail17trampoline_kernelINS0_14default_configENS1_35radix_sort_onesweep_config_selectorIjN6thrust23THRUST_200600_302600_NS5tupleIffNS6_9null_typeES8_S8_S8_S8_S8_S8_S8_EEEEZZNS1_29radix_sort_onesweep_iterationIS3_Lb0ENS6_6detail15normal_iteratorINS6_10device_ptrIjEEEESG_NSD_INSE_IS9_EEEESI_jNS0_19identity_decomposerENS1_16block_id_wrapperIjLb0EEEEE10hipError_tT1_PNSt15iterator_traitsISN_E10value_typeET2_T3_PNSO_IST_E10value_typeET4_T5_PSY_SZ_PNS1_23onesweep_lookback_stateEbbT6_jjT7_P12ihipStream_tbENKUlT_T0_SN_SS_E_clISG_PjSI_PS9_EEDaS16_S17_SN_SS_EUlS16_E_NS1_11comp_targetILNS1_3genE5ELNS1_11target_archE942ELNS1_3gpuE9ELNS1_3repE0EEENS1_47radix_sort_onesweep_sort_config_static_selectorELNS0_4arch9wavefront6targetE0EEEvSN_,"axG",@progbits,_ZN7rocprim17ROCPRIM_400000_NS6detail17trampoline_kernelINS0_14default_configENS1_35radix_sort_onesweep_config_selectorIjN6thrust23THRUST_200600_302600_NS5tupleIffNS6_9null_typeES8_S8_S8_S8_S8_S8_S8_EEEEZZNS1_29radix_sort_onesweep_iterationIS3_Lb0ENS6_6detail15normal_iteratorINS6_10device_ptrIjEEEESG_NSD_INSE_IS9_EEEESI_jNS0_19identity_decomposerENS1_16block_id_wrapperIjLb0EEEEE10hipError_tT1_PNSt15iterator_traitsISN_E10value_typeET2_T3_PNSO_IST_E10value_typeET4_T5_PSY_SZ_PNS1_23onesweep_lookback_stateEbbT6_jjT7_P12ihipStream_tbENKUlT_T0_SN_SS_E_clISG_PjSI_PS9_EEDaS16_S17_SN_SS_EUlS16_E_NS1_11comp_targetILNS1_3genE5ELNS1_11target_archE942ELNS1_3gpuE9ELNS1_3repE0EEENS1_47radix_sort_onesweep_sort_config_static_selectorELNS0_4arch9wavefront6targetE0EEEvSN_,comdat
	.protected	_ZN7rocprim17ROCPRIM_400000_NS6detail17trampoline_kernelINS0_14default_configENS1_35radix_sort_onesweep_config_selectorIjN6thrust23THRUST_200600_302600_NS5tupleIffNS6_9null_typeES8_S8_S8_S8_S8_S8_S8_EEEEZZNS1_29radix_sort_onesweep_iterationIS3_Lb0ENS6_6detail15normal_iteratorINS6_10device_ptrIjEEEESG_NSD_INSE_IS9_EEEESI_jNS0_19identity_decomposerENS1_16block_id_wrapperIjLb0EEEEE10hipError_tT1_PNSt15iterator_traitsISN_E10value_typeET2_T3_PNSO_IST_E10value_typeET4_T5_PSY_SZ_PNS1_23onesweep_lookback_stateEbbT6_jjT7_P12ihipStream_tbENKUlT_T0_SN_SS_E_clISG_PjSI_PS9_EEDaS16_S17_SN_SS_EUlS16_E_NS1_11comp_targetILNS1_3genE5ELNS1_11target_archE942ELNS1_3gpuE9ELNS1_3repE0EEENS1_47radix_sort_onesweep_sort_config_static_selectorELNS0_4arch9wavefront6targetE0EEEvSN_ ; -- Begin function _ZN7rocprim17ROCPRIM_400000_NS6detail17trampoline_kernelINS0_14default_configENS1_35radix_sort_onesweep_config_selectorIjN6thrust23THRUST_200600_302600_NS5tupleIffNS6_9null_typeES8_S8_S8_S8_S8_S8_S8_EEEEZZNS1_29radix_sort_onesweep_iterationIS3_Lb0ENS6_6detail15normal_iteratorINS6_10device_ptrIjEEEESG_NSD_INSE_IS9_EEEESI_jNS0_19identity_decomposerENS1_16block_id_wrapperIjLb0EEEEE10hipError_tT1_PNSt15iterator_traitsISN_E10value_typeET2_T3_PNSO_IST_E10value_typeET4_T5_PSY_SZ_PNS1_23onesweep_lookback_stateEbbT6_jjT7_P12ihipStream_tbENKUlT_T0_SN_SS_E_clISG_PjSI_PS9_EEDaS16_S17_SN_SS_EUlS16_E_NS1_11comp_targetILNS1_3genE5ELNS1_11target_archE942ELNS1_3gpuE9ELNS1_3repE0EEENS1_47radix_sort_onesweep_sort_config_static_selectorELNS0_4arch9wavefront6targetE0EEEvSN_
	.globl	_ZN7rocprim17ROCPRIM_400000_NS6detail17trampoline_kernelINS0_14default_configENS1_35radix_sort_onesweep_config_selectorIjN6thrust23THRUST_200600_302600_NS5tupleIffNS6_9null_typeES8_S8_S8_S8_S8_S8_S8_EEEEZZNS1_29radix_sort_onesweep_iterationIS3_Lb0ENS6_6detail15normal_iteratorINS6_10device_ptrIjEEEESG_NSD_INSE_IS9_EEEESI_jNS0_19identity_decomposerENS1_16block_id_wrapperIjLb0EEEEE10hipError_tT1_PNSt15iterator_traitsISN_E10value_typeET2_T3_PNSO_IST_E10value_typeET4_T5_PSY_SZ_PNS1_23onesweep_lookback_stateEbbT6_jjT7_P12ihipStream_tbENKUlT_T0_SN_SS_E_clISG_PjSI_PS9_EEDaS16_S17_SN_SS_EUlS16_E_NS1_11comp_targetILNS1_3genE5ELNS1_11target_archE942ELNS1_3gpuE9ELNS1_3repE0EEENS1_47radix_sort_onesweep_sort_config_static_selectorELNS0_4arch9wavefront6targetE0EEEvSN_
	.p2align	8
	.type	_ZN7rocprim17ROCPRIM_400000_NS6detail17trampoline_kernelINS0_14default_configENS1_35radix_sort_onesweep_config_selectorIjN6thrust23THRUST_200600_302600_NS5tupleIffNS6_9null_typeES8_S8_S8_S8_S8_S8_S8_EEEEZZNS1_29radix_sort_onesweep_iterationIS3_Lb0ENS6_6detail15normal_iteratorINS6_10device_ptrIjEEEESG_NSD_INSE_IS9_EEEESI_jNS0_19identity_decomposerENS1_16block_id_wrapperIjLb0EEEEE10hipError_tT1_PNSt15iterator_traitsISN_E10value_typeET2_T3_PNSO_IST_E10value_typeET4_T5_PSY_SZ_PNS1_23onesweep_lookback_stateEbbT6_jjT7_P12ihipStream_tbENKUlT_T0_SN_SS_E_clISG_PjSI_PS9_EEDaS16_S17_SN_SS_EUlS16_E_NS1_11comp_targetILNS1_3genE5ELNS1_11target_archE942ELNS1_3gpuE9ELNS1_3repE0EEENS1_47radix_sort_onesweep_sort_config_static_selectorELNS0_4arch9wavefront6targetE0EEEvSN_,@function
_ZN7rocprim17ROCPRIM_400000_NS6detail17trampoline_kernelINS0_14default_configENS1_35radix_sort_onesweep_config_selectorIjN6thrust23THRUST_200600_302600_NS5tupleIffNS6_9null_typeES8_S8_S8_S8_S8_S8_S8_EEEEZZNS1_29radix_sort_onesweep_iterationIS3_Lb0ENS6_6detail15normal_iteratorINS6_10device_ptrIjEEEESG_NSD_INSE_IS9_EEEESI_jNS0_19identity_decomposerENS1_16block_id_wrapperIjLb0EEEEE10hipError_tT1_PNSt15iterator_traitsISN_E10value_typeET2_T3_PNSO_IST_E10value_typeET4_T5_PSY_SZ_PNS1_23onesweep_lookback_stateEbbT6_jjT7_P12ihipStream_tbENKUlT_T0_SN_SS_E_clISG_PjSI_PS9_EEDaS16_S17_SN_SS_EUlS16_E_NS1_11comp_targetILNS1_3genE5ELNS1_11target_archE942ELNS1_3gpuE9ELNS1_3repE0EEENS1_47radix_sort_onesweep_sort_config_static_selectorELNS0_4arch9wavefront6targetE0EEEvSN_: ; @_ZN7rocprim17ROCPRIM_400000_NS6detail17trampoline_kernelINS0_14default_configENS1_35radix_sort_onesweep_config_selectorIjN6thrust23THRUST_200600_302600_NS5tupleIffNS6_9null_typeES8_S8_S8_S8_S8_S8_S8_EEEEZZNS1_29radix_sort_onesweep_iterationIS3_Lb0ENS6_6detail15normal_iteratorINS6_10device_ptrIjEEEESG_NSD_INSE_IS9_EEEESI_jNS0_19identity_decomposerENS1_16block_id_wrapperIjLb0EEEEE10hipError_tT1_PNSt15iterator_traitsISN_E10value_typeET2_T3_PNSO_IST_E10value_typeET4_T5_PSY_SZ_PNS1_23onesweep_lookback_stateEbbT6_jjT7_P12ihipStream_tbENKUlT_T0_SN_SS_E_clISG_PjSI_PS9_EEDaS16_S17_SN_SS_EUlS16_E_NS1_11comp_targetILNS1_3genE5ELNS1_11target_archE942ELNS1_3gpuE9ELNS1_3repE0EEENS1_47radix_sort_onesweep_sort_config_static_selectorELNS0_4arch9wavefront6targetE0EEEvSN_
; %bb.0:
	.section	.rodata,"a",@progbits
	.p2align	6, 0x0
	.amdhsa_kernel _ZN7rocprim17ROCPRIM_400000_NS6detail17trampoline_kernelINS0_14default_configENS1_35radix_sort_onesweep_config_selectorIjN6thrust23THRUST_200600_302600_NS5tupleIffNS6_9null_typeES8_S8_S8_S8_S8_S8_S8_EEEEZZNS1_29radix_sort_onesweep_iterationIS3_Lb0ENS6_6detail15normal_iteratorINS6_10device_ptrIjEEEESG_NSD_INSE_IS9_EEEESI_jNS0_19identity_decomposerENS1_16block_id_wrapperIjLb0EEEEE10hipError_tT1_PNSt15iterator_traitsISN_E10value_typeET2_T3_PNSO_IST_E10value_typeET4_T5_PSY_SZ_PNS1_23onesweep_lookback_stateEbbT6_jjT7_P12ihipStream_tbENKUlT_T0_SN_SS_E_clISG_PjSI_PS9_EEDaS16_S17_SN_SS_EUlS16_E_NS1_11comp_targetILNS1_3genE5ELNS1_11target_archE942ELNS1_3gpuE9ELNS1_3repE0EEENS1_47radix_sort_onesweep_sort_config_static_selectorELNS0_4arch9wavefront6targetE0EEEvSN_
		.amdhsa_group_segment_fixed_size 0
		.amdhsa_private_segment_fixed_size 0
		.amdhsa_kernarg_size 88
		.amdhsa_user_sgpr_count 6
		.amdhsa_user_sgpr_private_segment_buffer 1
		.amdhsa_user_sgpr_dispatch_ptr 0
		.amdhsa_user_sgpr_queue_ptr 0
		.amdhsa_user_sgpr_kernarg_segment_ptr 1
		.amdhsa_user_sgpr_dispatch_id 0
		.amdhsa_user_sgpr_flat_scratch_init 0
		.amdhsa_user_sgpr_private_segment_size 0
		.amdhsa_wavefront_size32 1
		.amdhsa_uses_dynamic_stack 0
		.amdhsa_system_sgpr_private_segment_wavefront_offset 0
		.amdhsa_system_sgpr_workgroup_id_x 1
		.amdhsa_system_sgpr_workgroup_id_y 0
		.amdhsa_system_sgpr_workgroup_id_z 0
		.amdhsa_system_sgpr_workgroup_info 0
		.amdhsa_system_vgpr_workitem_id 0
		.amdhsa_next_free_vgpr 1
		.amdhsa_next_free_sgpr 1
		.amdhsa_reserve_vcc 0
		.amdhsa_reserve_flat_scratch 0
		.amdhsa_float_round_mode_32 0
		.amdhsa_float_round_mode_16_64 0
		.amdhsa_float_denorm_mode_32 3
		.amdhsa_float_denorm_mode_16_64 3
		.amdhsa_dx10_clamp 1
		.amdhsa_ieee_mode 1
		.amdhsa_fp16_overflow 0
		.amdhsa_workgroup_processor_mode 1
		.amdhsa_memory_ordered 1
		.amdhsa_forward_progress 1
		.amdhsa_shared_vgpr_count 0
		.amdhsa_exception_fp_ieee_invalid_op 0
		.amdhsa_exception_fp_denorm_src 0
		.amdhsa_exception_fp_ieee_div_zero 0
		.amdhsa_exception_fp_ieee_overflow 0
		.amdhsa_exception_fp_ieee_underflow 0
		.amdhsa_exception_fp_ieee_inexact 0
		.amdhsa_exception_int_div_zero 0
	.end_amdhsa_kernel
	.section	.text._ZN7rocprim17ROCPRIM_400000_NS6detail17trampoline_kernelINS0_14default_configENS1_35radix_sort_onesweep_config_selectorIjN6thrust23THRUST_200600_302600_NS5tupleIffNS6_9null_typeES8_S8_S8_S8_S8_S8_S8_EEEEZZNS1_29radix_sort_onesweep_iterationIS3_Lb0ENS6_6detail15normal_iteratorINS6_10device_ptrIjEEEESG_NSD_INSE_IS9_EEEESI_jNS0_19identity_decomposerENS1_16block_id_wrapperIjLb0EEEEE10hipError_tT1_PNSt15iterator_traitsISN_E10value_typeET2_T3_PNSO_IST_E10value_typeET4_T5_PSY_SZ_PNS1_23onesweep_lookback_stateEbbT6_jjT7_P12ihipStream_tbENKUlT_T0_SN_SS_E_clISG_PjSI_PS9_EEDaS16_S17_SN_SS_EUlS16_E_NS1_11comp_targetILNS1_3genE5ELNS1_11target_archE942ELNS1_3gpuE9ELNS1_3repE0EEENS1_47radix_sort_onesweep_sort_config_static_selectorELNS0_4arch9wavefront6targetE0EEEvSN_,"axG",@progbits,_ZN7rocprim17ROCPRIM_400000_NS6detail17trampoline_kernelINS0_14default_configENS1_35radix_sort_onesweep_config_selectorIjN6thrust23THRUST_200600_302600_NS5tupleIffNS6_9null_typeES8_S8_S8_S8_S8_S8_S8_EEEEZZNS1_29radix_sort_onesweep_iterationIS3_Lb0ENS6_6detail15normal_iteratorINS6_10device_ptrIjEEEESG_NSD_INSE_IS9_EEEESI_jNS0_19identity_decomposerENS1_16block_id_wrapperIjLb0EEEEE10hipError_tT1_PNSt15iterator_traitsISN_E10value_typeET2_T3_PNSO_IST_E10value_typeET4_T5_PSY_SZ_PNS1_23onesweep_lookback_stateEbbT6_jjT7_P12ihipStream_tbENKUlT_T0_SN_SS_E_clISG_PjSI_PS9_EEDaS16_S17_SN_SS_EUlS16_E_NS1_11comp_targetILNS1_3genE5ELNS1_11target_archE942ELNS1_3gpuE9ELNS1_3repE0EEENS1_47radix_sort_onesweep_sort_config_static_selectorELNS0_4arch9wavefront6targetE0EEEvSN_,comdat
.Lfunc_end213:
	.size	_ZN7rocprim17ROCPRIM_400000_NS6detail17trampoline_kernelINS0_14default_configENS1_35radix_sort_onesweep_config_selectorIjN6thrust23THRUST_200600_302600_NS5tupleIffNS6_9null_typeES8_S8_S8_S8_S8_S8_S8_EEEEZZNS1_29radix_sort_onesweep_iterationIS3_Lb0ENS6_6detail15normal_iteratorINS6_10device_ptrIjEEEESG_NSD_INSE_IS9_EEEESI_jNS0_19identity_decomposerENS1_16block_id_wrapperIjLb0EEEEE10hipError_tT1_PNSt15iterator_traitsISN_E10value_typeET2_T3_PNSO_IST_E10value_typeET4_T5_PSY_SZ_PNS1_23onesweep_lookback_stateEbbT6_jjT7_P12ihipStream_tbENKUlT_T0_SN_SS_E_clISG_PjSI_PS9_EEDaS16_S17_SN_SS_EUlS16_E_NS1_11comp_targetILNS1_3genE5ELNS1_11target_archE942ELNS1_3gpuE9ELNS1_3repE0EEENS1_47radix_sort_onesweep_sort_config_static_selectorELNS0_4arch9wavefront6targetE0EEEvSN_, .Lfunc_end213-_ZN7rocprim17ROCPRIM_400000_NS6detail17trampoline_kernelINS0_14default_configENS1_35radix_sort_onesweep_config_selectorIjN6thrust23THRUST_200600_302600_NS5tupleIffNS6_9null_typeES8_S8_S8_S8_S8_S8_S8_EEEEZZNS1_29radix_sort_onesweep_iterationIS3_Lb0ENS6_6detail15normal_iteratorINS6_10device_ptrIjEEEESG_NSD_INSE_IS9_EEEESI_jNS0_19identity_decomposerENS1_16block_id_wrapperIjLb0EEEEE10hipError_tT1_PNSt15iterator_traitsISN_E10value_typeET2_T3_PNSO_IST_E10value_typeET4_T5_PSY_SZ_PNS1_23onesweep_lookback_stateEbbT6_jjT7_P12ihipStream_tbENKUlT_T0_SN_SS_E_clISG_PjSI_PS9_EEDaS16_S17_SN_SS_EUlS16_E_NS1_11comp_targetILNS1_3genE5ELNS1_11target_archE942ELNS1_3gpuE9ELNS1_3repE0EEENS1_47radix_sort_onesweep_sort_config_static_selectorELNS0_4arch9wavefront6targetE0EEEvSN_
                                        ; -- End function
	.set _ZN7rocprim17ROCPRIM_400000_NS6detail17trampoline_kernelINS0_14default_configENS1_35radix_sort_onesweep_config_selectorIjN6thrust23THRUST_200600_302600_NS5tupleIffNS6_9null_typeES8_S8_S8_S8_S8_S8_S8_EEEEZZNS1_29radix_sort_onesweep_iterationIS3_Lb0ENS6_6detail15normal_iteratorINS6_10device_ptrIjEEEESG_NSD_INSE_IS9_EEEESI_jNS0_19identity_decomposerENS1_16block_id_wrapperIjLb0EEEEE10hipError_tT1_PNSt15iterator_traitsISN_E10value_typeET2_T3_PNSO_IST_E10value_typeET4_T5_PSY_SZ_PNS1_23onesweep_lookback_stateEbbT6_jjT7_P12ihipStream_tbENKUlT_T0_SN_SS_E_clISG_PjSI_PS9_EEDaS16_S17_SN_SS_EUlS16_E_NS1_11comp_targetILNS1_3genE5ELNS1_11target_archE942ELNS1_3gpuE9ELNS1_3repE0EEENS1_47radix_sort_onesweep_sort_config_static_selectorELNS0_4arch9wavefront6targetE0EEEvSN_.num_vgpr, 0
	.set _ZN7rocprim17ROCPRIM_400000_NS6detail17trampoline_kernelINS0_14default_configENS1_35radix_sort_onesweep_config_selectorIjN6thrust23THRUST_200600_302600_NS5tupleIffNS6_9null_typeES8_S8_S8_S8_S8_S8_S8_EEEEZZNS1_29radix_sort_onesweep_iterationIS3_Lb0ENS6_6detail15normal_iteratorINS6_10device_ptrIjEEEESG_NSD_INSE_IS9_EEEESI_jNS0_19identity_decomposerENS1_16block_id_wrapperIjLb0EEEEE10hipError_tT1_PNSt15iterator_traitsISN_E10value_typeET2_T3_PNSO_IST_E10value_typeET4_T5_PSY_SZ_PNS1_23onesweep_lookback_stateEbbT6_jjT7_P12ihipStream_tbENKUlT_T0_SN_SS_E_clISG_PjSI_PS9_EEDaS16_S17_SN_SS_EUlS16_E_NS1_11comp_targetILNS1_3genE5ELNS1_11target_archE942ELNS1_3gpuE9ELNS1_3repE0EEENS1_47radix_sort_onesweep_sort_config_static_selectorELNS0_4arch9wavefront6targetE0EEEvSN_.num_agpr, 0
	.set _ZN7rocprim17ROCPRIM_400000_NS6detail17trampoline_kernelINS0_14default_configENS1_35radix_sort_onesweep_config_selectorIjN6thrust23THRUST_200600_302600_NS5tupleIffNS6_9null_typeES8_S8_S8_S8_S8_S8_S8_EEEEZZNS1_29radix_sort_onesweep_iterationIS3_Lb0ENS6_6detail15normal_iteratorINS6_10device_ptrIjEEEESG_NSD_INSE_IS9_EEEESI_jNS0_19identity_decomposerENS1_16block_id_wrapperIjLb0EEEEE10hipError_tT1_PNSt15iterator_traitsISN_E10value_typeET2_T3_PNSO_IST_E10value_typeET4_T5_PSY_SZ_PNS1_23onesweep_lookback_stateEbbT6_jjT7_P12ihipStream_tbENKUlT_T0_SN_SS_E_clISG_PjSI_PS9_EEDaS16_S17_SN_SS_EUlS16_E_NS1_11comp_targetILNS1_3genE5ELNS1_11target_archE942ELNS1_3gpuE9ELNS1_3repE0EEENS1_47radix_sort_onesweep_sort_config_static_selectorELNS0_4arch9wavefront6targetE0EEEvSN_.numbered_sgpr, 0
	.set _ZN7rocprim17ROCPRIM_400000_NS6detail17trampoline_kernelINS0_14default_configENS1_35radix_sort_onesweep_config_selectorIjN6thrust23THRUST_200600_302600_NS5tupleIffNS6_9null_typeES8_S8_S8_S8_S8_S8_S8_EEEEZZNS1_29radix_sort_onesweep_iterationIS3_Lb0ENS6_6detail15normal_iteratorINS6_10device_ptrIjEEEESG_NSD_INSE_IS9_EEEESI_jNS0_19identity_decomposerENS1_16block_id_wrapperIjLb0EEEEE10hipError_tT1_PNSt15iterator_traitsISN_E10value_typeET2_T3_PNSO_IST_E10value_typeET4_T5_PSY_SZ_PNS1_23onesweep_lookback_stateEbbT6_jjT7_P12ihipStream_tbENKUlT_T0_SN_SS_E_clISG_PjSI_PS9_EEDaS16_S17_SN_SS_EUlS16_E_NS1_11comp_targetILNS1_3genE5ELNS1_11target_archE942ELNS1_3gpuE9ELNS1_3repE0EEENS1_47radix_sort_onesweep_sort_config_static_selectorELNS0_4arch9wavefront6targetE0EEEvSN_.num_named_barrier, 0
	.set _ZN7rocprim17ROCPRIM_400000_NS6detail17trampoline_kernelINS0_14default_configENS1_35radix_sort_onesweep_config_selectorIjN6thrust23THRUST_200600_302600_NS5tupleIffNS6_9null_typeES8_S8_S8_S8_S8_S8_S8_EEEEZZNS1_29radix_sort_onesweep_iterationIS3_Lb0ENS6_6detail15normal_iteratorINS6_10device_ptrIjEEEESG_NSD_INSE_IS9_EEEESI_jNS0_19identity_decomposerENS1_16block_id_wrapperIjLb0EEEEE10hipError_tT1_PNSt15iterator_traitsISN_E10value_typeET2_T3_PNSO_IST_E10value_typeET4_T5_PSY_SZ_PNS1_23onesweep_lookback_stateEbbT6_jjT7_P12ihipStream_tbENKUlT_T0_SN_SS_E_clISG_PjSI_PS9_EEDaS16_S17_SN_SS_EUlS16_E_NS1_11comp_targetILNS1_3genE5ELNS1_11target_archE942ELNS1_3gpuE9ELNS1_3repE0EEENS1_47radix_sort_onesweep_sort_config_static_selectorELNS0_4arch9wavefront6targetE0EEEvSN_.private_seg_size, 0
	.set _ZN7rocprim17ROCPRIM_400000_NS6detail17trampoline_kernelINS0_14default_configENS1_35radix_sort_onesweep_config_selectorIjN6thrust23THRUST_200600_302600_NS5tupleIffNS6_9null_typeES8_S8_S8_S8_S8_S8_S8_EEEEZZNS1_29radix_sort_onesweep_iterationIS3_Lb0ENS6_6detail15normal_iteratorINS6_10device_ptrIjEEEESG_NSD_INSE_IS9_EEEESI_jNS0_19identity_decomposerENS1_16block_id_wrapperIjLb0EEEEE10hipError_tT1_PNSt15iterator_traitsISN_E10value_typeET2_T3_PNSO_IST_E10value_typeET4_T5_PSY_SZ_PNS1_23onesweep_lookback_stateEbbT6_jjT7_P12ihipStream_tbENKUlT_T0_SN_SS_E_clISG_PjSI_PS9_EEDaS16_S17_SN_SS_EUlS16_E_NS1_11comp_targetILNS1_3genE5ELNS1_11target_archE942ELNS1_3gpuE9ELNS1_3repE0EEENS1_47radix_sort_onesweep_sort_config_static_selectorELNS0_4arch9wavefront6targetE0EEEvSN_.uses_vcc, 0
	.set _ZN7rocprim17ROCPRIM_400000_NS6detail17trampoline_kernelINS0_14default_configENS1_35radix_sort_onesweep_config_selectorIjN6thrust23THRUST_200600_302600_NS5tupleIffNS6_9null_typeES8_S8_S8_S8_S8_S8_S8_EEEEZZNS1_29radix_sort_onesweep_iterationIS3_Lb0ENS6_6detail15normal_iteratorINS6_10device_ptrIjEEEESG_NSD_INSE_IS9_EEEESI_jNS0_19identity_decomposerENS1_16block_id_wrapperIjLb0EEEEE10hipError_tT1_PNSt15iterator_traitsISN_E10value_typeET2_T3_PNSO_IST_E10value_typeET4_T5_PSY_SZ_PNS1_23onesweep_lookback_stateEbbT6_jjT7_P12ihipStream_tbENKUlT_T0_SN_SS_E_clISG_PjSI_PS9_EEDaS16_S17_SN_SS_EUlS16_E_NS1_11comp_targetILNS1_3genE5ELNS1_11target_archE942ELNS1_3gpuE9ELNS1_3repE0EEENS1_47radix_sort_onesweep_sort_config_static_selectorELNS0_4arch9wavefront6targetE0EEEvSN_.uses_flat_scratch, 0
	.set _ZN7rocprim17ROCPRIM_400000_NS6detail17trampoline_kernelINS0_14default_configENS1_35radix_sort_onesweep_config_selectorIjN6thrust23THRUST_200600_302600_NS5tupleIffNS6_9null_typeES8_S8_S8_S8_S8_S8_S8_EEEEZZNS1_29radix_sort_onesweep_iterationIS3_Lb0ENS6_6detail15normal_iteratorINS6_10device_ptrIjEEEESG_NSD_INSE_IS9_EEEESI_jNS0_19identity_decomposerENS1_16block_id_wrapperIjLb0EEEEE10hipError_tT1_PNSt15iterator_traitsISN_E10value_typeET2_T3_PNSO_IST_E10value_typeET4_T5_PSY_SZ_PNS1_23onesweep_lookback_stateEbbT6_jjT7_P12ihipStream_tbENKUlT_T0_SN_SS_E_clISG_PjSI_PS9_EEDaS16_S17_SN_SS_EUlS16_E_NS1_11comp_targetILNS1_3genE5ELNS1_11target_archE942ELNS1_3gpuE9ELNS1_3repE0EEENS1_47radix_sort_onesweep_sort_config_static_selectorELNS0_4arch9wavefront6targetE0EEEvSN_.has_dyn_sized_stack, 0
	.set _ZN7rocprim17ROCPRIM_400000_NS6detail17trampoline_kernelINS0_14default_configENS1_35radix_sort_onesweep_config_selectorIjN6thrust23THRUST_200600_302600_NS5tupleIffNS6_9null_typeES8_S8_S8_S8_S8_S8_S8_EEEEZZNS1_29radix_sort_onesweep_iterationIS3_Lb0ENS6_6detail15normal_iteratorINS6_10device_ptrIjEEEESG_NSD_INSE_IS9_EEEESI_jNS0_19identity_decomposerENS1_16block_id_wrapperIjLb0EEEEE10hipError_tT1_PNSt15iterator_traitsISN_E10value_typeET2_T3_PNSO_IST_E10value_typeET4_T5_PSY_SZ_PNS1_23onesweep_lookback_stateEbbT6_jjT7_P12ihipStream_tbENKUlT_T0_SN_SS_E_clISG_PjSI_PS9_EEDaS16_S17_SN_SS_EUlS16_E_NS1_11comp_targetILNS1_3genE5ELNS1_11target_archE942ELNS1_3gpuE9ELNS1_3repE0EEENS1_47radix_sort_onesweep_sort_config_static_selectorELNS0_4arch9wavefront6targetE0EEEvSN_.has_recursion, 0
	.set _ZN7rocprim17ROCPRIM_400000_NS6detail17trampoline_kernelINS0_14default_configENS1_35radix_sort_onesweep_config_selectorIjN6thrust23THRUST_200600_302600_NS5tupleIffNS6_9null_typeES8_S8_S8_S8_S8_S8_S8_EEEEZZNS1_29radix_sort_onesweep_iterationIS3_Lb0ENS6_6detail15normal_iteratorINS6_10device_ptrIjEEEESG_NSD_INSE_IS9_EEEESI_jNS0_19identity_decomposerENS1_16block_id_wrapperIjLb0EEEEE10hipError_tT1_PNSt15iterator_traitsISN_E10value_typeET2_T3_PNSO_IST_E10value_typeET4_T5_PSY_SZ_PNS1_23onesweep_lookback_stateEbbT6_jjT7_P12ihipStream_tbENKUlT_T0_SN_SS_E_clISG_PjSI_PS9_EEDaS16_S17_SN_SS_EUlS16_E_NS1_11comp_targetILNS1_3genE5ELNS1_11target_archE942ELNS1_3gpuE9ELNS1_3repE0EEENS1_47radix_sort_onesweep_sort_config_static_selectorELNS0_4arch9wavefront6targetE0EEEvSN_.has_indirect_call, 0
	.section	.AMDGPU.csdata,"",@progbits
; Kernel info:
; codeLenInByte = 0
; TotalNumSgprs: 0
; NumVgprs: 0
; ScratchSize: 0
; MemoryBound: 0
; FloatMode: 240
; IeeeMode: 1
; LDSByteSize: 0 bytes/workgroup (compile time only)
; SGPRBlocks: 0
; VGPRBlocks: 0
; NumSGPRsForWavesPerEU: 1
; NumVGPRsForWavesPerEU: 1
; Occupancy: 16
; WaveLimiterHint : 0
; COMPUTE_PGM_RSRC2:SCRATCH_EN: 0
; COMPUTE_PGM_RSRC2:USER_SGPR: 6
; COMPUTE_PGM_RSRC2:TRAP_HANDLER: 0
; COMPUTE_PGM_RSRC2:TGID_X_EN: 1
; COMPUTE_PGM_RSRC2:TGID_Y_EN: 0
; COMPUTE_PGM_RSRC2:TGID_Z_EN: 0
; COMPUTE_PGM_RSRC2:TIDIG_COMP_CNT: 0
	.section	.text._ZN7rocprim17ROCPRIM_400000_NS6detail17trampoline_kernelINS0_14default_configENS1_35radix_sort_onesweep_config_selectorIjN6thrust23THRUST_200600_302600_NS5tupleIffNS6_9null_typeES8_S8_S8_S8_S8_S8_S8_EEEEZZNS1_29radix_sort_onesweep_iterationIS3_Lb0ENS6_6detail15normal_iteratorINS6_10device_ptrIjEEEESG_NSD_INSE_IS9_EEEESI_jNS0_19identity_decomposerENS1_16block_id_wrapperIjLb0EEEEE10hipError_tT1_PNSt15iterator_traitsISN_E10value_typeET2_T3_PNSO_IST_E10value_typeET4_T5_PSY_SZ_PNS1_23onesweep_lookback_stateEbbT6_jjT7_P12ihipStream_tbENKUlT_T0_SN_SS_E_clISG_PjSI_PS9_EEDaS16_S17_SN_SS_EUlS16_E_NS1_11comp_targetILNS1_3genE2ELNS1_11target_archE906ELNS1_3gpuE6ELNS1_3repE0EEENS1_47radix_sort_onesweep_sort_config_static_selectorELNS0_4arch9wavefront6targetE0EEEvSN_,"axG",@progbits,_ZN7rocprim17ROCPRIM_400000_NS6detail17trampoline_kernelINS0_14default_configENS1_35radix_sort_onesweep_config_selectorIjN6thrust23THRUST_200600_302600_NS5tupleIffNS6_9null_typeES8_S8_S8_S8_S8_S8_S8_EEEEZZNS1_29radix_sort_onesweep_iterationIS3_Lb0ENS6_6detail15normal_iteratorINS6_10device_ptrIjEEEESG_NSD_INSE_IS9_EEEESI_jNS0_19identity_decomposerENS1_16block_id_wrapperIjLb0EEEEE10hipError_tT1_PNSt15iterator_traitsISN_E10value_typeET2_T3_PNSO_IST_E10value_typeET4_T5_PSY_SZ_PNS1_23onesweep_lookback_stateEbbT6_jjT7_P12ihipStream_tbENKUlT_T0_SN_SS_E_clISG_PjSI_PS9_EEDaS16_S17_SN_SS_EUlS16_E_NS1_11comp_targetILNS1_3genE2ELNS1_11target_archE906ELNS1_3gpuE6ELNS1_3repE0EEENS1_47radix_sort_onesweep_sort_config_static_selectorELNS0_4arch9wavefront6targetE0EEEvSN_,comdat
	.protected	_ZN7rocprim17ROCPRIM_400000_NS6detail17trampoline_kernelINS0_14default_configENS1_35radix_sort_onesweep_config_selectorIjN6thrust23THRUST_200600_302600_NS5tupleIffNS6_9null_typeES8_S8_S8_S8_S8_S8_S8_EEEEZZNS1_29radix_sort_onesweep_iterationIS3_Lb0ENS6_6detail15normal_iteratorINS6_10device_ptrIjEEEESG_NSD_INSE_IS9_EEEESI_jNS0_19identity_decomposerENS1_16block_id_wrapperIjLb0EEEEE10hipError_tT1_PNSt15iterator_traitsISN_E10value_typeET2_T3_PNSO_IST_E10value_typeET4_T5_PSY_SZ_PNS1_23onesweep_lookback_stateEbbT6_jjT7_P12ihipStream_tbENKUlT_T0_SN_SS_E_clISG_PjSI_PS9_EEDaS16_S17_SN_SS_EUlS16_E_NS1_11comp_targetILNS1_3genE2ELNS1_11target_archE906ELNS1_3gpuE6ELNS1_3repE0EEENS1_47radix_sort_onesweep_sort_config_static_selectorELNS0_4arch9wavefront6targetE0EEEvSN_ ; -- Begin function _ZN7rocprim17ROCPRIM_400000_NS6detail17trampoline_kernelINS0_14default_configENS1_35radix_sort_onesweep_config_selectorIjN6thrust23THRUST_200600_302600_NS5tupleIffNS6_9null_typeES8_S8_S8_S8_S8_S8_S8_EEEEZZNS1_29radix_sort_onesweep_iterationIS3_Lb0ENS6_6detail15normal_iteratorINS6_10device_ptrIjEEEESG_NSD_INSE_IS9_EEEESI_jNS0_19identity_decomposerENS1_16block_id_wrapperIjLb0EEEEE10hipError_tT1_PNSt15iterator_traitsISN_E10value_typeET2_T3_PNSO_IST_E10value_typeET4_T5_PSY_SZ_PNS1_23onesweep_lookback_stateEbbT6_jjT7_P12ihipStream_tbENKUlT_T0_SN_SS_E_clISG_PjSI_PS9_EEDaS16_S17_SN_SS_EUlS16_E_NS1_11comp_targetILNS1_3genE2ELNS1_11target_archE906ELNS1_3gpuE6ELNS1_3repE0EEENS1_47radix_sort_onesweep_sort_config_static_selectorELNS0_4arch9wavefront6targetE0EEEvSN_
	.globl	_ZN7rocprim17ROCPRIM_400000_NS6detail17trampoline_kernelINS0_14default_configENS1_35radix_sort_onesweep_config_selectorIjN6thrust23THRUST_200600_302600_NS5tupleIffNS6_9null_typeES8_S8_S8_S8_S8_S8_S8_EEEEZZNS1_29radix_sort_onesweep_iterationIS3_Lb0ENS6_6detail15normal_iteratorINS6_10device_ptrIjEEEESG_NSD_INSE_IS9_EEEESI_jNS0_19identity_decomposerENS1_16block_id_wrapperIjLb0EEEEE10hipError_tT1_PNSt15iterator_traitsISN_E10value_typeET2_T3_PNSO_IST_E10value_typeET4_T5_PSY_SZ_PNS1_23onesweep_lookback_stateEbbT6_jjT7_P12ihipStream_tbENKUlT_T0_SN_SS_E_clISG_PjSI_PS9_EEDaS16_S17_SN_SS_EUlS16_E_NS1_11comp_targetILNS1_3genE2ELNS1_11target_archE906ELNS1_3gpuE6ELNS1_3repE0EEENS1_47radix_sort_onesweep_sort_config_static_selectorELNS0_4arch9wavefront6targetE0EEEvSN_
	.p2align	8
	.type	_ZN7rocprim17ROCPRIM_400000_NS6detail17trampoline_kernelINS0_14default_configENS1_35radix_sort_onesweep_config_selectorIjN6thrust23THRUST_200600_302600_NS5tupleIffNS6_9null_typeES8_S8_S8_S8_S8_S8_S8_EEEEZZNS1_29radix_sort_onesweep_iterationIS3_Lb0ENS6_6detail15normal_iteratorINS6_10device_ptrIjEEEESG_NSD_INSE_IS9_EEEESI_jNS0_19identity_decomposerENS1_16block_id_wrapperIjLb0EEEEE10hipError_tT1_PNSt15iterator_traitsISN_E10value_typeET2_T3_PNSO_IST_E10value_typeET4_T5_PSY_SZ_PNS1_23onesweep_lookback_stateEbbT6_jjT7_P12ihipStream_tbENKUlT_T0_SN_SS_E_clISG_PjSI_PS9_EEDaS16_S17_SN_SS_EUlS16_E_NS1_11comp_targetILNS1_3genE2ELNS1_11target_archE906ELNS1_3gpuE6ELNS1_3repE0EEENS1_47radix_sort_onesweep_sort_config_static_selectorELNS0_4arch9wavefront6targetE0EEEvSN_,@function
_ZN7rocprim17ROCPRIM_400000_NS6detail17trampoline_kernelINS0_14default_configENS1_35radix_sort_onesweep_config_selectorIjN6thrust23THRUST_200600_302600_NS5tupleIffNS6_9null_typeES8_S8_S8_S8_S8_S8_S8_EEEEZZNS1_29radix_sort_onesweep_iterationIS3_Lb0ENS6_6detail15normal_iteratorINS6_10device_ptrIjEEEESG_NSD_INSE_IS9_EEEESI_jNS0_19identity_decomposerENS1_16block_id_wrapperIjLb0EEEEE10hipError_tT1_PNSt15iterator_traitsISN_E10value_typeET2_T3_PNSO_IST_E10value_typeET4_T5_PSY_SZ_PNS1_23onesweep_lookback_stateEbbT6_jjT7_P12ihipStream_tbENKUlT_T0_SN_SS_E_clISG_PjSI_PS9_EEDaS16_S17_SN_SS_EUlS16_E_NS1_11comp_targetILNS1_3genE2ELNS1_11target_archE906ELNS1_3gpuE6ELNS1_3repE0EEENS1_47radix_sort_onesweep_sort_config_static_selectorELNS0_4arch9wavefront6targetE0EEEvSN_: ; @_ZN7rocprim17ROCPRIM_400000_NS6detail17trampoline_kernelINS0_14default_configENS1_35radix_sort_onesweep_config_selectorIjN6thrust23THRUST_200600_302600_NS5tupleIffNS6_9null_typeES8_S8_S8_S8_S8_S8_S8_EEEEZZNS1_29radix_sort_onesweep_iterationIS3_Lb0ENS6_6detail15normal_iteratorINS6_10device_ptrIjEEEESG_NSD_INSE_IS9_EEEESI_jNS0_19identity_decomposerENS1_16block_id_wrapperIjLb0EEEEE10hipError_tT1_PNSt15iterator_traitsISN_E10value_typeET2_T3_PNSO_IST_E10value_typeET4_T5_PSY_SZ_PNS1_23onesweep_lookback_stateEbbT6_jjT7_P12ihipStream_tbENKUlT_T0_SN_SS_E_clISG_PjSI_PS9_EEDaS16_S17_SN_SS_EUlS16_E_NS1_11comp_targetILNS1_3genE2ELNS1_11target_archE906ELNS1_3gpuE6ELNS1_3repE0EEENS1_47radix_sort_onesweep_sort_config_static_selectorELNS0_4arch9wavefront6targetE0EEEvSN_
; %bb.0:
	.section	.rodata,"a",@progbits
	.p2align	6, 0x0
	.amdhsa_kernel _ZN7rocprim17ROCPRIM_400000_NS6detail17trampoline_kernelINS0_14default_configENS1_35radix_sort_onesweep_config_selectorIjN6thrust23THRUST_200600_302600_NS5tupleIffNS6_9null_typeES8_S8_S8_S8_S8_S8_S8_EEEEZZNS1_29radix_sort_onesweep_iterationIS3_Lb0ENS6_6detail15normal_iteratorINS6_10device_ptrIjEEEESG_NSD_INSE_IS9_EEEESI_jNS0_19identity_decomposerENS1_16block_id_wrapperIjLb0EEEEE10hipError_tT1_PNSt15iterator_traitsISN_E10value_typeET2_T3_PNSO_IST_E10value_typeET4_T5_PSY_SZ_PNS1_23onesweep_lookback_stateEbbT6_jjT7_P12ihipStream_tbENKUlT_T0_SN_SS_E_clISG_PjSI_PS9_EEDaS16_S17_SN_SS_EUlS16_E_NS1_11comp_targetILNS1_3genE2ELNS1_11target_archE906ELNS1_3gpuE6ELNS1_3repE0EEENS1_47radix_sort_onesweep_sort_config_static_selectorELNS0_4arch9wavefront6targetE0EEEvSN_
		.amdhsa_group_segment_fixed_size 0
		.amdhsa_private_segment_fixed_size 0
		.amdhsa_kernarg_size 88
		.amdhsa_user_sgpr_count 6
		.amdhsa_user_sgpr_private_segment_buffer 1
		.amdhsa_user_sgpr_dispatch_ptr 0
		.amdhsa_user_sgpr_queue_ptr 0
		.amdhsa_user_sgpr_kernarg_segment_ptr 1
		.amdhsa_user_sgpr_dispatch_id 0
		.amdhsa_user_sgpr_flat_scratch_init 0
		.amdhsa_user_sgpr_private_segment_size 0
		.amdhsa_wavefront_size32 1
		.amdhsa_uses_dynamic_stack 0
		.amdhsa_system_sgpr_private_segment_wavefront_offset 0
		.amdhsa_system_sgpr_workgroup_id_x 1
		.amdhsa_system_sgpr_workgroup_id_y 0
		.amdhsa_system_sgpr_workgroup_id_z 0
		.amdhsa_system_sgpr_workgroup_info 0
		.amdhsa_system_vgpr_workitem_id 0
		.amdhsa_next_free_vgpr 1
		.amdhsa_next_free_sgpr 1
		.amdhsa_reserve_vcc 0
		.amdhsa_reserve_flat_scratch 0
		.amdhsa_float_round_mode_32 0
		.amdhsa_float_round_mode_16_64 0
		.amdhsa_float_denorm_mode_32 3
		.amdhsa_float_denorm_mode_16_64 3
		.amdhsa_dx10_clamp 1
		.amdhsa_ieee_mode 1
		.amdhsa_fp16_overflow 0
		.amdhsa_workgroup_processor_mode 1
		.amdhsa_memory_ordered 1
		.amdhsa_forward_progress 1
		.amdhsa_shared_vgpr_count 0
		.amdhsa_exception_fp_ieee_invalid_op 0
		.amdhsa_exception_fp_denorm_src 0
		.amdhsa_exception_fp_ieee_div_zero 0
		.amdhsa_exception_fp_ieee_overflow 0
		.amdhsa_exception_fp_ieee_underflow 0
		.amdhsa_exception_fp_ieee_inexact 0
		.amdhsa_exception_int_div_zero 0
	.end_amdhsa_kernel
	.section	.text._ZN7rocprim17ROCPRIM_400000_NS6detail17trampoline_kernelINS0_14default_configENS1_35radix_sort_onesweep_config_selectorIjN6thrust23THRUST_200600_302600_NS5tupleIffNS6_9null_typeES8_S8_S8_S8_S8_S8_S8_EEEEZZNS1_29radix_sort_onesweep_iterationIS3_Lb0ENS6_6detail15normal_iteratorINS6_10device_ptrIjEEEESG_NSD_INSE_IS9_EEEESI_jNS0_19identity_decomposerENS1_16block_id_wrapperIjLb0EEEEE10hipError_tT1_PNSt15iterator_traitsISN_E10value_typeET2_T3_PNSO_IST_E10value_typeET4_T5_PSY_SZ_PNS1_23onesweep_lookback_stateEbbT6_jjT7_P12ihipStream_tbENKUlT_T0_SN_SS_E_clISG_PjSI_PS9_EEDaS16_S17_SN_SS_EUlS16_E_NS1_11comp_targetILNS1_3genE2ELNS1_11target_archE906ELNS1_3gpuE6ELNS1_3repE0EEENS1_47radix_sort_onesweep_sort_config_static_selectorELNS0_4arch9wavefront6targetE0EEEvSN_,"axG",@progbits,_ZN7rocprim17ROCPRIM_400000_NS6detail17trampoline_kernelINS0_14default_configENS1_35radix_sort_onesweep_config_selectorIjN6thrust23THRUST_200600_302600_NS5tupleIffNS6_9null_typeES8_S8_S8_S8_S8_S8_S8_EEEEZZNS1_29radix_sort_onesweep_iterationIS3_Lb0ENS6_6detail15normal_iteratorINS6_10device_ptrIjEEEESG_NSD_INSE_IS9_EEEESI_jNS0_19identity_decomposerENS1_16block_id_wrapperIjLb0EEEEE10hipError_tT1_PNSt15iterator_traitsISN_E10value_typeET2_T3_PNSO_IST_E10value_typeET4_T5_PSY_SZ_PNS1_23onesweep_lookback_stateEbbT6_jjT7_P12ihipStream_tbENKUlT_T0_SN_SS_E_clISG_PjSI_PS9_EEDaS16_S17_SN_SS_EUlS16_E_NS1_11comp_targetILNS1_3genE2ELNS1_11target_archE906ELNS1_3gpuE6ELNS1_3repE0EEENS1_47radix_sort_onesweep_sort_config_static_selectorELNS0_4arch9wavefront6targetE0EEEvSN_,comdat
.Lfunc_end214:
	.size	_ZN7rocprim17ROCPRIM_400000_NS6detail17trampoline_kernelINS0_14default_configENS1_35radix_sort_onesweep_config_selectorIjN6thrust23THRUST_200600_302600_NS5tupleIffNS6_9null_typeES8_S8_S8_S8_S8_S8_S8_EEEEZZNS1_29radix_sort_onesweep_iterationIS3_Lb0ENS6_6detail15normal_iteratorINS6_10device_ptrIjEEEESG_NSD_INSE_IS9_EEEESI_jNS0_19identity_decomposerENS1_16block_id_wrapperIjLb0EEEEE10hipError_tT1_PNSt15iterator_traitsISN_E10value_typeET2_T3_PNSO_IST_E10value_typeET4_T5_PSY_SZ_PNS1_23onesweep_lookback_stateEbbT6_jjT7_P12ihipStream_tbENKUlT_T0_SN_SS_E_clISG_PjSI_PS9_EEDaS16_S17_SN_SS_EUlS16_E_NS1_11comp_targetILNS1_3genE2ELNS1_11target_archE906ELNS1_3gpuE6ELNS1_3repE0EEENS1_47radix_sort_onesweep_sort_config_static_selectorELNS0_4arch9wavefront6targetE0EEEvSN_, .Lfunc_end214-_ZN7rocprim17ROCPRIM_400000_NS6detail17trampoline_kernelINS0_14default_configENS1_35radix_sort_onesweep_config_selectorIjN6thrust23THRUST_200600_302600_NS5tupleIffNS6_9null_typeES8_S8_S8_S8_S8_S8_S8_EEEEZZNS1_29radix_sort_onesweep_iterationIS3_Lb0ENS6_6detail15normal_iteratorINS6_10device_ptrIjEEEESG_NSD_INSE_IS9_EEEESI_jNS0_19identity_decomposerENS1_16block_id_wrapperIjLb0EEEEE10hipError_tT1_PNSt15iterator_traitsISN_E10value_typeET2_T3_PNSO_IST_E10value_typeET4_T5_PSY_SZ_PNS1_23onesweep_lookback_stateEbbT6_jjT7_P12ihipStream_tbENKUlT_T0_SN_SS_E_clISG_PjSI_PS9_EEDaS16_S17_SN_SS_EUlS16_E_NS1_11comp_targetILNS1_3genE2ELNS1_11target_archE906ELNS1_3gpuE6ELNS1_3repE0EEENS1_47radix_sort_onesweep_sort_config_static_selectorELNS0_4arch9wavefront6targetE0EEEvSN_
                                        ; -- End function
	.set _ZN7rocprim17ROCPRIM_400000_NS6detail17trampoline_kernelINS0_14default_configENS1_35radix_sort_onesweep_config_selectorIjN6thrust23THRUST_200600_302600_NS5tupleIffNS6_9null_typeES8_S8_S8_S8_S8_S8_S8_EEEEZZNS1_29radix_sort_onesweep_iterationIS3_Lb0ENS6_6detail15normal_iteratorINS6_10device_ptrIjEEEESG_NSD_INSE_IS9_EEEESI_jNS0_19identity_decomposerENS1_16block_id_wrapperIjLb0EEEEE10hipError_tT1_PNSt15iterator_traitsISN_E10value_typeET2_T3_PNSO_IST_E10value_typeET4_T5_PSY_SZ_PNS1_23onesweep_lookback_stateEbbT6_jjT7_P12ihipStream_tbENKUlT_T0_SN_SS_E_clISG_PjSI_PS9_EEDaS16_S17_SN_SS_EUlS16_E_NS1_11comp_targetILNS1_3genE2ELNS1_11target_archE906ELNS1_3gpuE6ELNS1_3repE0EEENS1_47radix_sort_onesweep_sort_config_static_selectorELNS0_4arch9wavefront6targetE0EEEvSN_.num_vgpr, 0
	.set _ZN7rocprim17ROCPRIM_400000_NS6detail17trampoline_kernelINS0_14default_configENS1_35radix_sort_onesweep_config_selectorIjN6thrust23THRUST_200600_302600_NS5tupleIffNS6_9null_typeES8_S8_S8_S8_S8_S8_S8_EEEEZZNS1_29radix_sort_onesweep_iterationIS3_Lb0ENS6_6detail15normal_iteratorINS6_10device_ptrIjEEEESG_NSD_INSE_IS9_EEEESI_jNS0_19identity_decomposerENS1_16block_id_wrapperIjLb0EEEEE10hipError_tT1_PNSt15iterator_traitsISN_E10value_typeET2_T3_PNSO_IST_E10value_typeET4_T5_PSY_SZ_PNS1_23onesweep_lookback_stateEbbT6_jjT7_P12ihipStream_tbENKUlT_T0_SN_SS_E_clISG_PjSI_PS9_EEDaS16_S17_SN_SS_EUlS16_E_NS1_11comp_targetILNS1_3genE2ELNS1_11target_archE906ELNS1_3gpuE6ELNS1_3repE0EEENS1_47radix_sort_onesweep_sort_config_static_selectorELNS0_4arch9wavefront6targetE0EEEvSN_.num_agpr, 0
	.set _ZN7rocprim17ROCPRIM_400000_NS6detail17trampoline_kernelINS0_14default_configENS1_35radix_sort_onesweep_config_selectorIjN6thrust23THRUST_200600_302600_NS5tupleIffNS6_9null_typeES8_S8_S8_S8_S8_S8_S8_EEEEZZNS1_29radix_sort_onesweep_iterationIS3_Lb0ENS6_6detail15normal_iteratorINS6_10device_ptrIjEEEESG_NSD_INSE_IS9_EEEESI_jNS0_19identity_decomposerENS1_16block_id_wrapperIjLb0EEEEE10hipError_tT1_PNSt15iterator_traitsISN_E10value_typeET2_T3_PNSO_IST_E10value_typeET4_T5_PSY_SZ_PNS1_23onesweep_lookback_stateEbbT6_jjT7_P12ihipStream_tbENKUlT_T0_SN_SS_E_clISG_PjSI_PS9_EEDaS16_S17_SN_SS_EUlS16_E_NS1_11comp_targetILNS1_3genE2ELNS1_11target_archE906ELNS1_3gpuE6ELNS1_3repE0EEENS1_47radix_sort_onesweep_sort_config_static_selectorELNS0_4arch9wavefront6targetE0EEEvSN_.numbered_sgpr, 0
	.set _ZN7rocprim17ROCPRIM_400000_NS6detail17trampoline_kernelINS0_14default_configENS1_35radix_sort_onesweep_config_selectorIjN6thrust23THRUST_200600_302600_NS5tupleIffNS6_9null_typeES8_S8_S8_S8_S8_S8_S8_EEEEZZNS1_29radix_sort_onesweep_iterationIS3_Lb0ENS6_6detail15normal_iteratorINS6_10device_ptrIjEEEESG_NSD_INSE_IS9_EEEESI_jNS0_19identity_decomposerENS1_16block_id_wrapperIjLb0EEEEE10hipError_tT1_PNSt15iterator_traitsISN_E10value_typeET2_T3_PNSO_IST_E10value_typeET4_T5_PSY_SZ_PNS1_23onesweep_lookback_stateEbbT6_jjT7_P12ihipStream_tbENKUlT_T0_SN_SS_E_clISG_PjSI_PS9_EEDaS16_S17_SN_SS_EUlS16_E_NS1_11comp_targetILNS1_3genE2ELNS1_11target_archE906ELNS1_3gpuE6ELNS1_3repE0EEENS1_47radix_sort_onesweep_sort_config_static_selectorELNS0_4arch9wavefront6targetE0EEEvSN_.num_named_barrier, 0
	.set _ZN7rocprim17ROCPRIM_400000_NS6detail17trampoline_kernelINS0_14default_configENS1_35radix_sort_onesweep_config_selectorIjN6thrust23THRUST_200600_302600_NS5tupleIffNS6_9null_typeES8_S8_S8_S8_S8_S8_S8_EEEEZZNS1_29radix_sort_onesweep_iterationIS3_Lb0ENS6_6detail15normal_iteratorINS6_10device_ptrIjEEEESG_NSD_INSE_IS9_EEEESI_jNS0_19identity_decomposerENS1_16block_id_wrapperIjLb0EEEEE10hipError_tT1_PNSt15iterator_traitsISN_E10value_typeET2_T3_PNSO_IST_E10value_typeET4_T5_PSY_SZ_PNS1_23onesweep_lookback_stateEbbT6_jjT7_P12ihipStream_tbENKUlT_T0_SN_SS_E_clISG_PjSI_PS9_EEDaS16_S17_SN_SS_EUlS16_E_NS1_11comp_targetILNS1_3genE2ELNS1_11target_archE906ELNS1_3gpuE6ELNS1_3repE0EEENS1_47radix_sort_onesweep_sort_config_static_selectorELNS0_4arch9wavefront6targetE0EEEvSN_.private_seg_size, 0
	.set _ZN7rocprim17ROCPRIM_400000_NS6detail17trampoline_kernelINS0_14default_configENS1_35radix_sort_onesweep_config_selectorIjN6thrust23THRUST_200600_302600_NS5tupleIffNS6_9null_typeES8_S8_S8_S8_S8_S8_S8_EEEEZZNS1_29radix_sort_onesweep_iterationIS3_Lb0ENS6_6detail15normal_iteratorINS6_10device_ptrIjEEEESG_NSD_INSE_IS9_EEEESI_jNS0_19identity_decomposerENS1_16block_id_wrapperIjLb0EEEEE10hipError_tT1_PNSt15iterator_traitsISN_E10value_typeET2_T3_PNSO_IST_E10value_typeET4_T5_PSY_SZ_PNS1_23onesweep_lookback_stateEbbT6_jjT7_P12ihipStream_tbENKUlT_T0_SN_SS_E_clISG_PjSI_PS9_EEDaS16_S17_SN_SS_EUlS16_E_NS1_11comp_targetILNS1_3genE2ELNS1_11target_archE906ELNS1_3gpuE6ELNS1_3repE0EEENS1_47radix_sort_onesweep_sort_config_static_selectorELNS0_4arch9wavefront6targetE0EEEvSN_.uses_vcc, 0
	.set _ZN7rocprim17ROCPRIM_400000_NS6detail17trampoline_kernelINS0_14default_configENS1_35radix_sort_onesweep_config_selectorIjN6thrust23THRUST_200600_302600_NS5tupleIffNS6_9null_typeES8_S8_S8_S8_S8_S8_S8_EEEEZZNS1_29radix_sort_onesweep_iterationIS3_Lb0ENS6_6detail15normal_iteratorINS6_10device_ptrIjEEEESG_NSD_INSE_IS9_EEEESI_jNS0_19identity_decomposerENS1_16block_id_wrapperIjLb0EEEEE10hipError_tT1_PNSt15iterator_traitsISN_E10value_typeET2_T3_PNSO_IST_E10value_typeET4_T5_PSY_SZ_PNS1_23onesweep_lookback_stateEbbT6_jjT7_P12ihipStream_tbENKUlT_T0_SN_SS_E_clISG_PjSI_PS9_EEDaS16_S17_SN_SS_EUlS16_E_NS1_11comp_targetILNS1_3genE2ELNS1_11target_archE906ELNS1_3gpuE6ELNS1_3repE0EEENS1_47radix_sort_onesweep_sort_config_static_selectorELNS0_4arch9wavefront6targetE0EEEvSN_.uses_flat_scratch, 0
	.set _ZN7rocprim17ROCPRIM_400000_NS6detail17trampoline_kernelINS0_14default_configENS1_35radix_sort_onesweep_config_selectorIjN6thrust23THRUST_200600_302600_NS5tupleIffNS6_9null_typeES8_S8_S8_S8_S8_S8_S8_EEEEZZNS1_29radix_sort_onesweep_iterationIS3_Lb0ENS6_6detail15normal_iteratorINS6_10device_ptrIjEEEESG_NSD_INSE_IS9_EEEESI_jNS0_19identity_decomposerENS1_16block_id_wrapperIjLb0EEEEE10hipError_tT1_PNSt15iterator_traitsISN_E10value_typeET2_T3_PNSO_IST_E10value_typeET4_T5_PSY_SZ_PNS1_23onesweep_lookback_stateEbbT6_jjT7_P12ihipStream_tbENKUlT_T0_SN_SS_E_clISG_PjSI_PS9_EEDaS16_S17_SN_SS_EUlS16_E_NS1_11comp_targetILNS1_3genE2ELNS1_11target_archE906ELNS1_3gpuE6ELNS1_3repE0EEENS1_47radix_sort_onesweep_sort_config_static_selectorELNS0_4arch9wavefront6targetE0EEEvSN_.has_dyn_sized_stack, 0
	.set _ZN7rocprim17ROCPRIM_400000_NS6detail17trampoline_kernelINS0_14default_configENS1_35radix_sort_onesweep_config_selectorIjN6thrust23THRUST_200600_302600_NS5tupleIffNS6_9null_typeES8_S8_S8_S8_S8_S8_S8_EEEEZZNS1_29radix_sort_onesweep_iterationIS3_Lb0ENS6_6detail15normal_iteratorINS6_10device_ptrIjEEEESG_NSD_INSE_IS9_EEEESI_jNS0_19identity_decomposerENS1_16block_id_wrapperIjLb0EEEEE10hipError_tT1_PNSt15iterator_traitsISN_E10value_typeET2_T3_PNSO_IST_E10value_typeET4_T5_PSY_SZ_PNS1_23onesweep_lookback_stateEbbT6_jjT7_P12ihipStream_tbENKUlT_T0_SN_SS_E_clISG_PjSI_PS9_EEDaS16_S17_SN_SS_EUlS16_E_NS1_11comp_targetILNS1_3genE2ELNS1_11target_archE906ELNS1_3gpuE6ELNS1_3repE0EEENS1_47radix_sort_onesweep_sort_config_static_selectorELNS0_4arch9wavefront6targetE0EEEvSN_.has_recursion, 0
	.set _ZN7rocprim17ROCPRIM_400000_NS6detail17trampoline_kernelINS0_14default_configENS1_35radix_sort_onesweep_config_selectorIjN6thrust23THRUST_200600_302600_NS5tupleIffNS6_9null_typeES8_S8_S8_S8_S8_S8_S8_EEEEZZNS1_29radix_sort_onesweep_iterationIS3_Lb0ENS6_6detail15normal_iteratorINS6_10device_ptrIjEEEESG_NSD_INSE_IS9_EEEESI_jNS0_19identity_decomposerENS1_16block_id_wrapperIjLb0EEEEE10hipError_tT1_PNSt15iterator_traitsISN_E10value_typeET2_T3_PNSO_IST_E10value_typeET4_T5_PSY_SZ_PNS1_23onesweep_lookback_stateEbbT6_jjT7_P12ihipStream_tbENKUlT_T0_SN_SS_E_clISG_PjSI_PS9_EEDaS16_S17_SN_SS_EUlS16_E_NS1_11comp_targetILNS1_3genE2ELNS1_11target_archE906ELNS1_3gpuE6ELNS1_3repE0EEENS1_47radix_sort_onesweep_sort_config_static_selectorELNS0_4arch9wavefront6targetE0EEEvSN_.has_indirect_call, 0
	.section	.AMDGPU.csdata,"",@progbits
; Kernel info:
; codeLenInByte = 0
; TotalNumSgprs: 0
; NumVgprs: 0
; ScratchSize: 0
; MemoryBound: 0
; FloatMode: 240
; IeeeMode: 1
; LDSByteSize: 0 bytes/workgroup (compile time only)
; SGPRBlocks: 0
; VGPRBlocks: 0
; NumSGPRsForWavesPerEU: 1
; NumVGPRsForWavesPerEU: 1
; Occupancy: 16
; WaveLimiterHint : 0
; COMPUTE_PGM_RSRC2:SCRATCH_EN: 0
; COMPUTE_PGM_RSRC2:USER_SGPR: 6
; COMPUTE_PGM_RSRC2:TRAP_HANDLER: 0
; COMPUTE_PGM_RSRC2:TGID_X_EN: 1
; COMPUTE_PGM_RSRC2:TGID_Y_EN: 0
; COMPUTE_PGM_RSRC2:TGID_Z_EN: 0
; COMPUTE_PGM_RSRC2:TIDIG_COMP_CNT: 0
	.section	.text._ZN7rocprim17ROCPRIM_400000_NS6detail17trampoline_kernelINS0_14default_configENS1_35radix_sort_onesweep_config_selectorIjN6thrust23THRUST_200600_302600_NS5tupleIffNS6_9null_typeES8_S8_S8_S8_S8_S8_S8_EEEEZZNS1_29radix_sort_onesweep_iterationIS3_Lb0ENS6_6detail15normal_iteratorINS6_10device_ptrIjEEEESG_NSD_INSE_IS9_EEEESI_jNS0_19identity_decomposerENS1_16block_id_wrapperIjLb0EEEEE10hipError_tT1_PNSt15iterator_traitsISN_E10value_typeET2_T3_PNSO_IST_E10value_typeET4_T5_PSY_SZ_PNS1_23onesweep_lookback_stateEbbT6_jjT7_P12ihipStream_tbENKUlT_T0_SN_SS_E_clISG_PjSI_PS9_EEDaS16_S17_SN_SS_EUlS16_E_NS1_11comp_targetILNS1_3genE4ELNS1_11target_archE910ELNS1_3gpuE8ELNS1_3repE0EEENS1_47radix_sort_onesweep_sort_config_static_selectorELNS0_4arch9wavefront6targetE0EEEvSN_,"axG",@progbits,_ZN7rocprim17ROCPRIM_400000_NS6detail17trampoline_kernelINS0_14default_configENS1_35radix_sort_onesweep_config_selectorIjN6thrust23THRUST_200600_302600_NS5tupleIffNS6_9null_typeES8_S8_S8_S8_S8_S8_S8_EEEEZZNS1_29radix_sort_onesweep_iterationIS3_Lb0ENS6_6detail15normal_iteratorINS6_10device_ptrIjEEEESG_NSD_INSE_IS9_EEEESI_jNS0_19identity_decomposerENS1_16block_id_wrapperIjLb0EEEEE10hipError_tT1_PNSt15iterator_traitsISN_E10value_typeET2_T3_PNSO_IST_E10value_typeET4_T5_PSY_SZ_PNS1_23onesweep_lookback_stateEbbT6_jjT7_P12ihipStream_tbENKUlT_T0_SN_SS_E_clISG_PjSI_PS9_EEDaS16_S17_SN_SS_EUlS16_E_NS1_11comp_targetILNS1_3genE4ELNS1_11target_archE910ELNS1_3gpuE8ELNS1_3repE0EEENS1_47radix_sort_onesweep_sort_config_static_selectorELNS0_4arch9wavefront6targetE0EEEvSN_,comdat
	.protected	_ZN7rocprim17ROCPRIM_400000_NS6detail17trampoline_kernelINS0_14default_configENS1_35radix_sort_onesweep_config_selectorIjN6thrust23THRUST_200600_302600_NS5tupleIffNS6_9null_typeES8_S8_S8_S8_S8_S8_S8_EEEEZZNS1_29radix_sort_onesweep_iterationIS3_Lb0ENS6_6detail15normal_iteratorINS6_10device_ptrIjEEEESG_NSD_INSE_IS9_EEEESI_jNS0_19identity_decomposerENS1_16block_id_wrapperIjLb0EEEEE10hipError_tT1_PNSt15iterator_traitsISN_E10value_typeET2_T3_PNSO_IST_E10value_typeET4_T5_PSY_SZ_PNS1_23onesweep_lookback_stateEbbT6_jjT7_P12ihipStream_tbENKUlT_T0_SN_SS_E_clISG_PjSI_PS9_EEDaS16_S17_SN_SS_EUlS16_E_NS1_11comp_targetILNS1_3genE4ELNS1_11target_archE910ELNS1_3gpuE8ELNS1_3repE0EEENS1_47radix_sort_onesweep_sort_config_static_selectorELNS0_4arch9wavefront6targetE0EEEvSN_ ; -- Begin function _ZN7rocprim17ROCPRIM_400000_NS6detail17trampoline_kernelINS0_14default_configENS1_35radix_sort_onesweep_config_selectorIjN6thrust23THRUST_200600_302600_NS5tupleIffNS6_9null_typeES8_S8_S8_S8_S8_S8_S8_EEEEZZNS1_29radix_sort_onesweep_iterationIS3_Lb0ENS6_6detail15normal_iteratorINS6_10device_ptrIjEEEESG_NSD_INSE_IS9_EEEESI_jNS0_19identity_decomposerENS1_16block_id_wrapperIjLb0EEEEE10hipError_tT1_PNSt15iterator_traitsISN_E10value_typeET2_T3_PNSO_IST_E10value_typeET4_T5_PSY_SZ_PNS1_23onesweep_lookback_stateEbbT6_jjT7_P12ihipStream_tbENKUlT_T0_SN_SS_E_clISG_PjSI_PS9_EEDaS16_S17_SN_SS_EUlS16_E_NS1_11comp_targetILNS1_3genE4ELNS1_11target_archE910ELNS1_3gpuE8ELNS1_3repE0EEENS1_47radix_sort_onesweep_sort_config_static_selectorELNS0_4arch9wavefront6targetE0EEEvSN_
	.globl	_ZN7rocprim17ROCPRIM_400000_NS6detail17trampoline_kernelINS0_14default_configENS1_35radix_sort_onesweep_config_selectorIjN6thrust23THRUST_200600_302600_NS5tupleIffNS6_9null_typeES8_S8_S8_S8_S8_S8_S8_EEEEZZNS1_29radix_sort_onesweep_iterationIS3_Lb0ENS6_6detail15normal_iteratorINS6_10device_ptrIjEEEESG_NSD_INSE_IS9_EEEESI_jNS0_19identity_decomposerENS1_16block_id_wrapperIjLb0EEEEE10hipError_tT1_PNSt15iterator_traitsISN_E10value_typeET2_T3_PNSO_IST_E10value_typeET4_T5_PSY_SZ_PNS1_23onesweep_lookback_stateEbbT6_jjT7_P12ihipStream_tbENKUlT_T0_SN_SS_E_clISG_PjSI_PS9_EEDaS16_S17_SN_SS_EUlS16_E_NS1_11comp_targetILNS1_3genE4ELNS1_11target_archE910ELNS1_3gpuE8ELNS1_3repE0EEENS1_47radix_sort_onesweep_sort_config_static_selectorELNS0_4arch9wavefront6targetE0EEEvSN_
	.p2align	8
	.type	_ZN7rocprim17ROCPRIM_400000_NS6detail17trampoline_kernelINS0_14default_configENS1_35radix_sort_onesweep_config_selectorIjN6thrust23THRUST_200600_302600_NS5tupleIffNS6_9null_typeES8_S8_S8_S8_S8_S8_S8_EEEEZZNS1_29radix_sort_onesweep_iterationIS3_Lb0ENS6_6detail15normal_iteratorINS6_10device_ptrIjEEEESG_NSD_INSE_IS9_EEEESI_jNS0_19identity_decomposerENS1_16block_id_wrapperIjLb0EEEEE10hipError_tT1_PNSt15iterator_traitsISN_E10value_typeET2_T3_PNSO_IST_E10value_typeET4_T5_PSY_SZ_PNS1_23onesweep_lookback_stateEbbT6_jjT7_P12ihipStream_tbENKUlT_T0_SN_SS_E_clISG_PjSI_PS9_EEDaS16_S17_SN_SS_EUlS16_E_NS1_11comp_targetILNS1_3genE4ELNS1_11target_archE910ELNS1_3gpuE8ELNS1_3repE0EEENS1_47radix_sort_onesweep_sort_config_static_selectorELNS0_4arch9wavefront6targetE0EEEvSN_,@function
_ZN7rocprim17ROCPRIM_400000_NS6detail17trampoline_kernelINS0_14default_configENS1_35radix_sort_onesweep_config_selectorIjN6thrust23THRUST_200600_302600_NS5tupleIffNS6_9null_typeES8_S8_S8_S8_S8_S8_S8_EEEEZZNS1_29radix_sort_onesweep_iterationIS3_Lb0ENS6_6detail15normal_iteratorINS6_10device_ptrIjEEEESG_NSD_INSE_IS9_EEEESI_jNS0_19identity_decomposerENS1_16block_id_wrapperIjLb0EEEEE10hipError_tT1_PNSt15iterator_traitsISN_E10value_typeET2_T3_PNSO_IST_E10value_typeET4_T5_PSY_SZ_PNS1_23onesweep_lookback_stateEbbT6_jjT7_P12ihipStream_tbENKUlT_T0_SN_SS_E_clISG_PjSI_PS9_EEDaS16_S17_SN_SS_EUlS16_E_NS1_11comp_targetILNS1_3genE4ELNS1_11target_archE910ELNS1_3gpuE8ELNS1_3repE0EEENS1_47radix_sort_onesweep_sort_config_static_selectorELNS0_4arch9wavefront6targetE0EEEvSN_: ; @_ZN7rocprim17ROCPRIM_400000_NS6detail17trampoline_kernelINS0_14default_configENS1_35radix_sort_onesweep_config_selectorIjN6thrust23THRUST_200600_302600_NS5tupleIffNS6_9null_typeES8_S8_S8_S8_S8_S8_S8_EEEEZZNS1_29radix_sort_onesweep_iterationIS3_Lb0ENS6_6detail15normal_iteratorINS6_10device_ptrIjEEEESG_NSD_INSE_IS9_EEEESI_jNS0_19identity_decomposerENS1_16block_id_wrapperIjLb0EEEEE10hipError_tT1_PNSt15iterator_traitsISN_E10value_typeET2_T3_PNSO_IST_E10value_typeET4_T5_PSY_SZ_PNS1_23onesweep_lookback_stateEbbT6_jjT7_P12ihipStream_tbENKUlT_T0_SN_SS_E_clISG_PjSI_PS9_EEDaS16_S17_SN_SS_EUlS16_E_NS1_11comp_targetILNS1_3genE4ELNS1_11target_archE910ELNS1_3gpuE8ELNS1_3repE0EEENS1_47radix_sort_onesweep_sort_config_static_selectorELNS0_4arch9wavefront6targetE0EEEvSN_
; %bb.0:
	.section	.rodata,"a",@progbits
	.p2align	6, 0x0
	.amdhsa_kernel _ZN7rocprim17ROCPRIM_400000_NS6detail17trampoline_kernelINS0_14default_configENS1_35radix_sort_onesweep_config_selectorIjN6thrust23THRUST_200600_302600_NS5tupleIffNS6_9null_typeES8_S8_S8_S8_S8_S8_S8_EEEEZZNS1_29radix_sort_onesweep_iterationIS3_Lb0ENS6_6detail15normal_iteratorINS6_10device_ptrIjEEEESG_NSD_INSE_IS9_EEEESI_jNS0_19identity_decomposerENS1_16block_id_wrapperIjLb0EEEEE10hipError_tT1_PNSt15iterator_traitsISN_E10value_typeET2_T3_PNSO_IST_E10value_typeET4_T5_PSY_SZ_PNS1_23onesweep_lookback_stateEbbT6_jjT7_P12ihipStream_tbENKUlT_T0_SN_SS_E_clISG_PjSI_PS9_EEDaS16_S17_SN_SS_EUlS16_E_NS1_11comp_targetILNS1_3genE4ELNS1_11target_archE910ELNS1_3gpuE8ELNS1_3repE0EEENS1_47radix_sort_onesweep_sort_config_static_selectorELNS0_4arch9wavefront6targetE0EEEvSN_
		.amdhsa_group_segment_fixed_size 0
		.amdhsa_private_segment_fixed_size 0
		.amdhsa_kernarg_size 88
		.amdhsa_user_sgpr_count 6
		.amdhsa_user_sgpr_private_segment_buffer 1
		.amdhsa_user_sgpr_dispatch_ptr 0
		.amdhsa_user_sgpr_queue_ptr 0
		.amdhsa_user_sgpr_kernarg_segment_ptr 1
		.amdhsa_user_sgpr_dispatch_id 0
		.amdhsa_user_sgpr_flat_scratch_init 0
		.amdhsa_user_sgpr_private_segment_size 0
		.amdhsa_wavefront_size32 1
		.amdhsa_uses_dynamic_stack 0
		.amdhsa_system_sgpr_private_segment_wavefront_offset 0
		.amdhsa_system_sgpr_workgroup_id_x 1
		.amdhsa_system_sgpr_workgroup_id_y 0
		.amdhsa_system_sgpr_workgroup_id_z 0
		.amdhsa_system_sgpr_workgroup_info 0
		.amdhsa_system_vgpr_workitem_id 0
		.amdhsa_next_free_vgpr 1
		.amdhsa_next_free_sgpr 1
		.amdhsa_reserve_vcc 0
		.amdhsa_reserve_flat_scratch 0
		.amdhsa_float_round_mode_32 0
		.amdhsa_float_round_mode_16_64 0
		.amdhsa_float_denorm_mode_32 3
		.amdhsa_float_denorm_mode_16_64 3
		.amdhsa_dx10_clamp 1
		.amdhsa_ieee_mode 1
		.amdhsa_fp16_overflow 0
		.amdhsa_workgroup_processor_mode 1
		.amdhsa_memory_ordered 1
		.amdhsa_forward_progress 1
		.amdhsa_shared_vgpr_count 0
		.amdhsa_exception_fp_ieee_invalid_op 0
		.amdhsa_exception_fp_denorm_src 0
		.amdhsa_exception_fp_ieee_div_zero 0
		.amdhsa_exception_fp_ieee_overflow 0
		.amdhsa_exception_fp_ieee_underflow 0
		.amdhsa_exception_fp_ieee_inexact 0
		.amdhsa_exception_int_div_zero 0
	.end_amdhsa_kernel
	.section	.text._ZN7rocprim17ROCPRIM_400000_NS6detail17trampoline_kernelINS0_14default_configENS1_35radix_sort_onesweep_config_selectorIjN6thrust23THRUST_200600_302600_NS5tupleIffNS6_9null_typeES8_S8_S8_S8_S8_S8_S8_EEEEZZNS1_29radix_sort_onesweep_iterationIS3_Lb0ENS6_6detail15normal_iteratorINS6_10device_ptrIjEEEESG_NSD_INSE_IS9_EEEESI_jNS0_19identity_decomposerENS1_16block_id_wrapperIjLb0EEEEE10hipError_tT1_PNSt15iterator_traitsISN_E10value_typeET2_T3_PNSO_IST_E10value_typeET4_T5_PSY_SZ_PNS1_23onesweep_lookback_stateEbbT6_jjT7_P12ihipStream_tbENKUlT_T0_SN_SS_E_clISG_PjSI_PS9_EEDaS16_S17_SN_SS_EUlS16_E_NS1_11comp_targetILNS1_3genE4ELNS1_11target_archE910ELNS1_3gpuE8ELNS1_3repE0EEENS1_47radix_sort_onesweep_sort_config_static_selectorELNS0_4arch9wavefront6targetE0EEEvSN_,"axG",@progbits,_ZN7rocprim17ROCPRIM_400000_NS6detail17trampoline_kernelINS0_14default_configENS1_35radix_sort_onesweep_config_selectorIjN6thrust23THRUST_200600_302600_NS5tupleIffNS6_9null_typeES8_S8_S8_S8_S8_S8_S8_EEEEZZNS1_29radix_sort_onesweep_iterationIS3_Lb0ENS6_6detail15normal_iteratorINS6_10device_ptrIjEEEESG_NSD_INSE_IS9_EEEESI_jNS0_19identity_decomposerENS1_16block_id_wrapperIjLb0EEEEE10hipError_tT1_PNSt15iterator_traitsISN_E10value_typeET2_T3_PNSO_IST_E10value_typeET4_T5_PSY_SZ_PNS1_23onesweep_lookback_stateEbbT6_jjT7_P12ihipStream_tbENKUlT_T0_SN_SS_E_clISG_PjSI_PS9_EEDaS16_S17_SN_SS_EUlS16_E_NS1_11comp_targetILNS1_3genE4ELNS1_11target_archE910ELNS1_3gpuE8ELNS1_3repE0EEENS1_47radix_sort_onesweep_sort_config_static_selectorELNS0_4arch9wavefront6targetE0EEEvSN_,comdat
.Lfunc_end215:
	.size	_ZN7rocprim17ROCPRIM_400000_NS6detail17trampoline_kernelINS0_14default_configENS1_35radix_sort_onesweep_config_selectorIjN6thrust23THRUST_200600_302600_NS5tupleIffNS6_9null_typeES8_S8_S8_S8_S8_S8_S8_EEEEZZNS1_29radix_sort_onesweep_iterationIS3_Lb0ENS6_6detail15normal_iteratorINS6_10device_ptrIjEEEESG_NSD_INSE_IS9_EEEESI_jNS0_19identity_decomposerENS1_16block_id_wrapperIjLb0EEEEE10hipError_tT1_PNSt15iterator_traitsISN_E10value_typeET2_T3_PNSO_IST_E10value_typeET4_T5_PSY_SZ_PNS1_23onesweep_lookback_stateEbbT6_jjT7_P12ihipStream_tbENKUlT_T0_SN_SS_E_clISG_PjSI_PS9_EEDaS16_S17_SN_SS_EUlS16_E_NS1_11comp_targetILNS1_3genE4ELNS1_11target_archE910ELNS1_3gpuE8ELNS1_3repE0EEENS1_47radix_sort_onesweep_sort_config_static_selectorELNS0_4arch9wavefront6targetE0EEEvSN_, .Lfunc_end215-_ZN7rocprim17ROCPRIM_400000_NS6detail17trampoline_kernelINS0_14default_configENS1_35radix_sort_onesweep_config_selectorIjN6thrust23THRUST_200600_302600_NS5tupleIffNS6_9null_typeES8_S8_S8_S8_S8_S8_S8_EEEEZZNS1_29radix_sort_onesweep_iterationIS3_Lb0ENS6_6detail15normal_iteratorINS6_10device_ptrIjEEEESG_NSD_INSE_IS9_EEEESI_jNS0_19identity_decomposerENS1_16block_id_wrapperIjLb0EEEEE10hipError_tT1_PNSt15iterator_traitsISN_E10value_typeET2_T3_PNSO_IST_E10value_typeET4_T5_PSY_SZ_PNS1_23onesweep_lookback_stateEbbT6_jjT7_P12ihipStream_tbENKUlT_T0_SN_SS_E_clISG_PjSI_PS9_EEDaS16_S17_SN_SS_EUlS16_E_NS1_11comp_targetILNS1_3genE4ELNS1_11target_archE910ELNS1_3gpuE8ELNS1_3repE0EEENS1_47radix_sort_onesweep_sort_config_static_selectorELNS0_4arch9wavefront6targetE0EEEvSN_
                                        ; -- End function
	.set _ZN7rocprim17ROCPRIM_400000_NS6detail17trampoline_kernelINS0_14default_configENS1_35radix_sort_onesweep_config_selectorIjN6thrust23THRUST_200600_302600_NS5tupleIffNS6_9null_typeES8_S8_S8_S8_S8_S8_S8_EEEEZZNS1_29radix_sort_onesweep_iterationIS3_Lb0ENS6_6detail15normal_iteratorINS6_10device_ptrIjEEEESG_NSD_INSE_IS9_EEEESI_jNS0_19identity_decomposerENS1_16block_id_wrapperIjLb0EEEEE10hipError_tT1_PNSt15iterator_traitsISN_E10value_typeET2_T3_PNSO_IST_E10value_typeET4_T5_PSY_SZ_PNS1_23onesweep_lookback_stateEbbT6_jjT7_P12ihipStream_tbENKUlT_T0_SN_SS_E_clISG_PjSI_PS9_EEDaS16_S17_SN_SS_EUlS16_E_NS1_11comp_targetILNS1_3genE4ELNS1_11target_archE910ELNS1_3gpuE8ELNS1_3repE0EEENS1_47radix_sort_onesweep_sort_config_static_selectorELNS0_4arch9wavefront6targetE0EEEvSN_.num_vgpr, 0
	.set _ZN7rocprim17ROCPRIM_400000_NS6detail17trampoline_kernelINS0_14default_configENS1_35radix_sort_onesweep_config_selectorIjN6thrust23THRUST_200600_302600_NS5tupleIffNS6_9null_typeES8_S8_S8_S8_S8_S8_S8_EEEEZZNS1_29radix_sort_onesweep_iterationIS3_Lb0ENS6_6detail15normal_iteratorINS6_10device_ptrIjEEEESG_NSD_INSE_IS9_EEEESI_jNS0_19identity_decomposerENS1_16block_id_wrapperIjLb0EEEEE10hipError_tT1_PNSt15iterator_traitsISN_E10value_typeET2_T3_PNSO_IST_E10value_typeET4_T5_PSY_SZ_PNS1_23onesweep_lookback_stateEbbT6_jjT7_P12ihipStream_tbENKUlT_T0_SN_SS_E_clISG_PjSI_PS9_EEDaS16_S17_SN_SS_EUlS16_E_NS1_11comp_targetILNS1_3genE4ELNS1_11target_archE910ELNS1_3gpuE8ELNS1_3repE0EEENS1_47radix_sort_onesweep_sort_config_static_selectorELNS0_4arch9wavefront6targetE0EEEvSN_.num_agpr, 0
	.set _ZN7rocprim17ROCPRIM_400000_NS6detail17trampoline_kernelINS0_14default_configENS1_35radix_sort_onesweep_config_selectorIjN6thrust23THRUST_200600_302600_NS5tupleIffNS6_9null_typeES8_S8_S8_S8_S8_S8_S8_EEEEZZNS1_29radix_sort_onesweep_iterationIS3_Lb0ENS6_6detail15normal_iteratorINS6_10device_ptrIjEEEESG_NSD_INSE_IS9_EEEESI_jNS0_19identity_decomposerENS1_16block_id_wrapperIjLb0EEEEE10hipError_tT1_PNSt15iterator_traitsISN_E10value_typeET2_T3_PNSO_IST_E10value_typeET4_T5_PSY_SZ_PNS1_23onesweep_lookback_stateEbbT6_jjT7_P12ihipStream_tbENKUlT_T0_SN_SS_E_clISG_PjSI_PS9_EEDaS16_S17_SN_SS_EUlS16_E_NS1_11comp_targetILNS1_3genE4ELNS1_11target_archE910ELNS1_3gpuE8ELNS1_3repE0EEENS1_47radix_sort_onesweep_sort_config_static_selectorELNS0_4arch9wavefront6targetE0EEEvSN_.numbered_sgpr, 0
	.set _ZN7rocprim17ROCPRIM_400000_NS6detail17trampoline_kernelINS0_14default_configENS1_35radix_sort_onesweep_config_selectorIjN6thrust23THRUST_200600_302600_NS5tupleIffNS6_9null_typeES8_S8_S8_S8_S8_S8_S8_EEEEZZNS1_29radix_sort_onesweep_iterationIS3_Lb0ENS6_6detail15normal_iteratorINS6_10device_ptrIjEEEESG_NSD_INSE_IS9_EEEESI_jNS0_19identity_decomposerENS1_16block_id_wrapperIjLb0EEEEE10hipError_tT1_PNSt15iterator_traitsISN_E10value_typeET2_T3_PNSO_IST_E10value_typeET4_T5_PSY_SZ_PNS1_23onesweep_lookback_stateEbbT6_jjT7_P12ihipStream_tbENKUlT_T0_SN_SS_E_clISG_PjSI_PS9_EEDaS16_S17_SN_SS_EUlS16_E_NS1_11comp_targetILNS1_3genE4ELNS1_11target_archE910ELNS1_3gpuE8ELNS1_3repE0EEENS1_47radix_sort_onesweep_sort_config_static_selectorELNS0_4arch9wavefront6targetE0EEEvSN_.num_named_barrier, 0
	.set _ZN7rocprim17ROCPRIM_400000_NS6detail17trampoline_kernelINS0_14default_configENS1_35radix_sort_onesweep_config_selectorIjN6thrust23THRUST_200600_302600_NS5tupleIffNS6_9null_typeES8_S8_S8_S8_S8_S8_S8_EEEEZZNS1_29radix_sort_onesweep_iterationIS3_Lb0ENS6_6detail15normal_iteratorINS6_10device_ptrIjEEEESG_NSD_INSE_IS9_EEEESI_jNS0_19identity_decomposerENS1_16block_id_wrapperIjLb0EEEEE10hipError_tT1_PNSt15iterator_traitsISN_E10value_typeET2_T3_PNSO_IST_E10value_typeET4_T5_PSY_SZ_PNS1_23onesweep_lookback_stateEbbT6_jjT7_P12ihipStream_tbENKUlT_T0_SN_SS_E_clISG_PjSI_PS9_EEDaS16_S17_SN_SS_EUlS16_E_NS1_11comp_targetILNS1_3genE4ELNS1_11target_archE910ELNS1_3gpuE8ELNS1_3repE0EEENS1_47radix_sort_onesweep_sort_config_static_selectorELNS0_4arch9wavefront6targetE0EEEvSN_.private_seg_size, 0
	.set _ZN7rocprim17ROCPRIM_400000_NS6detail17trampoline_kernelINS0_14default_configENS1_35radix_sort_onesweep_config_selectorIjN6thrust23THRUST_200600_302600_NS5tupleIffNS6_9null_typeES8_S8_S8_S8_S8_S8_S8_EEEEZZNS1_29radix_sort_onesweep_iterationIS3_Lb0ENS6_6detail15normal_iteratorINS6_10device_ptrIjEEEESG_NSD_INSE_IS9_EEEESI_jNS0_19identity_decomposerENS1_16block_id_wrapperIjLb0EEEEE10hipError_tT1_PNSt15iterator_traitsISN_E10value_typeET2_T3_PNSO_IST_E10value_typeET4_T5_PSY_SZ_PNS1_23onesweep_lookback_stateEbbT6_jjT7_P12ihipStream_tbENKUlT_T0_SN_SS_E_clISG_PjSI_PS9_EEDaS16_S17_SN_SS_EUlS16_E_NS1_11comp_targetILNS1_3genE4ELNS1_11target_archE910ELNS1_3gpuE8ELNS1_3repE0EEENS1_47radix_sort_onesweep_sort_config_static_selectorELNS0_4arch9wavefront6targetE0EEEvSN_.uses_vcc, 0
	.set _ZN7rocprim17ROCPRIM_400000_NS6detail17trampoline_kernelINS0_14default_configENS1_35radix_sort_onesweep_config_selectorIjN6thrust23THRUST_200600_302600_NS5tupleIffNS6_9null_typeES8_S8_S8_S8_S8_S8_S8_EEEEZZNS1_29radix_sort_onesweep_iterationIS3_Lb0ENS6_6detail15normal_iteratorINS6_10device_ptrIjEEEESG_NSD_INSE_IS9_EEEESI_jNS0_19identity_decomposerENS1_16block_id_wrapperIjLb0EEEEE10hipError_tT1_PNSt15iterator_traitsISN_E10value_typeET2_T3_PNSO_IST_E10value_typeET4_T5_PSY_SZ_PNS1_23onesweep_lookback_stateEbbT6_jjT7_P12ihipStream_tbENKUlT_T0_SN_SS_E_clISG_PjSI_PS9_EEDaS16_S17_SN_SS_EUlS16_E_NS1_11comp_targetILNS1_3genE4ELNS1_11target_archE910ELNS1_3gpuE8ELNS1_3repE0EEENS1_47radix_sort_onesweep_sort_config_static_selectorELNS0_4arch9wavefront6targetE0EEEvSN_.uses_flat_scratch, 0
	.set _ZN7rocprim17ROCPRIM_400000_NS6detail17trampoline_kernelINS0_14default_configENS1_35radix_sort_onesweep_config_selectorIjN6thrust23THRUST_200600_302600_NS5tupleIffNS6_9null_typeES8_S8_S8_S8_S8_S8_S8_EEEEZZNS1_29radix_sort_onesweep_iterationIS3_Lb0ENS6_6detail15normal_iteratorINS6_10device_ptrIjEEEESG_NSD_INSE_IS9_EEEESI_jNS0_19identity_decomposerENS1_16block_id_wrapperIjLb0EEEEE10hipError_tT1_PNSt15iterator_traitsISN_E10value_typeET2_T3_PNSO_IST_E10value_typeET4_T5_PSY_SZ_PNS1_23onesweep_lookback_stateEbbT6_jjT7_P12ihipStream_tbENKUlT_T0_SN_SS_E_clISG_PjSI_PS9_EEDaS16_S17_SN_SS_EUlS16_E_NS1_11comp_targetILNS1_3genE4ELNS1_11target_archE910ELNS1_3gpuE8ELNS1_3repE0EEENS1_47radix_sort_onesweep_sort_config_static_selectorELNS0_4arch9wavefront6targetE0EEEvSN_.has_dyn_sized_stack, 0
	.set _ZN7rocprim17ROCPRIM_400000_NS6detail17trampoline_kernelINS0_14default_configENS1_35radix_sort_onesweep_config_selectorIjN6thrust23THRUST_200600_302600_NS5tupleIffNS6_9null_typeES8_S8_S8_S8_S8_S8_S8_EEEEZZNS1_29radix_sort_onesweep_iterationIS3_Lb0ENS6_6detail15normal_iteratorINS6_10device_ptrIjEEEESG_NSD_INSE_IS9_EEEESI_jNS0_19identity_decomposerENS1_16block_id_wrapperIjLb0EEEEE10hipError_tT1_PNSt15iterator_traitsISN_E10value_typeET2_T3_PNSO_IST_E10value_typeET4_T5_PSY_SZ_PNS1_23onesweep_lookback_stateEbbT6_jjT7_P12ihipStream_tbENKUlT_T0_SN_SS_E_clISG_PjSI_PS9_EEDaS16_S17_SN_SS_EUlS16_E_NS1_11comp_targetILNS1_3genE4ELNS1_11target_archE910ELNS1_3gpuE8ELNS1_3repE0EEENS1_47radix_sort_onesweep_sort_config_static_selectorELNS0_4arch9wavefront6targetE0EEEvSN_.has_recursion, 0
	.set _ZN7rocprim17ROCPRIM_400000_NS6detail17trampoline_kernelINS0_14default_configENS1_35radix_sort_onesweep_config_selectorIjN6thrust23THRUST_200600_302600_NS5tupleIffNS6_9null_typeES8_S8_S8_S8_S8_S8_S8_EEEEZZNS1_29radix_sort_onesweep_iterationIS3_Lb0ENS6_6detail15normal_iteratorINS6_10device_ptrIjEEEESG_NSD_INSE_IS9_EEEESI_jNS0_19identity_decomposerENS1_16block_id_wrapperIjLb0EEEEE10hipError_tT1_PNSt15iterator_traitsISN_E10value_typeET2_T3_PNSO_IST_E10value_typeET4_T5_PSY_SZ_PNS1_23onesweep_lookback_stateEbbT6_jjT7_P12ihipStream_tbENKUlT_T0_SN_SS_E_clISG_PjSI_PS9_EEDaS16_S17_SN_SS_EUlS16_E_NS1_11comp_targetILNS1_3genE4ELNS1_11target_archE910ELNS1_3gpuE8ELNS1_3repE0EEENS1_47radix_sort_onesweep_sort_config_static_selectorELNS0_4arch9wavefront6targetE0EEEvSN_.has_indirect_call, 0
	.section	.AMDGPU.csdata,"",@progbits
; Kernel info:
; codeLenInByte = 0
; TotalNumSgprs: 0
; NumVgprs: 0
; ScratchSize: 0
; MemoryBound: 0
; FloatMode: 240
; IeeeMode: 1
; LDSByteSize: 0 bytes/workgroup (compile time only)
; SGPRBlocks: 0
; VGPRBlocks: 0
; NumSGPRsForWavesPerEU: 1
; NumVGPRsForWavesPerEU: 1
; Occupancy: 16
; WaveLimiterHint : 0
; COMPUTE_PGM_RSRC2:SCRATCH_EN: 0
; COMPUTE_PGM_RSRC2:USER_SGPR: 6
; COMPUTE_PGM_RSRC2:TRAP_HANDLER: 0
; COMPUTE_PGM_RSRC2:TGID_X_EN: 1
; COMPUTE_PGM_RSRC2:TGID_Y_EN: 0
; COMPUTE_PGM_RSRC2:TGID_Z_EN: 0
; COMPUTE_PGM_RSRC2:TIDIG_COMP_CNT: 0
	.section	.text._ZN7rocprim17ROCPRIM_400000_NS6detail17trampoline_kernelINS0_14default_configENS1_35radix_sort_onesweep_config_selectorIjN6thrust23THRUST_200600_302600_NS5tupleIffNS6_9null_typeES8_S8_S8_S8_S8_S8_S8_EEEEZZNS1_29radix_sort_onesweep_iterationIS3_Lb0ENS6_6detail15normal_iteratorINS6_10device_ptrIjEEEESG_NSD_INSE_IS9_EEEESI_jNS0_19identity_decomposerENS1_16block_id_wrapperIjLb0EEEEE10hipError_tT1_PNSt15iterator_traitsISN_E10value_typeET2_T3_PNSO_IST_E10value_typeET4_T5_PSY_SZ_PNS1_23onesweep_lookback_stateEbbT6_jjT7_P12ihipStream_tbENKUlT_T0_SN_SS_E_clISG_PjSI_PS9_EEDaS16_S17_SN_SS_EUlS16_E_NS1_11comp_targetILNS1_3genE3ELNS1_11target_archE908ELNS1_3gpuE7ELNS1_3repE0EEENS1_47radix_sort_onesweep_sort_config_static_selectorELNS0_4arch9wavefront6targetE0EEEvSN_,"axG",@progbits,_ZN7rocprim17ROCPRIM_400000_NS6detail17trampoline_kernelINS0_14default_configENS1_35radix_sort_onesweep_config_selectorIjN6thrust23THRUST_200600_302600_NS5tupleIffNS6_9null_typeES8_S8_S8_S8_S8_S8_S8_EEEEZZNS1_29radix_sort_onesweep_iterationIS3_Lb0ENS6_6detail15normal_iteratorINS6_10device_ptrIjEEEESG_NSD_INSE_IS9_EEEESI_jNS0_19identity_decomposerENS1_16block_id_wrapperIjLb0EEEEE10hipError_tT1_PNSt15iterator_traitsISN_E10value_typeET2_T3_PNSO_IST_E10value_typeET4_T5_PSY_SZ_PNS1_23onesweep_lookback_stateEbbT6_jjT7_P12ihipStream_tbENKUlT_T0_SN_SS_E_clISG_PjSI_PS9_EEDaS16_S17_SN_SS_EUlS16_E_NS1_11comp_targetILNS1_3genE3ELNS1_11target_archE908ELNS1_3gpuE7ELNS1_3repE0EEENS1_47radix_sort_onesweep_sort_config_static_selectorELNS0_4arch9wavefront6targetE0EEEvSN_,comdat
	.protected	_ZN7rocprim17ROCPRIM_400000_NS6detail17trampoline_kernelINS0_14default_configENS1_35radix_sort_onesweep_config_selectorIjN6thrust23THRUST_200600_302600_NS5tupleIffNS6_9null_typeES8_S8_S8_S8_S8_S8_S8_EEEEZZNS1_29radix_sort_onesweep_iterationIS3_Lb0ENS6_6detail15normal_iteratorINS6_10device_ptrIjEEEESG_NSD_INSE_IS9_EEEESI_jNS0_19identity_decomposerENS1_16block_id_wrapperIjLb0EEEEE10hipError_tT1_PNSt15iterator_traitsISN_E10value_typeET2_T3_PNSO_IST_E10value_typeET4_T5_PSY_SZ_PNS1_23onesweep_lookback_stateEbbT6_jjT7_P12ihipStream_tbENKUlT_T0_SN_SS_E_clISG_PjSI_PS9_EEDaS16_S17_SN_SS_EUlS16_E_NS1_11comp_targetILNS1_3genE3ELNS1_11target_archE908ELNS1_3gpuE7ELNS1_3repE0EEENS1_47radix_sort_onesweep_sort_config_static_selectorELNS0_4arch9wavefront6targetE0EEEvSN_ ; -- Begin function _ZN7rocprim17ROCPRIM_400000_NS6detail17trampoline_kernelINS0_14default_configENS1_35radix_sort_onesweep_config_selectorIjN6thrust23THRUST_200600_302600_NS5tupleIffNS6_9null_typeES8_S8_S8_S8_S8_S8_S8_EEEEZZNS1_29radix_sort_onesweep_iterationIS3_Lb0ENS6_6detail15normal_iteratorINS6_10device_ptrIjEEEESG_NSD_INSE_IS9_EEEESI_jNS0_19identity_decomposerENS1_16block_id_wrapperIjLb0EEEEE10hipError_tT1_PNSt15iterator_traitsISN_E10value_typeET2_T3_PNSO_IST_E10value_typeET4_T5_PSY_SZ_PNS1_23onesweep_lookback_stateEbbT6_jjT7_P12ihipStream_tbENKUlT_T0_SN_SS_E_clISG_PjSI_PS9_EEDaS16_S17_SN_SS_EUlS16_E_NS1_11comp_targetILNS1_3genE3ELNS1_11target_archE908ELNS1_3gpuE7ELNS1_3repE0EEENS1_47radix_sort_onesweep_sort_config_static_selectorELNS0_4arch9wavefront6targetE0EEEvSN_
	.globl	_ZN7rocprim17ROCPRIM_400000_NS6detail17trampoline_kernelINS0_14default_configENS1_35radix_sort_onesweep_config_selectorIjN6thrust23THRUST_200600_302600_NS5tupleIffNS6_9null_typeES8_S8_S8_S8_S8_S8_S8_EEEEZZNS1_29radix_sort_onesweep_iterationIS3_Lb0ENS6_6detail15normal_iteratorINS6_10device_ptrIjEEEESG_NSD_INSE_IS9_EEEESI_jNS0_19identity_decomposerENS1_16block_id_wrapperIjLb0EEEEE10hipError_tT1_PNSt15iterator_traitsISN_E10value_typeET2_T3_PNSO_IST_E10value_typeET4_T5_PSY_SZ_PNS1_23onesweep_lookback_stateEbbT6_jjT7_P12ihipStream_tbENKUlT_T0_SN_SS_E_clISG_PjSI_PS9_EEDaS16_S17_SN_SS_EUlS16_E_NS1_11comp_targetILNS1_3genE3ELNS1_11target_archE908ELNS1_3gpuE7ELNS1_3repE0EEENS1_47radix_sort_onesweep_sort_config_static_selectorELNS0_4arch9wavefront6targetE0EEEvSN_
	.p2align	8
	.type	_ZN7rocprim17ROCPRIM_400000_NS6detail17trampoline_kernelINS0_14default_configENS1_35radix_sort_onesweep_config_selectorIjN6thrust23THRUST_200600_302600_NS5tupleIffNS6_9null_typeES8_S8_S8_S8_S8_S8_S8_EEEEZZNS1_29radix_sort_onesweep_iterationIS3_Lb0ENS6_6detail15normal_iteratorINS6_10device_ptrIjEEEESG_NSD_INSE_IS9_EEEESI_jNS0_19identity_decomposerENS1_16block_id_wrapperIjLb0EEEEE10hipError_tT1_PNSt15iterator_traitsISN_E10value_typeET2_T3_PNSO_IST_E10value_typeET4_T5_PSY_SZ_PNS1_23onesweep_lookback_stateEbbT6_jjT7_P12ihipStream_tbENKUlT_T0_SN_SS_E_clISG_PjSI_PS9_EEDaS16_S17_SN_SS_EUlS16_E_NS1_11comp_targetILNS1_3genE3ELNS1_11target_archE908ELNS1_3gpuE7ELNS1_3repE0EEENS1_47radix_sort_onesweep_sort_config_static_selectorELNS0_4arch9wavefront6targetE0EEEvSN_,@function
_ZN7rocprim17ROCPRIM_400000_NS6detail17trampoline_kernelINS0_14default_configENS1_35radix_sort_onesweep_config_selectorIjN6thrust23THRUST_200600_302600_NS5tupleIffNS6_9null_typeES8_S8_S8_S8_S8_S8_S8_EEEEZZNS1_29radix_sort_onesweep_iterationIS3_Lb0ENS6_6detail15normal_iteratorINS6_10device_ptrIjEEEESG_NSD_INSE_IS9_EEEESI_jNS0_19identity_decomposerENS1_16block_id_wrapperIjLb0EEEEE10hipError_tT1_PNSt15iterator_traitsISN_E10value_typeET2_T3_PNSO_IST_E10value_typeET4_T5_PSY_SZ_PNS1_23onesweep_lookback_stateEbbT6_jjT7_P12ihipStream_tbENKUlT_T0_SN_SS_E_clISG_PjSI_PS9_EEDaS16_S17_SN_SS_EUlS16_E_NS1_11comp_targetILNS1_3genE3ELNS1_11target_archE908ELNS1_3gpuE7ELNS1_3repE0EEENS1_47radix_sort_onesweep_sort_config_static_selectorELNS0_4arch9wavefront6targetE0EEEvSN_: ; @_ZN7rocprim17ROCPRIM_400000_NS6detail17trampoline_kernelINS0_14default_configENS1_35radix_sort_onesweep_config_selectorIjN6thrust23THRUST_200600_302600_NS5tupleIffNS6_9null_typeES8_S8_S8_S8_S8_S8_S8_EEEEZZNS1_29radix_sort_onesweep_iterationIS3_Lb0ENS6_6detail15normal_iteratorINS6_10device_ptrIjEEEESG_NSD_INSE_IS9_EEEESI_jNS0_19identity_decomposerENS1_16block_id_wrapperIjLb0EEEEE10hipError_tT1_PNSt15iterator_traitsISN_E10value_typeET2_T3_PNSO_IST_E10value_typeET4_T5_PSY_SZ_PNS1_23onesweep_lookback_stateEbbT6_jjT7_P12ihipStream_tbENKUlT_T0_SN_SS_E_clISG_PjSI_PS9_EEDaS16_S17_SN_SS_EUlS16_E_NS1_11comp_targetILNS1_3genE3ELNS1_11target_archE908ELNS1_3gpuE7ELNS1_3repE0EEENS1_47radix_sort_onesweep_sort_config_static_selectorELNS0_4arch9wavefront6targetE0EEEvSN_
; %bb.0:
	.section	.rodata,"a",@progbits
	.p2align	6, 0x0
	.amdhsa_kernel _ZN7rocprim17ROCPRIM_400000_NS6detail17trampoline_kernelINS0_14default_configENS1_35radix_sort_onesweep_config_selectorIjN6thrust23THRUST_200600_302600_NS5tupleIffNS6_9null_typeES8_S8_S8_S8_S8_S8_S8_EEEEZZNS1_29radix_sort_onesweep_iterationIS3_Lb0ENS6_6detail15normal_iteratorINS6_10device_ptrIjEEEESG_NSD_INSE_IS9_EEEESI_jNS0_19identity_decomposerENS1_16block_id_wrapperIjLb0EEEEE10hipError_tT1_PNSt15iterator_traitsISN_E10value_typeET2_T3_PNSO_IST_E10value_typeET4_T5_PSY_SZ_PNS1_23onesweep_lookback_stateEbbT6_jjT7_P12ihipStream_tbENKUlT_T0_SN_SS_E_clISG_PjSI_PS9_EEDaS16_S17_SN_SS_EUlS16_E_NS1_11comp_targetILNS1_3genE3ELNS1_11target_archE908ELNS1_3gpuE7ELNS1_3repE0EEENS1_47radix_sort_onesweep_sort_config_static_selectorELNS0_4arch9wavefront6targetE0EEEvSN_
		.amdhsa_group_segment_fixed_size 0
		.amdhsa_private_segment_fixed_size 0
		.amdhsa_kernarg_size 88
		.amdhsa_user_sgpr_count 6
		.amdhsa_user_sgpr_private_segment_buffer 1
		.amdhsa_user_sgpr_dispatch_ptr 0
		.amdhsa_user_sgpr_queue_ptr 0
		.amdhsa_user_sgpr_kernarg_segment_ptr 1
		.amdhsa_user_sgpr_dispatch_id 0
		.amdhsa_user_sgpr_flat_scratch_init 0
		.amdhsa_user_sgpr_private_segment_size 0
		.amdhsa_wavefront_size32 1
		.amdhsa_uses_dynamic_stack 0
		.amdhsa_system_sgpr_private_segment_wavefront_offset 0
		.amdhsa_system_sgpr_workgroup_id_x 1
		.amdhsa_system_sgpr_workgroup_id_y 0
		.amdhsa_system_sgpr_workgroup_id_z 0
		.amdhsa_system_sgpr_workgroup_info 0
		.amdhsa_system_vgpr_workitem_id 0
		.amdhsa_next_free_vgpr 1
		.amdhsa_next_free_sgpr 1
		.amdhsa_reserve_vcc 0
		.amdhsa_reserve_flat_scratch 0
		.amdhsa_float_round_mode_32 0
		.amdhsa_float_round_mode_16_64 0
		.amdhsa_float_denorm_mode_32 3
		.amdhsa_float_denorm_mode_16_64 3
		.amdhsa_dx10_clamp 1
		.amdhsa_ieee_mode 1
		.amdhsa_fp16_overflow 0
		.amdhsa_workgroup_processor_mode 1
		.amdhsa_memory_ordered 1
		.amdhsa_forward_progress 1
		.amdhsa_shared_vgpr_count 0
		.amdhsa_exception_fp_ieee_invalid_op 0
		.amdhsa_exception_fp_denorm_src 0
		.amdhsa_exception_fp_ieee_div_zero 0
		.amdhsa_exception_fp_ieee_overflow 0
		.amdhsa_exception_fp_ieee_underflow 0
		.amdhsa_exception_fp_ieee_inexact 0
		.amdhsa_exception_int_div_zero 0
	.end_amdhsa_kernel
	.section	.text._ZN7rocprim17ROCPRIM_400000_NS6detail17trampoline_kernelINS0_14default_configENS1_35radix_sort_onesweep_config_selectorIjN6thrust23THRUST_200600_302600_NS5tupleIffNS6_9null_typeES8_S8_S8_S8_S8_S8_S8_EEEEZZNS1_29radix_sort_onesweep_iterationIS3_Lb0ENS6_6detail15normal_iteratorINS6_10device_ptrIjEEEESG_NSD_INSE_IS9_EEEESI_jNS0_19identity_decomposerENS1_16block_id_wrapperIjLb0EEEEE10hipError_tT1_PNSt15iterator_traitsISN_E10value_typeET2_T3_PNSO_IST_E10value_typeET4_T5_PSY_SZ_PNS1_23onesweep_lookback_stateEbbT6_jjT7_P12ihipStream_tbENKUlT_T0_SN_SS_E_clISG_PjSI_PS9_EEDaS16_S17_SN_SS_EUlS16_E_NS1_11comp_targetILNS1_3genE3ELNS1_11target_archE908ELNS1_3gpuE7ELNS1_3repE0EEENS1_47radix_sort_onesweep_sort_config_static_selectorELNS0_4arch9wavefront6targetE0EEEvSN_,"axG",@progbits,_ZN7rocprim17ROCPRIM_400000_NS6detail17trampoline_kernelINS0_14default_configENS1_35radix_sort_onesweep_config_selectorIjN6thrust23THRUST_200600_302600_NS5tupleIffNS6_9null_typeES8_S8_S8_S8_S8_S8_S8_EEEEZZNS1_29radix_sort_onesweep_iterationIS3_Lb0ENS6_6detail15normal_iteratorINS6_10device_ptrIjEEEESG_NSD_INSE_IS9_EEEESI_jNS0_19identity_decomposerENS1_16block_id_wrapperIjLb0EEEEE10hipError_tT1_PNSt15iterator_traitsISN_E10value_typeET2_T3_PNSO_IST_E10value_typeET4_T5_PSY_SZ_PNS1_23onesweep_lookback_stateEbbT6_jjT7_P12ihipStream_tbENKUlT_T0_SN_SS_E_clISG_PjSI_PS9_EEDaS16_S17_SN_SS_EUlS16_E_NS1_11comp_targetILNS1_3genE3ELNS1_11target_archE908ELNS1_3gpuE7ELNS1_3repE0EEENS1_47radix_sort_onesweep_sort_config_static_selectorELNS0_4arch9wavefront6targetE0EEEvSN_,comdat
.Lfunc_end216:
	.size	_ZN7rocprim17ROCPRIM_400000_NS6detail17trampoline_kernelINS0_14default_configENS1_35radix_sort_onesweep_config_selectorIjN6thrust23THRUST_200600_302600_NS5tupleIffNS6_9null_typeES8_S8_S8_S8_S8_S8_S8_EEEEZZNS1_29radix_sort_onesweep_iterationIS3_Lb0ENS6_6detail15normal_iteratorINS6_10device_ptrIjEEEESG_NSD_INSE_IS9_EEEESI_jNS0_19identity_decomposerENS1_16block_id_wrapperIjLb0EEEEE10hipError_tT1_PNSt15iterator_traitsISN_E10value_typeET2_T3_PNSO_IST_E10value_typeET4_T5_PSY_SZ_PNS1_23onesweep_lookback_stateEbbT6_jjT7_P12ihipStream_tbENKUlT_T0_SN_SS_E_clISG_PjSI_PS9_EEDaS16_S17_SN_SS_EUlS16_E_NS1_11comp_targetILNS1_3genE3ELNS1_11target_archE908ELNS1_3gpuE7ELNS1_3repE0EEENS1_47radix_sort_onesweep_sort_config_static_selectorELNS0_4arch9wavefront6targetE0EEEvSN_, .Lfunc_end216-_ZN7rocprim17ROCPRIM_400000_NS6detail17trampoline_kernelINS0_14default_configENS1_35radix_sort_onesweep_config_selectorIjN6thrust23THRUST_200600_302600_NS5tupleIffNS6_9null_typeES8_S8_S8_S8_S8_S8_S8_EEEEZZNS1_29radix_sort_onesweep_iterationIS3_Lb0ENS6_6detail15normal_iteratorINS6_10device_ptrIjEEEESG_NSD_INSE_IS9_EEEESI_jNS0_19identity_decomposerENS1_16block_id_wrapperIjLb0EEEEE10hipError_tT1_PNSt15iterator_traitsISN_E10value_typeET2_T3_PNSO_IST_E10value_typeET4_T5_PSY_SZ_PNS1_23onesweep_lookback_stateEbbT6_jjT7_P12ihipStream_tbENKUlT_T0_SN_SS_E_clISG_PjSI_PS9_EEDaS16_S17_SN_SS_EUlS16_E_NS1_11comp_targetILNS1_3genE3ELNS1_11target_archE908ELNS1_3gpuE7ELNS1_3repE0EEENS1_47radix_sort_onesweep_sort_config_static_selectorELNS0_4arch9wavefront6targetE0EEEvSN_
                                        ; -- End function
	.set _ZN7rocprim17ROCPRIM_400000_NS6detail17trampoline_kernelINS0_14default_configENS1_35radix_sort_onesweep_config_selectorIjN6thrust23THRUST_200600_302600_NS5tupleIffNS6_9null_typeES8_S8_S8_S8_S8_S8_S8_EEEEZZNS1_29radix_sort_onesweep_iterationIS3_Lb0ENS6_6detail15normal_iteratorINS6_10device_ptrIjEEEESG_NSD_INSE_IS9_EEEESI_jNS0_19identity_decomposerENS1_16block_id_wrapperIjLb0EEEEE10hipError_tT1_PNSt15iterator_traitsISN_E10value_typeET2_T3_PNSO_IST_E10value_typeET4_T5_PSY_SZ_PNS1_23onesweep_lookback_stateEbbT6_jjT7_P12ihipStream_tbENKUlT_T0_SN_SS_E_clISG_PjSI_PS9_EEDaS16_S17_SN_SS_EUlS16_E_NS1_11comp_targetILNS1_3genE3ELNS1_11target_archE908ELNS1_3gpuE7ELNS1_3repE0EEENS1_47radix_sort_onesweep_sort_config_static_selectorELNS0_4arch9wavefront6targetE0EEEvSN_.num_vgpr, 0
	.set _ZN7rocprim17ROCPRIM_400000_NS6detail17trampoline_kernelINS0_14default_configENS1_35radix_sort_onesweep_config_selectorIjN6thrust23THRUST_200600_302600_NS5tupleIffNS6_9null_typeES8_S8_S8_S8_S8_S8_S8_EEEEZZNS1_29radix_sort_onesweep_iterationIS3_Lb0ENS6_6detail15normal_iteratorINS6_10device_ptrIjEEEESG_NSD_INSE_IS9_EEEESI_jNS0_19identity_decomposerENS1_16block_id_wrapperIjLb0EEEEE10hipError_tT1_PNSt15iterator_traitsISN_E10value_typeET2_T3_PNSO_IST_E10value_typeET4_T5_PSY_SZ_PNS1_23onesweep_lookback_stateEbbT6_jjT7_P12ihipStream_tbENKUlT_T0_SN_SS_E_clISG_PjSI_PS9_EEDaS16_S17_SN_SS_EUlS16_E_NS1_11comp_targetILNS1_3genE3ELNS1_11target_archE908ELNS1_3gpuE7ELNS1_3repE0EEENS1_47radix_sort_onesweep_sort_config_static_selectorELNS0_4arch9wavefront6targetE0EEEvSN_.num_agpr, 0
	.set _ZN7rocprim17ROCPRIM_400000_NS6detail17trampoline_kernelINS0_14default_configENS1_35radix_sort_onesweep_config_selectorIjN6thrust23THRUST_200600_302600_NS5tupleIffNS6_9null_typeES8_S8_S8_S8_S8_S8_S8_EEEEZZNS1_29radix_sort_onesweep_iterationIS3_Lb0ENS6_6detail15normal_iteratorINS6_10device_ptrIjEEEESG_NSD_INSE_IS9_EEEESI_jNS0_19identity_decomposerENS1_16block_id_wrapperIjLb0EEEEE10hipError_tT1_PNSt15iterator_traitsISN_E10value_typeET2_T3_PNSO_IST_E10value_typeET4_T5_PSY_SZ_PNS1_23onesweep_lookback_stateEbbT6_jjT7_P12ihipStream_tbENKUlT_T0_SN_SS_E_clISG_PjSI_PS9_EEDaS16_S17_SN_SS_EUlS16_E_NS1_11comp_targetILNS1_3genE3ELNS1_11target_archE908ELNS1_3gpuE7ELNS1_3repE0EEENS1_47radix_sort_onesweep_sort_config_static_selectorELNS0_4arch9wavefront6targetE0EEEvSN_.numbered_sgpr, 0
	.set _ZN7rocprim17ROCPRIM_400000_NS6detail17trampoline_kernelINS0_14default_configENS1_35radix_sort_onesweep_config_selectorIjN6thrust23THRUST_200600_302600_NS5tupleIffNS6_9null_typeES8_S8_S8_S8_S8_S8_S8_EEEEZZNS1_29radix_sort_onesweep_iterationIS3_Lb0ENS6_6detail15normal_iteratorINS6_10device_ptrIjEEEESG_NSD_INSE_IS9_EEEESI_jNS0_19identity_decomposerENS1_16block_id_wrapperIjLb0EEEEE10hipError_tT1_PNSt15iterator_traitsISN_E10value_typeET2_T3_PNSO_IST_E10value_typeET4_T5_PSY_SZ_PNS1_23onesweep_lookback_stateEbbT6_jjT7_P12ihipStream_tbENKUlT_T0_SN_SS_E_clISG_PjSI_PS9_EEDaS16_S17_SN_SS_EUlS16_E_NS1_11comp_targetILNS1_3genE3ELNS1_11target_archE908ELNS1_3gpuE7ELNS1_3repE0EEENS1_47radix_sort_onesweep_sort_config_static_selectorELNS0_4arch9wavefront6targetE0EEEvSN_.num_named_barrier, 0
	.set _ZN7rocprim17ROCPRIM_400000_NS6detail17trampoline_kernelINS0_14default_configENS1_35radix_sort_onesweep_config_selectorIjN6thrust23THRUST_200600_302600_NS5tupleIffNS6_9null_typeES8_S8_S8_S8_S8_S8_S8_EEEEZZNS1_29radix_sort_onesweep_iterationIS3_Lb0ENS6_6detail15normal_iteratorINS6_10device_ptrIjEEEESG_NSD_INSE_IS9_EEEESI_jNS0_19identity_decomposerENS1_16block_id_wrapperIjLb0EEEEE10hipError_tT1_PNSt15iterator_traitsISN_E10value_typeET2_T3_PNSO_IST_E10value_typeET4_T5_PSY_SZ_PNS1_23onesweep_lookback_stateEbbT6_jjT7_P12ihipStream_tbENKUlT_T0_SN_SS_E_clISG_PjSI_PS9_EEDaS16_S17_SN_SS_EUlS16_E_NS1_11comp_targetILNS1_3genE3ELNS1_11target_archE908ELNS1_3gpuE7ELNS1_3repE0EEENS1_47radix_sort_onesweep_sort_config_static_selectorELNS0_4arch9wavefront6targetE0EEEvSN_.private_seg_size, 0
	.set _ZN7rocprim17ROCPRIM_400000_NS6detail17trampoline_kernelINS0_14default_configENS1_35radix_sort_onesweep_config_selectorIjN6thrust23THRUST_200600_302600_NS5tupleIffNS6_9null_typeES8_S8_S8_S8_S8_S8_S8_EEEEZZNS1_29radix_sort_onesweep_iterationIS3_Lb0ENS6_6detail15normal_iteratorINS6_10device_ptrIjEEEESG_NSD_INSE_IS9_EEEESI_jNS0_19identity_decomposerENS1_16block_id_wrapperIjLb0EEEEE10hipError_tT1_PNSt15iterator_traitsISN_E10value_typeET2_T3_PNSO_IST_E10value_typeET4_T5_PSY_SZ_PNS1_23onesweep_lookback_stateEbbT6_jjT7_P12ihipStream_tbENKUlT_T0_SN_SS_E_clISG_PjSI_PS9_EEDaS16_S17_SN_SS_EUlS16_E_NS1_11comp_targetILNS1_3genE3ELNS1_11target_archE908ELNS1_3gpuE7ELNS1_3repE0EEENS1_47radix_sort_onesweep_sort_config_static_selectorELNS0_4arch9wavefront6targetE0EEEvSN_.uses_vcc, 0
	.set _ZN7rocprim17ROCPRIM_400000_NS6detail17trampoline_kernelINS0_14default_configENS1_35radix_sort_onesweep_config_selectorIjN6thrust23THRUST_200600_302600_NS5tupleIffNS6_9null_typeES8_S8_S8_S8_S8_S8_S8_EEEEZZNS1_29radix_sort_onesweep_iterationIS3_Lb0ENS6_6detail15normal_iteratorINS6_10device_ptrIjEEEESG_NSD_INSE_IS9_EEEESI_jNS0_19identity_decomposerENS1_16block_id_wrapperIjLb0EEEEE10hipError_tT1_PNSt15iterator_traitsISN_E10value_typeET2_T3_PNSO_IST_E10value_typeET4_T5_PSY_SZ_PNS1_23onesweep_lookback_stateEbbT6_jjT7_P12ihipStream_tbENKUlT_T0_SN_SS_E_clISG_PjSI_PS9_EEDaS16_S17_SN_SS_EUlS16_E_NS1_11comp_targetILNS1_3genE3ELNS1_11target_archE908ELNS1_3gpuE7ELNS1_3repE0EEENS1_47radix_sort_onesweep_sort_config_static_selectorELNS0_4arch9wavefront6targetE0EEEvSN_.uses_flat_scratch, 0
	.set _ZN7rocprim17ROCPRIM_400000_NS6detail17trampoline_kernelINS0_14default_configENS1_35radix_sort_onesweep_config_selectorIjN6thrust23THRUST_200600_302600_NS5tupleIffNS6_9null_typeES8_S8_S8_S8_S8_S8_S8_EEEEZZNS1_29radix_sort_onesweep_iterationIS3_Lb0ENS6_6detail15normal_iteratorINS6_10device_ptrIjEEEESG_NSD_INSE_IS9_EEEESI_jNS0_19identity_decomposerENS1_16block_id_wrapperIjLb0EEEEE10hipError_tT1_PNSt15iterator_traitsISN_E10value_typeET2_T3_PNSO_IST_E10value_typeET4_T5_PSY_SZ_PNS1_23onesweep_lookback_stateEbbT6_jjT7_P12ihipStream_tbENKUlT_T0_SN_SS_E_clISG_PjSI_PS9_EEDaS16_S17_SN_SS_EUlS16_E_NS1_11comp_targetILNS1_3genE3ELNS1_11target_archE908ELNS1_3gpuE7ELNS1_3repE0EEENS1_47radix_sort_onesweep_sort_config_static_selectorELNS0_4arch9wavefront6targetE0EEEvSN_.has_dyn_sized_stack, 0
	.set _ZN7rocprim17ROCPRIM_400000_NS6detail17trampoline_kernelINS0_14default_configENS1_35radix_sort_onesweep_config_selectorIjN6thrust23THRUST_200600_302600_NS5tupleIffNS6_9null_typeES8_S8_S8_S8_S8_S8_S8_EEEEZZNS1_29radix_sort_onesweep_iterationIS3_Lb0ENS6_6detail15normal_iteratorINS6_10device_ptrIjEEEESG_NSD_INSE_IS9_EEEESI_jNS0_19identity_decomposerENS1_16block_id_wrapperIjLb0EEEEE10hipError_tT1_PNSt15iterator_traitsISN_E10value_typeET2_T3_PNSO_IST_E10value_typeET4_T5_PSY_SZ_PNS1_23onesweep_lookback_stateEbbT6_jjT7_P12ihipStream_tbENKUlT_T0_SN_SS_E_clISG_PjSI_PS9_EEDaS16_S17_SN_SS_EUlS16_E_NS1_11comp_targetILNS1_3genE3ELNS1_11target_archE908ELNS1_3gpuE7ELNS1_3repE0EEENS1_47radix_sort_onesweep_sort_config_static_selectorELNS0_4arch9wavefront6targetE0EEEvSN_.has_recursion, 0
	.set _ZN7rocprim17ROCPRIM_400000_NS6detail17trampoline_kernelINS0_14default_configENS1_35radix_sort_onesweep_config_selectorIjN6thrust23THRUST_200600_302600_NS5tupleIffNS6_9null_typeES8_S8_S8_S8_S8_S8_S8_EEEEZZNS1_29radix_sort_onesweep_iterationIS3_Lb0ENS6_6detail15normal_iteratorINS6_10device_ptrIjEEEESG_NSD_INSE_IS9_EEEESI_jNS0_19identity_decomposerENS1_16block_id_wrapperIjLb0EEEEE10hipError_tT1_PNSt15iterator_traitsISN_E10value_typeET2_T3_PNSO_IST_E10value_typeET4_T5_PSY_SZ_PNS1_23onesweep_lookback_stateEbbT6_jjT7_P12ihipStream_tbENKUlT_T0_SN_SS_E_clISG_PjSI_PS9_EEDaS16_S17_SN_SS_EUlS16_E_NS1_11comp_targetILNS1_3genE3ELNS1_11target_archE908ELNS1_3gpuE7ELNS1_3repE0EEENS1_47radix_sort_onesweep_sort_config_static_selectorELNS0_4arch9wavefront6targetE0EEEvSN_.has_indirect_call, 0
	.section	.AMDGPU.csdata,"",@progbits
; Kernel info:
; codeLenInByte = 0
; TotalNumSgprs: 0
; NumVgprs: 0
; ScratchSize: 0
; MemoryBound: 0
; FloatMode: 240
; IeeeMode: 1
; LDSByteSize: 0 bytes/workgroup (compile time only)
; SGPRBlocks: 0
; VGPRBlocks: 0
; NumSGPRsForWavesPerEU: 1
; NumVGPRsForWavesPerEU: 1
; Occupancy: 16
; WaveLimiterHint : 0
; COMPUTE_PGM_RSRC2:SCRATCH_EN: 0
; COMPUTE_PGM_RSRC2:USER_SGPR: 6
; COMPUTE_PGM_RSRC2:TRAP_HANDLER: 0
; COMPUTE_PGM_RSRC2:TGID_X_EN: 1
; COMPUTE_PGM_RSRC2:TGID_Y_EN: 0
; COMPUTE_PGM_RSRC2:TGID_Z_EN: 0
; COMPUTE_PGM_RSRC2:TIDIG_COMP_CNT: 0
	.section	.text._ZN7rocprim17ROCPRIM_400000_NS6detail17trampoline_kernelINS0_14default_configENS1_35radix_sort_onesweep_config_selectorIjN6thrust23THRUST_200600_302600_NS5tupleIffNS6_9null_typeES8_S8_S8_S8_S8_S8_S8_EEEEZZNS1_29radix_sort_onesweep_iterationIS3_Lb0ENS6_6detail15normal_iteratorINS6_10device_ptrIjEEEESG_NSD_INSE_IS9_EEEESI_jNS0_19identity_decomposerENS1_16block_id_wrapperIjLb0EEEEE10hipError_tT1_PNSt15iterator_traitsISN_E10value_typeET2_T3_PNSO_IST_E10value_typeET4_T5_PSY_SZ_PNS1_23onesweep_lookback_stateEbbT6_jjT7_P12ihipStream_tbENKUlT_T0_SN_SS_E_clISG_PjSI_PS9_EEDaS16_S17_SN_SS_EUlS16_E_NS1_11comp_targetILNS1_3genE10ELNS1_11target_archE1201ELNS1_3gpuE5ELNS1_3repE0EEENS1_47radix_sort_onesweep_sort_config_static_selectorELNS0_4arch9wavefront6targetE0EEEvSN_,"axG",@progbits,_ZN7rocprim17ROCPRIM_400000_NS6detail17trampoline_kernelINS0_14default_configENS1_35radix_sort_onesweep_config_selectorIjN6thrust23THRUST_200600_302600_NS5tupleIffNS6_9null_typeES8_S8_S8_S8_S8_S8_S8_EEEEZZNS1_29radix_sort_onesweep_iterationIS3_Lb0ENS6_6detail15normal_iteratorINS6_10device_ptrIjEEEESG_NSD_INSE_IS9_EEEESI_jNS0_19identity_decomposerENS1_16block_id_wrapperIjLb0EEEEE10hipError_tT1_PNSt15iterator_traitsISN_E10value_typeET2_T3_PNSO_IST_E10value_typeET4_T5_PSY_SZ_PNS1_23onesweep_lookback_stateEbbT6_jjT7_P12ihipStream_tbENKUlT_T0_SN_SS_E_clISG_PjSI_PS9_EEDaS16_S17_SN_SS_EUlS16_E_NS1_11comp_targetILNS1_3genE10ELNS1_11target_archE1201ELNS1_3gpuE5ELNS1_3repE0EEENS1_47radix_sort_onesweep_sort_config_static_selectorELNS0_4arch9wavefront6targetE0EEEvSN_,comdat
	.protected	_ZN7rocprim17ROCPRIM_400000_NS6detail17trampoline_kernelINS0_14default_configENS1_35radix_sort_onesweep_config_selectorIjN6thrust23THRUST_200600_302600_NS5tupleIffNS6_9null_typeES8_S8_S8_S8_S8_S8_S8_EEEEZZNS1_29radix_sort_onesweep_iterationIS3_Lb0ENS6_6detail15normal_iteratorINS6_10device_ptrIjEEEESG_NSD_INSE_IS9_EEEESI_jNS0_19identity_decomposerENS1_16block_id_wrapperIjLb0EEEEE10hipError_tT1_PNSt15iterator_traitsISN_E10value_typeET2_T3_PNSO_IST_E10value_typeET4_T5_PSY_SZ_PNS1_23onesweep_lookback_stateEbbT6_jjT7_P12ihipStream_tbENKUlT_T0_SN_SS_E_clISG_PjSI_PS9_EEDaS16_S17_SN_SS_EUlS16_E_NS1_11comp_targetILNS1_3genE10ELNS1_11target_archE1201ELNS1_3gpuE5ELNS1_3repE0EEENS1_47radix_sort_onesweep_sort_config_static_selectorELNS0_4arch9wavefront6targetE0EEEvSN_ ; -- Begin function _ZN7rocprim17ROCPRIM_400000_NS6detail17trampoline_kernelINS0_14default_configENS1_35radix_sort_onesweep_config_selectorIjN6thrust23THRUST_200600_302600_NS5tupleIffNS6_9null_typeES8_S8_S8_S8_S8_S8_S8_EEEEZZNS1_29radix_sort_onesweep_iterationIS3_Lb0ENS6_6detail15normal_iteratorINS6_10device_ptrIjEEEESG_NSD_INSE_IS9_EEEESI_jNS0_19identity_decomposerENS1_16block_id_wrapperIjLb0EEEEE10hipError_tT1_PNSt15iterator_traitsISN_E10value_typeET2_T3_PNSO_IST_E10value_typeET4_T5_PSY_SZ_PNS1_23onesweep_lookback_stateEbbT6_jjT7_P12ihipStream_tbENKUlT_T0_SN_SS_E_clISG_PjSI_PS9_EEDaS16_S17_SN_SS_EUlS16_E_NS1_11comp_targetILNS1_3genE10ELNS1_11target_archE1201ELNS1_3gpuE5ELNS1_3repE0EEENS1_47radix_sort_onesweep_sort_config_static_selectorELNS0_4arch9wavefront6targetE0EEEvSN_
	.globl	_ZN7rocprim17ROCPRIM_400000_NS6detail17trampoline_kernelINS0_14default_configENS1_35radix_sort_onesweep_config_selectorIjN6thrust23THRUST_200600_302600_NS5tupleIffNS6_9null_typeES8_S8_S8_S8_S8_S8_S8_EEEEZZNS1_29radix_sort_onesweep_iterationIS3_Lb0ENS6_6detail15normal_iteratorINS6_10device_ptrIjEEEESG_NSD_INSE_IS9_EEEESI_jNS0_19identity_decomposerENS1_16block_id_wrapperIjLb0EEEEE10hipError_tT1_PNSt15iterator_traitsISN_E10value_typeET2_T3_PNSO_IST_E10value_typeET4_T5_PSY_SZ_PNS1_23onesweep_lookback_stateEbbT6_jjT7_P12ihipStream_tbENKUlT_T0_SN_SS_E_clISG_PjSI_PS9_EEDaS16_S17_SN_SS_EUlS16_E_NS1_11comp_targetILNS1_3genE10ELNS1_11target_archE1201ELNS1_3gpuE5ELNS1_3repE0EEENS1_47radix_sort_onesweep_sort_config_static_selectorELNS0_4arch9wavefront6targetE0EEEvSN_
	.p2align	8
	.type	_ZN7rocprim17ROCPRIM_400000_NS6detail17trampoline_kernelINS0_14default_configENS1_35radix_sort_onesweep_config_selectorIjN6thrust23THRUST_200600_302600_NS5tupleIffNS6_9null_typeES8_S8_S8_S8_S8_S8_S8_EEEEZZNS1_29radix_sort_onesweep_iterationIS3_Lb0ENS6_6detail15normal_iteratorINS6_10device_ptrIjEEEESG_NSD_INSE_IS9_EEEESI_jNS0_19identity_decomposerENS1_16block_id_wrapperIjLb0EEEEE10hipError_tT1_PNSt15iterator_traitsISN_E10value_typeET2_T3_PNSO_IST_E10value_typeET4_T5_PSY_SZ_PNS1_23onesweep_lookback_stateEbbT6_jjT7_P12ihipStream_tbENKUlT_T0_SN_SS_E_clISG_PjSI_PS9_EEDaS16_S17_SN_SS_EUlS16_E_NS1_11comp_targetILNS1_3genE10ELNS1_11target_archE1201ELNS1_3gpuE5ELNS1_3repE0EEENS1_47radix_sort_onesweep_sort_config_static_selectorELNS0_4arch9wavefront6targetE0EEEvSN_,@function
_ZN7rocprim17ROCPRIM_400000_NS6detail17trampoline_kernelINS0_14default_configENS1_35radix_sort_onesweep_config_selectorIjN6thrust23THRUST_200600_302600_NS5tupleIffNS6_9null_typeES8_S8_S8_S8_S8_S8_S8_EEEEZZNS1_29radix_sort_onesweep_iterationIS3_Lb0ENS6_6detail15normal_iteratorINS6_10device_ptrIjEEEESG_NSD_INSE_IS9_EEEESI_jNS0_19identity_decomposerENS1_16block_id_wrapperIjLb0EEEEE10hipError_tT1_PNSt15iterator_traitsISN_E10value_typeET2_T3_PNSO_IST_E10value_typeET4_T5_PSY_SZ_PNS1_23onesweep_lookback_stateEbbT6_jjT7_P12ihipStream_tbENKUlT_T0_SN_SS_E_clISG_PjSI_PS9_EEDaS16_S17_SN_SS_EUlS16_E_NS1_11comp_targetILNS1_3genE10ELNS1_11target_archE1201ELNS1_3gpuE5ELNS1_3repE0EEENS1_47radix_sort_onesweep_sort_config_static_selectorELNS0_4arch9wavefront6targetE0EEEvSN_: ; @_ZN7rocprim17ROCPRIM_400000_NS6detail17trampoline_kernelINS0_14default_configENS1_35radix_sort_onesweep_config_selectorIjN6thrust23THRUST_200600_302600_NS5tupleIffNS6_9null_typeES8_S8_S8_S8_S8_S8_S8_EEEEZZNS1_29radix_sort_onesweep_iterationIS3_Lb0ENS6_6detail15normal_iteratorINS6_10device_ptrIjEEEESG_NSD_INSE_IS9_EEEESI_jNS0_19identity_decomposerENS1_16block_id_wrapperIjLb0EEEEE10hipError_tT1_PNSt15iterator_traitsISN_E10value_typeET2_T3_PNSO_IST_E10value_typeET4_T5_PSY_SZ_PNS1_23onesweep_lookback_stateEbbT6_jjT7_P12ihipStream_tbENKUlT_T0_SN_SS_E_clISG_PjSI_PS9_EEDaS16_S17_SN_SS_EUlS16_E_NS1_11comp_targetILNS1_3genE10ELNS1_11target_archE1201ELNS1_3gpuE5ELNS1_3repE0EEENS1_47radix_sort_onesweep_sort_config_static_selectorELNS0_4arch9wavefront6targetE0EEEvSN_
; %bb.0:
	.section	.rodata,"a",@progbits
	.p2align	6, 0x0
	.amdhsa_kernel _ZN7rocprim17ROCPRIM_400000_NS6detail17trampoline_kernelINS0_14default_configENS1_35radix_sort_onesweep_config_selectorIjN6thrust23THRUST_200600_302600_NS5tupleIffNS6_9null_typeES8_S8_S8_S8_S8_S8_S8_EEEEZZNS1_29radix_sort_onesweep_iterationIS3_Lb0ENS6_6detail15normal_iteratorINS6_10device_ptrIjEEEESG_NSD_INSE_IS9_EEEESI_jNS0_19identity_decomposerENS1_16block_id_wrapperIjLb0EEEEE10hipError_tT1_PNSt15iterator_traitsISN_E10value_typeET2_T3_PNSO_IST_E10value_typeET4_T5_PSY_SZ_PNS1_23onesweep_lookback_stateEbbT6_jjT7_P12ihipStream_tbENKUlT_T0_SN_SS_E_clISG_PjSI_PS9_EEDaS16_S17_SN_SS_EUlS16_E_NS1_11comp_targetILNS1_3genE10ELNS1_11target_archE1201ELNS1_3gpuE5ELNS1_3repE0EEENS1_47radix_sort_onesweep_sort_config_static_selectorELNS0_4arch9wavefront6targetE0EEEvSN_
		.amdhsa_group_segment_fixed_size 0
		.amdhsa_private_segment_fixed_size 0
		.amdhsa_kernarg_size 88
		.amdhsa_user_sgpr_count 6
		.amdhsa_user_sgpr_private_segment_buffer 1
		.amdhsa_user_sgpr_dispatch_ptr 0
		.amdhsa_user_sgpr_queue_ptr 0
		.amdhsa_user_sgpr_kernarg_segment_ptr 1
		.amdhsa_user_sgpr_dispatch_id 0
		.amdhsa_user_sgpr_flat_scratch_init 0
		.amdhsa_user_sgpr_private_segment_size 0
		.amdhsa_wavefront_size32 1
		.amdhsa_uses_dynamic_stack 0
		.amdhsa_system_sgpr_private_segment_wavefront_offset 0
		.amdhsa_system_sgpr_workgroup_id_x 1
		.amdhsa_system_sgpr_workgroup_id_y 0
		.amdhsa_system_sgpr_workgroup_id_z 0
		.amdhsa_system_sgpr_workgroup_info 0
		.amdhsa_system_vgpr_workitem_id 0
		.amdhsa_next_free_vgpr 1
		.amdhsa_next_free_sgpr 1
		.amdhsa_reserve_vcc 0
		.amdhsa_reserve_flat_scratch 0
		.amdhsa_float_round_mode_32 0
		.amdhsa_float_round_mode_16_64 0
		.amdhsa_float_denorm_mode_32 3
		.amdhsa_float_denorm_mode_16_64 3
		.amdhsa_dx10_clamp 1
		.amdhsa_ieee_mode 1
		.amdhsa_fp16_overflow 0
		.amdhsa_workgroup_processor_mode 1
		.amdhsa_memory_ordered 1
		.amdhsa_forward_progress 1
		.amdhsa_shared_vgpr_count 0
		.amdhsa_exception_fp_ieee_invalid_op 0
		.amdhsa_exception_fp_denorm_src 0
		.amdhsa_exception_fp_ieee_div_zero 0
		.amdhsa_exception_fp_ieee_overflow 0
		.amdhsa_exception_fp_ieee_underflow 0
		.amdhsa_exception_fp_ieee_inexact 0
		.amdhsa_exception_int_div_zero 0
	.end_amdhsa_kernel
	.section	.text._ZN7rocprim17ROCPRIM_400000_NS6detail17trampoline_kernelINS0_14default_configENS1_35radix_sort_onesweep_config_selectorIjN6thrust23THRUST_200600_302600_NS5tupleIffNS6_9null_typeES8_S8_S8_S8_S8_S8_S8_EEEEZZNS1_29radix_sort_onesweep_iterationIS3_Lb0ENS6_6detail15normal_iteratorINS6_10device_ptrIjEEEESG_NSD_INSE_IS9_EEEESI_jNS0_19identity_decomposerENS1_16block_id_wrapperIjLb0EEEEE10hipError_tT1_PNSt15iterator_traitsISN_E10value_typeET2_T3_PNSO_IST_E10value_typeET4_T5_PSY_SZ_PNS1_23onesweep_lookback_stateEbbT6_jjT7_P12ihipStream_tbENKUlT_T0_SN_SS_E_clISG_PjSI_PS9_EEDaS16_S17_SN_SS_EUlS16_E_NS1_11comp_targetILNS1_3genE10ELNS1_11target_archE1201ELNS1_3gpuE5ELNS1_3repE0EEENS1_47radix_sort_onesweep_sort_config_static_selectorELNS0_4arch9wavefront6targetE0EEEvSN_,"axG",@progbits,_ZN7rocprim17ROCPRIM_400000_NS6detail17trampoline_kernelINS0_14default_configENS1_35radix_sort_onesweep_config_selectorIjN6thrust23THRUST_200600_302600_NS5tupleIffNS6_9null_typeES8_S8_S8_S8_S8_S8_S8_EEEEZZNS1_29radix_sort_onesweep_iterationIS3_Lb0ENS6_6detail15normal_iteratorINS6_10device_ptrIjEEEESG_NSD_INSE_IS9_EEEESI_jNS0_19identity_decomposerENS1_16block_id_wrapperIjLb0EEEEE10hipError_tT1_PNSt15iterator_traitsISN_E10value_typeET2_T3_PNSO_IST_E10value_typeET4_T5_PSY_SZ_PNS1_23onesweep_lookback_stateEbbT6_jjT7_P12ihipStream_tbENKUlT_T0_SN_SS_E_clISG_PjSI_PS9_EEDaS16_S17_SN_SS_EUlS16_E_NS1_11comp_targetILNS1_3genE10ELNS1_11target_archE1201ELNS1_3gpuE5ELNS1_3repE0EEENS1_47radix_sort_onesweep_sort_config_static_selectorELNS0_4arch9wavefront6targetE0EEEvSN_,comdat
.Lfunc_end217:
	.size	_ZN7rocprim17ROCPRIM_400000_NS6detail17trampoline_kernelINS0_14default_configENS1_35radix_sort_onesweep_config_selectorIjN6thrust23THRUST_200600_302600_NS5tupleIffNS6_9null_typeES8_S8_S8_S8_S8_S8_S8_EEEEZZNS1_29radix_sort_onesweep_iterationIS3_Lb0ENS6_6detail15normal_iteratorINS6_10device_ptrIjEEEESG_NSD_INSE_IS9_EEEESI_jNS0_19identity_decomposerENS1_16block_id_wrapperIjLb0EEEEE10hipError_tT1_PNSt15iterator_traitsISN_E10value_typeET2_T3_PNSO_IST_E10value_typeET4_T5_PSY_SZ_PNS1_23onesweep_lookback_stateEbbT6_jjT7_P12ihipStream_tbENKUlT_T0_SN_SS_E_clISG_PjSI_PS9_EEDaS16_S17_SN_SS_EUlS16_E_NS1_11comp_targetILNS1_3genE10ELNS1_11target_archE1201ELNS1_3gpuE5ELNS1_3repE0EEENS1_47radix_sort_onesweep_sort_config_static_selectorELNS0_4arch9wavefront6targetE0EEEvSN_, .Lfunc_end217-_ZN7rocprim17ROCPRIM_400000_NS6detail17trampoline_kernelINS0_14default_configENS1_35radix_sort_onesweep_config_selectorIjN6thrust23THRUST_200600_302600_NS5tupleIffNS6_9null_typeES8_S8_S8_S8_S8_S8_S8_EEEEZZNS1_29radix_sort_onesweep_iterationIS3_Lb0ENS6_6detail15normal_iteratorINS6_10device_ptrIjEEEESG_NSD_INSE_IS9_EEEESI_jNS0_19identity_decomposerENS1_16block_id_wrapperIjLb0EEEEE10hipError_tT1_PNSt15iterator_traitsISN_E10value_typeET2_T3_PNSO_IST_E10value_typeET4_T5_PSY_SZ_PNS1_23onesweep_lookback_stateEbbT6_jjT7_P12ihipStream_tbENKUlT_T0_SN_SS_E_clISG_PjSI_PS9_EEDaS16_S17_SN_SS_EUlS16_E_NS1_11comp_targetILNS1_3genE10ELNS1_11target_archE1201ELNS1_3gpuE5ELNS1_3repE0EEENS1_47radix_sort_onesweep_sort_config_static_selectorELNS0_4arch9wavefront6targetE0EEEvSN_
                                        ; -- End function
	.set _ZN7rocprim17ROCPRIM_400000_NS6detail17trampoline_kernelINS0_14default_configENS1_35radix_sort_onesweep_config_selectorIjN6thrust23THRUST_200600_302600_NS5tupleIffNS6_9null_typeES8_S8_S8_S8_S8_S8_S8_EEEEZZNS1_29radix_sort_onesweep_iterationIS3_Lb0ENS6_6detail15normal_iteratorINS6_10device_ptrIjEEEESG_NSD_INSE_IS9_EEEESI_jNS0_19identity_decomposerENS1_16block_id_wrapperIjLb0EEEEE10hipError_tT1_PNSt15iterator_traitsISN_E10value_typeET2_T3_PNSO_IST_E10value_typeET4_T5_PSY_SZ_PNS1_23onesweep_lookback_stateEbbT6_jjT7_P12ihipStream_tbENKUlT_T0_SN_SS_E_clISG_PjSI_PS9_EEDaS16_S17_SN_SS_EUlS16_E_NS1_11comp_targetILNS1_3genE10ELNS1_11target_archE1201ELNS1_3gpuE5ELNS1_3repE0EEENS1_47radix_sort_onesweep_sort_config_static_selectorELNS0_4arch9wavefront6targetE0EEEvSN_.num_vgpr, 0
	.set _ZN7rocprim17ROCPRIM_400000_NS6detail17trampoline_kernelINS0_14default_configENS1_35radix_sort_onesweep_config_selectorIjN6thrust23THRUST_200600_302600_NS5tupleIffNS6_9null_typeES8_S8_S8_S8_S8_S8_S8_EEEEZZNS1_29radix_sort_onesweep_iterationIS3_Lb0ENS6_6detail15normal_iteratorINS6_10device_ptrIjEEEESG_NSD_INSE_IS9_EEEESI_jNS0_19identity_decomposerENS1_16block_id_wrapperIjLb0EEEEE10hipError_tT1_PNSt15iterator_traitsISN_E10value_typeET2_T3_PNSO_IST_E10value_typeET4_T5_PSY_SZ_PNS1_23onesweep_lookback_stateEbbT6_jjT7_P12ihipStream_tbENKUlT_T0_SN_SS_E_clISG_PjSI_PS9_EEDaS16_S17_SN_SS_EUlS16_E_NS1_11comp_targetILNS1_3genE10ELNS1_11target_archE1201ELNS1_3gpuE5ELNS1_3repE0EEENS1_47radix_sort_onesweep_sort_config_static_selectorELNS0_4arch9wavefront6targetE0EEEvSN_.num_agpr, 0
	.set _ZN7rocprim17ROCPRIM_400000_NS6detail17trampoline_kernelINS0_14default_configENS1_35radix_sort_onesweep_config_selectorIjN6thrust23THRUST_200600_302600_NS5tupleIffNS6_9null_typeES8_S8_S8_S8_S8_S8_S8_EEEEZZNS1_29radix_sort_onesweep_iterationIS3_Lb0ENS6_6detail15normal_iteratorINS6_10device_ptrIjEEEESG_NSD_INSE_IS9_EEEESI_jNS0_19identity_decomposerENS1_16block_id_wrapperIjLb0EEEEE10hipError_tT1_PNSt15iterator_traitsISN_E10value_typeET2_T3_PNSO_IST_E10value_typeET4_T5_PSY_SZ_PNS1_23onesweep_lookback_stateEbbT6_jjT7_P12ihipStream_tbENKUlT_T0_SN_SS_E_clISG_PjSI_PS9_EEDaS16_S17_SN_SS_EUlS16_E_NS1_11comp_targetILNS1_3genE10ELNS1_11target_archE1201ELNS1_3gpuE5ELNS1_3repE0EEENS1_47radix_sort_onesweep_sort_config_static_selectorELNS0_4arch9wavefront6targetE0EEEvSN_.numbered_sgpr, 0
	.set _ZN7rocprim17ROCPRIM_400000_NS6detail17trampoline_kernelINS0_14default_configENS1_35radix_sort_onesweep_config_selectorIjN6thrust23THRUST_200600_302600_NS5tupleIffNS6_9null_typeES8_S8_S8_S8_S8_S8_S8_EEEEZZNS1_29radix_sort_onesweep_iterationIS3_Lb0ENS6_6detail15normal_iteratorINS6_10device_ptrIjEEEESG_NSD_INSE_IS9_EEEESI_jNS0_19identity_decomposerENS1_16block_id_wrapperIjLb0EEEEE10hipError_tT1_PNSt15iterator_traitsISN_E10value_typeET2_T3_PNSO_IST_E10value_typeET4_T5_PSY_SZ_PNS1_23onesweep_lookback_stateEbbT6_jjT7_P12ihipStream_tbENKUlT_T0_SN_SS_E_clISG_PjSI_PS9_EEDaS16_S17_SN_SS_EUlS16_E_NS1_11comp_targetILNS1_3genE10ELNS1_11target_archE1201ELNS1_3gpuE5ELNS1_3repE0EEENS1_47radix_sort_onesweep_sort_config_static_selectorELNS0_4arch9wavefront6targetE0EEEvSN_.num_named_barrier, 0
	.set _ZN7rocprim17ROCPRIM_400000_NS6detail17trampoline_kernelINS0_14default_configENS1_35radix_sort_onesweep_config_selectorIjN6thrust23THRUST_200600_302600_NS5tupleIffNS6_9null_typeES8_S8_S8_S8_S8_S8_S8_EEEEZZNS1_29radix_sort_onesweep_iterationIS3_Lb0ENS6_6detail15normal_iteratorINS6_10device_ptrIjEEEESG_NSD_INSE_IS9_EEEESI_jNS0_19identity_decomposerENS1_16block_id_wrapperIjLb0EEEEE10hipError_tT1_PNSt15iterator_traitsISN_E10value_typeET2_T3_PNSO_IST_E10value_typeET4_T5_PSY_SZ_PNS1_23onesweep_lookback_stateEbbT6_jjT7_P12ihipStream_tbENKUlT_T0_SN_SS_E_clISG_PjSI_PS9_EEDaS16_S17_SN_SS_EUlS16_E_NS1_11comp_targetILNS1_3genE10ELNS1_11target_archE1201ELNS1_3gpuE5ELNS1_3repE0EEENS1_47radix_sort_onesweep_sort_config_static_selectorELNS0_4arch9wavefront6targetE0EEEvSN_.private_seg_size, 0
	.set _ZN7rocprim17ROCPRIM_400000_NS6detail17trampoline_kernelINS0_14default_configENS1_35radix_sort_onesweep_config_selectorIjN6thrust23THRUST_200600_302600_NS5tupleIffNS6_9null_typeES8_S8_S8_S8_S8_S8_S8_EEEEZZNS1_29radix_sort_onesweep_iterationIS3_Lb0ENS6_6detail15normal_iteratorINS6_10device_ptrIjEEEESG_NSD_INSE_IS9_EEEESI_jNS0_19identity_decomposerENS1_16block_id_wrapperIjLb0EEEEE10hipError_tT1_PNSt15iterator_traitsISN_E10value_typeET2_T3_PNSO_IST_E10value_typeET4_T5_PSY_SZ_PNS1_23onesweep_lookback_stateEbbT6_jjT7_P12ihipStream_tbENKUlT_T0_SN_SS_E_clISG_PjSI_PS9_EEDaS16_S17_SN_SS_EUlS16_E_NS1_11comp_targetILNS1_3genE10ELNS1_11target_archE1201ELNS1_3gpuE5ELNS1_3repE0EEENS1_47radix_sort_onesweep_sort_config_static_selectorELNS0_4arch9wavefront6targetE0EEEvSN_.uses_vcc, 0
	.set _ZN7rocprim17ROCPRIM_400000_NS6detail17trampoline_kernelINS0_14default_configENS1_35radix_sort_onesweep_config_selectorIjN6thrust23THRUST_200600_302600_NS5tupleIffNS6_9null_typeES8_S8_S8_S8_S8_S8_S8_EEEEZZNS1_29radix_sort_onesweep_iterationIS3_Lb0ENS6_6detail15normal_iteratorINS6_10device_ptrIjEEEESG_NSD_INSE_IS9_EEEESI_jNS0_19identity_decomposerENS1_16block_id_wrapperIjLb0EEEEE10hipError_tT1_PNSt15iterator_traitsISN_E10value_typeET2_T3_PNSO_IST_E10value_typeET4_T5_PSY_SZ_PNS1_23onesweep_lookback_stateEbbT6_jjT7_P12ihipStream_tbENKUlT_T0_SN_SS_E_clISG_PjSI_PS9_EEDaS16_S17_SN_SS_EUlS16_E_NS1_11comp_targetILNS1_3genE10ELNS1_11target_archE1201ELNS1_3gpuE5ELNS1_3repE0EEENS1_47radix_sort_onesweep_sort_config_static_selectorELNS0_4arch9wavefront6targetE0EEEvSN_.uses_flat_scratch, 0
	.set _ZN7rocprim17ROCPRIM_400000_NS6detail17trampoline_kernelINS0_14default_configENS1_35radix_sort_onesweep_config_selectorIjN6thrust23THRUST_200600_302600_NS5tupleIffNS6_9null_typeES8_S8_S8_S8_S8_S8_S8_EEEEZZNS1_29radix_sort_onesweep_iterationIS3_Lb0ENS6_6detail15normal_iteratorINS6_10device_ptrIjEEEESG_NSD_INSE_IS9_EEEESI_jNS0_19identity_decomposerENS1_16block_id_wrapperIjLb0EEEEE10hipError_tT1_PNSt15iterator_traitsISN_E10value_typeET2_T3_PNSO_IST_E10value_typeET4_T5_PSY_SZ_PNS1_23onesweep_lookback_stateEbbT6_jjT7_P12ihipStream_tbENKUlT_T0_SN_SS_E_clISG_PjSI_PS9_EEDaS16_S17_SN_SS_EUlS16_E_NS1_11comp_targetILNS1_3genE10ELNS1_11target_archE1201ELNS1_3gpuE5ELNS1_3repE0EEENS1_47radix_sort_onesweep_sort_config_static_selectorELNS0_4arch9wavefront6targetE0EEEvSN_.has_dyn_sized_stack, 0
	.set _ZN7rocprim17ROCPRIM_400000_NS6detail17trampoline_kernelINS0_14default_configENS1_35radix_sort_onesweep_config_selectorIjN6thrust23THRUST_200600_302600_NS5tupleIffNS6_9null_typeES8_S8_S8_S8_S8_S8_S8_EEEEZZNS1_29radix_sort_onesweep_iterationIS3_Lb0ENS6_6detail15normal_iteratorINS6_10device_ptrIjEEEESG_NSD_INSE_IS9_EEEESI_jNS0_19identity_decomposerENS1_16block_id_wrapperIjLb0EEEEE10hipError_tT1_PNSt15iterator_traitsISN_E10value_typeET2_T3_PNSO_IST_E10value_typeET4_T5_PSY_SZ_PNS1_23onesweep_lookback_stateEbbT6_jjT7_P12ihipStream_tbENKUlT_T0_SN_SS_E_clISG_PjSI_PS9_EEDaS16_S17_SN_SS_EUlS16_E_NS1_11comp_targetILNS1_3genE10ELNS1_11target_archE1201ELNS1_3gpuE5ELNS1_3repE0EEENS1_47radix_sort_onesweep_sort_config_static_selectorELNS0_4arch9wavefront6targetE0EEEvSN_.has_recursion, 0
	.set _ZN7rocprim17ROCPRIM_400000_NS6detail17trampoline_kernelINS0_14default_configENS1_35radix_sort_onesweep_config_selectorIjN6thrust23THRUST_200600_302600_NS5tupleIffNS6_9null_typeES8_S8_S8_S8_S8_S8_S8_EEEEZZNS1_29radix_sort_onesweep_iterationIS3_Lb0ENS6_6detail15normal_iteratorINS6_10device_ptrIjEEEESG_NSD_INSE_IS9_EEEESI_jNS0_19identity_decomposerENS1_16block_id_wrapperIjLb0EEEEE10hipError_tT1_PNSt15iterator_traitsISN_E10value_typeET2_T3_PNSO_IST_E10value_typeET4_T5_PSY_SZ_PNS1_23onesweep_lookback_stateEbbT6_jjT7_P12ihipStream_tbENKUlT_T0_SN_SS_E_clISG_PjSI_PS9_EEDaS16_S17_SN_SS_EUlS16_E_NS1_11comp_targetILNS1_3genE10ELNS1_11target_archE1201ELNS1_3gpuE5ELNS1_3repE0EEENS1_47radix_sort_onesweep_sort_config_static_selectorELNS0_4arch9wavefront6targetE0EEEvSN_.has_indirect_call, 0
	.section	.AMDGPU.csdata,"",@progbits
; Kernel info:
; codeLenInByte = 0
; TotalNumSgprs: 0
; NumVgprs: 0
; ScratchSize: 0
; MemoryBound: 0
; FloatMode: 240
; IeeeMode: 1
; LDSByteSize: 0 bytes/workgroup (compile time only)
; SGPRBlocks: 0
; VGPRBlocks: 0
; NumSGPRsForWavesPerEU: 1
; NumVGPRsForWavesPerEU: 1
; Occupancy: 16
; WaveLimiterHint : 0
; COMPUTE_PGM_RSRC2:SCRATCH_EN: 0
; COMPUTE_PGM_RSRC2:USER_SGPR: 6
; COMPUTE_PGM_RSRC2:TRAP_HANDLER: 0
; COMPUTE_PGM_RSRC2:TGID_X_EN: 1
; COMPUTE_PGM_RSRC2:TGID_Y_EN: 0
; COMPUTE_PGM_RSRC2:TGID_Z_EN: 0
; COMPUTE_PGM_RSRC2:TIDIG_COMP_CNT: 0
	.section	.text._ZN7rocprim17ROCPRIM_400000_NS6detail17trampoline_kernelINS0_14default_configENS1_35radix_sort_onesweep_config_selectorIjN6thrust23THRUST_200600_302600_NS5tupleIffNS6_9null_typeES8_S8_S8_S8_S8_S8_S8_EEEEZZNS1_29radix_sort_onesweep_iterationIS3_Lb0ENS6_6detail15normal_iteratorINS6_10device_ptrIjEEEESG_NSD_INSE_IS9_EEEESI_jNS0_19identity_decomposerENS1_16block_id_wrapperIjLb0EEEEE10hipError_tT1_PNSt15iterator_traitsISN_E10value_typeET2_T3_PNSO_IST_E10value_typeET4_T5_PSY_SZ_PNS1_23onesweep_lookback_stateEbbT6_jjT7_P12ihipStream_tbENKUlT_T0_SN_SS_E_clISG_PjSI_PS9_EEDaS16_S17_SN_SS_EUlS16_E_NS1_11comp_targetILNS1_3genE9ELNS1_11target_archE1100ELNS1_3gpuE3ELNS1_3repE0EEENS1_47radix_sort_onesweep_sort_config_static_selectorELNS0_4arch9wavefront6targetE0EEEvSN_,"axG",@progbits,_ZN7rocprim17ROCPRIM_400000_NS6detail17trampoline_kernelINS0_14default_configENS1_35radix_sort_onesweep_config_selectorIjN6thrust23THRUST_200600_302600_NS5tupleIffNS6_9null_typeES8_S8_S8_S8_S8_S8_S8_EEEEZZNS1_29radix_sort_onesweep_iterationIS3_Lb0ENS6_6detail15normal_iteratorINS6_10device_ptrIjEEEESG_NSD_INSE_IS9_EEEESI_jNS0_19identity_decomposerENS1_16block_id_wrapperIjLb0EEEEE10hipError_tT1_PNSt15iterator_traitsISN_E10value_typeET2_T3_PNSO_IST_E10value_typeET4_T5_PSY_SZ_PNS1_23onesweep_lookback_stateEbbT6_jjT7_P12ihipStream_tbENKUlT_T0_SN_SS_E_clISG_PjSI_PS9_EEDaS16_S17_SN_SS_EUlS16_E_NS1_11comp_targetILNS1_3genE9ELNS1_11target_archE1100ELNS1_3gpuE3ELNS1_3repE0EEENS1_47radix_sort_onesweep_sort_config_static_selectorELNS0_4arch9wavefront6targetE0EEEvSN_,comdat
	.protected	_ZN7rocprim17ROCPRIM_400000_NS6detail17trampoline_kernelINS0_14default_configENS1_35radix_sort_onesweep_config_selectorIjN6thrust23THRUST_200600_302600_NS5tupleIffNS6_9null_typeES8_S8_S8_S8_S8_S8_S8_EEEEZZNS1_29radix_sort_onesweep_iterationIS3_Lb0ENS6_6detail15normal_iteratorINS6_10device_ptrIjEEEESG_NSD_INSE_IS9_EEEESI_jNS0_19identity_decomposerENS1_16block_id_wrapperIjLb0EEEEE10hipError_tT1_PNSt15iterator_traitsISN_E10value_typeET2_T3_PNSO_IST_E10value_typeET4_T5_PSY_SZ_PNS1_23onesweep_lookback_stateEbbT6_jjT7_P12ihipStream_tbENKUlT_T0_SN_SS_E_clISG_PjSI_PS9_EEDaS16_S17_SN_SS_EUlS16_E_NS1_11comp_targetILNS1_3genE9ELNS1_11target_archE1100ELNS1_3gpuE3ELNS1_3repE0EEENS1_47radix_sort_onesweep_sort_config_static_selectorELNS0_4arch9wavefront6targetE0EEEvSN_ ; -- Begin function _ZN7rocprim17ROCPRIM_400000_NS6detail17trampoline_kernelINS0_14default_configENS1_35radix_sort_onesweep_config_selectorIjN6thrust23THRUST_200600_302600_NS5tupleIffNS6_9null_typeES8_S8_S8_S8_S8_S8_S8_EEEEZZNS1_29radix_sort_onesweep_iterationIS3_Lb0ENS6_6detail15normal_iteratorINS6_10device_ptrIjEEEESG_NSD_INSE_IS9_EEEESI_jNS0_19identity_decomposerENS1_16block_id_wrapperIjLb0EEEEE10hipError_tT1_PNSt15iterator_traitsISN_E10value_typeET2_T3_PNSO_IST_E10value_typeET4_T5_PSY_SZ_PNS1_23onesweep_lookback_stateEbbT6_jjT7_P12ihipStream_tbENKUlT_T0_SN_SS_E_clISG_PjSI_PS9_EEDaS16_S17_SN_SS_EUlS16_E_NS1_11comp_targetILNS1_3genE9ELNS1_11target_archE1100ELNS1_3gpuE3ELNS1_3repE0EEENS1_47radix_sort_onesweep_sort_config_static_selectorELNS0_4arch9wavefront6targetE0EEEvSN_
	.globl	_ZN7rocprim17ROCPRIM_400000_NS6detail17trampoline_kernelINS0_14default_configENS1_35radix_sort_onesweep_config_selectorIjN6thrust23THRUST_200600_302600_NS5tupleIffNS6_9null_typeES8_S8_S8_S8_S8_S8_S8_EEEEZZNS1_29radix_sort_onesweep_iterationIS3_Lb0ENS6_6detail15normal_iteratorINS6_10device_ptrIjEEEESG_NSD_INSE_IS9_EEEESI_jNS0_19identity_decomposerENS1_16block_id_wrapperIjLb0EEEEE10hipError_tT1_PNSt15iterator_traitsISN_E10value_typeET2_T3_PNSO_IST_E10value_typeET4_T5_PSY_SZ_PNS1_23onesweep_lookback_stateEbbT6_jjT7_P12ihipStream_tbENKUlT_T0_SN_SS_E_clISG_PjSI_PS9_EEDaS16_S17_SN_SS_EUlS16_E_NS1_11comp_targetILNS1_3genE9ELNS1_11target_archE1100ELNS1_3gpuE3ELNS1_3repE0EEENS1_47radix_sort_onesweep_sort_config_static_selectorELNS0_4arch9wavefront6targetE0EEEvSN_
	.p2align	8
	.type	_ZN7rocprim17ROCPRIM_400000_NS6detail17trampoline_kernelINS0_14default_configENS1_35radix_sort_onesweep_config_selectorIjN6thrust23THRUST_200600_302600_NS5tupleIffNS6_9null_typeES8_S8_S8_S8_S8_S8_S8_EEEEZZNS1_29radix_sort_onesweep_iterationIS3_Lb0ENS6_6detail15normal_iteratorINS6_10device_ptrIjEEEESG_NSD_INSE_IS9_EEEESI_jNS0_19identity_decomposerENS1_16block_id_wrapperIjLb0EEEEE10hipError_tT1_PNSt15iterator_traitsISN_E10value_typeET2_T3_PNSO_IST_E10value_typeET4_T5_PSY_SZ_PNS1_23onesweep_lookback_stateEbbT6_jjT7_P12ihipStream_tbENKUlT_T0_SN_SS_E_clISG_PjSI_PS9_EEDaS16_S17_SN_SS_EUlS16_E_NS1_11comp_targetILNS1_3genE9ELNS1_11target_archE1100ELNS1_3gpuE3ELNS1_3repE0EEENS1_47radix_sort_onesweep_sort_config_static_selectorELNS0_4arch9wavefront6targetE0EEEvSN_,@function
_ZN7rocprim17ROCPRIM_400000_NS6detail17trampoline_kernelINS0_14default_configENS1_35radix_sort_onesweep_config_selectorIjN6thrust23THRUST_200600_302600_NS5tupleIffNS6_9null_typeES8_S8_S8_S8_S8_S8_S8_EEEEZZNS1_29radix_sort_onesweep_iterationIS3_Lb0ENS6_6detail15normal_iteratorINS6_10device_ptrIjEEEESG_NSD_INSE_IS9_EEEESI_jNS0_19identity_decomposerENS1_16block_id_wrapperIjLb0EEEEE10hipError_tT1_PNSt15iterator_traitsISN_E10value_typeET2_T3_PNSO_IST_E10value_typeET4_T5_PSY_SZ_PNS1_23onesweep_lookback_stateEbbT6_jjT7_P12ihipStream_tbENKUlT_T0_SN_SS_E_clISG_PjSI_PS9_EEDaS16_S17_SN_SS_EUlS16_E_NS1_11comp_targetILNS1_3genE9ELNS1_11target_archE1100ELNS1_3gpuE3ELNS1_3repE0EEENS1_47radix_sort_onesweep_sort_config_static_selectorELNS0_4arch9wavefront6targetE0EEEvSN_: ; @_ZN7rocprim17ROCPRIM_400000_NS6detail17trampoline_kernelINS0_14default_configENS1_35radix_sort_onesweep_config_selectorIjN6thrust23THRUST_200600_302600_NS5tupleIffNS6_9null_typeES8_S8_S8_S8_S8_S8_S8_EEEEZZNS1_29radix_sort_onesweep_iterationIS3_Lb0ENS6_6detail15normal_iteratorINS6_10device_ptrIjEEEESG_NSD_INSE_IS9_EEEESI_jNS0_19identity_decomposerENS1_16block_id_wrapperIjLb0EEEEE10hipError_tT1_PNSt15iterator_traitsISN_E10value_typeET2_T3_PNSO_IST_E10value_typeET4_T5_PSY_SZ_PNS1_23onesweep_lookback_stateEbbT6_jjT7_P12ihipStream_tbENKUlT_T0_SN_SS_E_clISG_PjSI_PS9_EEDaS16_S17_SN_SS_EUlS16_E_NS1_11comp_targetILNS1_3genE9ELNS1_11target_archE1100ELNS1_3gpuE3ELNS1_3repE0EEENS1_47radix_sort_onesweep_sort_config_static_selectorELNS0_4arch9wavefront6targetE0EEEvSN_
; %bb.0:
	.section	.rodata,"a",@progbits
	.p2align	6, 0x0
	.amdhsa_kernel _ZN7rocprim17ROCPRIM_400000_NS6detail17trampoline_kernelINS0_14default_configENS1_35radix_sort_onesweep_config_selectorIjN6thrust23THRUST_200600_302600_NS5tupleIffNS6_9null_typeES8_S8_S8_S8_S8_S8_S8_EEEEZZNS1_29radix_sort_onesweep_iterationIS3_Lb0ENS6_6detail15normal_iteratorINS6_10device_ptrIjEEEESG_NSD_INSE_IS9_EEEESI_jNS0_19identity_decomposerENS1_16block_id_wrapperIjLb0EEEEE10hipError_tT1_PNSt15iterator_traitsISN_E10value_typeET2_T3_PNSO_IST_E10value_typeET4_T5_PSY_SZ_PNS1_23onesweep_lookback_stateEbbT6_jjT7_P12ihipStream_tbENKUlT_T0_SN_SS_E_clISG_PjSI_PS9_EEDaS16_S17_SN_SS_EUlS16_E_NS1_11comp_targetILNS1_3genE9ELNS1_11target_archE1100ELNS1_3gpuE3ELNS1_3repE0EEENS1_47radix_sort_onesweep_sort_config_static_selectorELNS0_4arch9wavefront6targetE0EEEvSN_
		.amdhsa_group_segment_fixed_size 0
		.amdhsa_private_segment_fixed_size 0
		.amdhsa_kernarg_size 88
		.amdhsa_user_sgpr_count 6
		.amdhsa_user_sgpr_private_segment_buffer 1
		.amdhsa_user_sgpr_dispatch_ptr 0
		.amdhsa_user_sgpr_queue_ptr 0
		.amdhsa_user_sgpr_kernarg_segment_ptr 1
		.amdhsa_user_sgpr_dispatch_id 0
		.amdhsa_user_sgpr_flat_scratch_init 0
		.amdhsa_user_sgpr_private_segment_size 0
		.amdhsa_wavefront_size32 1
		.amdhsa_uses_dynamic_stack 0
		.amdhsa_system_sgpr_private_segment_wavefront_offset 0
		.amdhsa_system_sgpr_workgroup_id_x 1
		.amdhsa_system_sgpr_workgroup_id_y 0
		.amdhsa_system_sgpr_workgroup_id_z 0
		.amdhsa_system_sgpr_workgroup_info 0
		.amdhsa_system_vgpr_workitem_id 0
		.amdhsa_next_free_vgpr 1
		.amdhsa_next_free_sgpr 1
		.amdhsa_reserve_vcc 0
		.amdhsa_reserve_flat_scratch 0
		.amdhsa_float_round_mode_32 0
		.amdhsa_float_round_mode_16_64 0
		.amdhsa_float_denorm_mode_32 3
		.amdhsa_float_denorm_mode_16_64 3
		.amdhsa_dx10_clamp 1
		.amdhsa_ieee_mode 1
		.amdhsa_fp16_overflow 0
		.amdhsa_workgroup_processor_mode 1
		.amdhsa_memory_ordered 1
		.amdhsa_forward_progress 1
		.amdhsa_shared_vgpr_count 0
		.amdhsa_exception_fp_ieee_invalid_op 0
		.amdhsa_exception_fp_denorm_src 0
		.amdhsa_exception_fp_ieee_div_zero 0
		.amdhsa_exception_fp_ieee_overflow 0
		.amdhsa_exception_fp_ieee_underflow 0
		.amdhsa_exception_fp_ieee_inexact 0
		.amdhsa_exception_int_div_zero 0
	.end_amdhsa_kernel
	.section	.text._ZN7rocprim17ROCPRIM_400000_NS6detail17trampoline_kernelINS0_14default_configENS1_35radix_sort_onesweep_config_selectorIjN6thrust23THRUST_200600_302600_NS5tupleIffNS6_9null_typeES8_S8_S8_S8_S8_S8_S8_EEEEZZNS1_29radix_sort_onesweep_iterationIS3_Lb0ENS6_6detail15normal_iteratorINS6_10device_ptrIjEEEESG_NSD_INSE_IS9_EEEESI_jNS0_19identity_decomposerENS1_16block_id_wrapperIjLb0EEEEE10hipError_tT1_PNSt15iterator_traitsISN_E10value_typeET2_T3_PNSO_IST_E10value_typeET4_T5_PSY_SZ_PNS1_23onesweep_lookback_stateEbbT6_jjT7_P12ihipStream_tbENKUlT_T0_SN_SS_E_clISG_PjSI_PS9_EEDaS16_S17_SN_SS_EUlS16_E_NS1_11comp_targetILNS1_3genE9ELNS1_11target_archE1100ELNS1_3gpuE3ELNS1_3repE0EEENS1_47radix_sort_onesweep_sort_config_static_selectorELNS0_4arch9wavefront6targetE0EEEvSN_,"axG",@progbits,_ZN7rocprim17ROCPRIM_400000_NS6detail17trampoline_kernelINS0_14default_configENS1_35radix_sort_onesweep_config_selectorIjN6thrust23THRUST_200600_302600_NS5tupleIffNS6_9null_typeES8_S8_S8_S8_S8_S8_S8_EEEEZZNS1_29radix_sort_onesweep_iterationIS3_Lb0ENS6_6detail15normal_iteratorINS6_10device_ptrIjEEEESG_NSD_INSE_IS9_EEEESI_jNS0_19identity_decomposerENS1_16block_id_wrapperIjLb0EEEEE10hipError_tT1_PNSt15iterator_traitsISN_E10value_typeET2_T3_PNSO_IST_E10value_typeET4_T5_PSY_SZ_PNS1_23onesweep_lookback_stateEbbT6_jjT7_P12ihipStream_tbENKUlT_T0_SN_SS_E_clISG_PjSI_PS9_EEDaS16_S17_SN_SS_EUlS16_E_NS1_11comp_targetILNS1_3genE9ELNS1_11target_archE1100ELNS1_3gpuE3ELNS1_3repE0EEENS1_47radix_sort_onesweep_sort_config_static_selectorELNS0_4arch9wavefront6targetE0EEEvSN_,comdat
.Lfunc_end218:
	.size	_ZN7rocprim17ROCPRIM_400000_NS6detail17trampoline_kernelINS0_14default_configENS1_35radix_sort_onesweep_config_selectorIjN6thrust23THRUST_200600_302600_NS5tupleIffNS6_9null_typeES8_S8_S8_S8_S8_S8_S8_EEEEZZNS1_29radix_sort_onesweep_iterationIS3_Lb0ENS6_6detail15normal_iteratorINS6_10device_ptrIjEEEESG_NSD_INSE_IS9_EEEESI_jNS0_19identity_decomposerENS1_16block_id_wrapperIjLb0EEEEE10hipError_tT1_PNSt15iterator_traitsISN_E10value_typeET2_T3_PNSO_IST_E10value_typeET4_T5_PSY_SZ_PNS1_23onesweep_lookback_stateEbbT6_jjT7_P12ihipStream_tbENKUlT_T0_SN_SS_E_clISG_PjSI_PS9_EEDaS16_S17_SN_SS_EUlS16_E_NS1_11comp_targetILNS1_3genE9ELNS1_11target_archE1100ELNS1_3gpuE3ELNS1_3repE0EEENS1_47radix_sort_onesweep_sort_config_static_selectorELNS0_4arch9wavefront6targetE0EEEvSN_, .Lfunc_end218-_ZN7rocprim17ROCPRIM_400000_NS6detail17trampoline_kernelINS0_14default_configENS1_35radix_sort_onesweep_config_selectorIjN6thrust23THRUST_200600_302600_NS5tupleIffNS6_9null_typeES8_S8_S8_S8_S8_S8_S8_EEEEZZNS1_29radix_sort_onesweep_iterationIS3_Lb0ENS6_6detail15normal_iteratorINS6_10device_ptrIjEEEESG_NSD_INSE_IS9_EEEESI_jNS0_19identity_decomposerENS1_16block_id_wrapperIjLb0EEEEE10hipError_tT1_PNSt15iterator_traitsISN_E10value_typeET2_T3_PNSO_IST_E10value_typeET4_T5_PSY_SZ_PNS1_23onesweep_lookback_stateEbbT6_jjT7_P12ihipStream_tbENKUlT_T0_SN_SS_E_clISG_PjSI_PS9_EEDaS16_S17_SN_SS_EUlS16_E_NS1_11comp_targetILNS1_3genE9ELNS1_11target_archE1100ELNS1_3gpuE3ELNS1_3repE0EEENS1_47radix_sort_onesweep_sort_config_static_selectorELNS0_4arch9wavefront6targetE0EEEvSN_
                                        ; -- End function
	.set _ZN7rocprim17ROCPRIM_400000_NS6detail17trampoline_kernelINS0_14default_configENS1_35radix_sort_onesweep_config_selectorIjN6thrust23THRUST_200600_302600_NS5tupleIffNS6_9null_typeES8_S8_S8_S8_S8_S8_S8_EEEEZZNS1_29radix_sort_onesweep_iterationIS3_Lb0ENS6_6detail15normal_iteratorINS6_10device_ptrIjEEEESG_NSD_INSE_IS9_EEEESI_jNS0_19identity_decomposerENS1_16block_id_wrapperIjLb0EEEEE10hipError_tT1_PNSt15iterator_traitsISN_E10value_typeET2_T3_PNSO_IST_E10value_typeET4_T5_PSY_SZ_PNS1_23onesweep_lookback_stateEbbT6_jjT7_P12ihipStream_tbENKUlT_T0_SN_SS_E_clISG_PjSI_PS9_EEDaS16_S17_SN_SS_EUlS16_E_NS1_11comp_targetILNS1_3genE9ELNS1_11target_archE1100ELNS1_3gpuE3ELNS1_3repE0EEENS1_47radix_sort_onesweep_sort_config_static_selectorELNS0_4arch9wavefront6targetE0EEEvSN_.num_vgpr, 0
	.set _ZN7rocprim17ROCPRIM_400000_NS6detail17trampoline_kernelINS0_14default_configENS1_35radix_sort_onesweep_config_selectorIjN6thrust23THRUST_200600_302600_NS5tupleIffNS6_9null_typeES8_S8_S8_S8_S8_S8_S8_EEEEZZNS1_29radix_sort_onesweep_iterationIS3_Lb0ENS6_6detail15normal_iteratorINS6_10device_ptrIjEEEESG_NSD_INSE_IS9_EEEESI_jNS0_19identity_decomposerENS1_16block_id_wrapperIjLb0EEEEE10hipError_tT1_PNSt15iterator_traitsISN_E10value_typeET2_T3_PNSO_IST_E10value_typeET4_T5_PSY_SZ_PNS1_23onesweep_lookback_stateEbbT6_jjT7_P12ihipStream_tbENKUlT_T0_SN_SS_E_clISG_PjSI_PS9_EEDaS16_S17_SN_SS_EUlS16_E_NS1_11comp_targetILNS1_3genE9ELNS1_11target_archE1100ELNS1_3gpuE3ELNS1_3repE0EEENS1_47radix_sort_onesweep_sort_config_static_selectorELNS0_4arch9wavefront6targetE0EEEvSN_.num_agpr, 0
	.set _ZN7rocprim17ROCPRIM_400000_NS6detail17trampoline_kernelINS0_14default_configENS1_35radix_sort_onesweep_config_selectorIjN6thrust23THRUST_200600_302600_NS5tupleIffNS6_9null_typeES8_S8_S8_S8_S8_S8_S8_EEEEZZNS1_29radix_sort_onesweep_iterationIS3_Lb0ENS6_6detail15normal_iteratorINS6_10device_ptrIjEEEESG_NSD_INSE_IS9_EEEESI_jNS0_19identity_decomposerENS1_16block_id_wrapperIjLb0EEEEE10hipError_tT1_PNSt15iterator_traitsISN_E10value_typeET2_T3_PNSO_IST_E10value_typeET4_T5_PSY_SZ_PNS1_23onesweep_lookback_stateEbbT6_jjT7_P12ihipStream_tbENKUlT_T0_SN_SS_E_clISG_PjSI_PS9_EEDaS16_S17_SN_SS_EUlS16_E_NS1_11comp_targetILNS1_3genE9ELNS1_11target_archE1100ELNS1_3gpuE3ELNS1_3repE0EEENS1_47radix_sort_onesweep_sort_config_static_selectorELNS0_4arch9wavefront6targetE0EEEvSN_.numbered_sgpr, 0
	.set _ZN7rocprim17ROCPRIM_400000_NS6detail17trampoline_kernelINS0_14default_configENS1_35radix_sort_onesweep_config_selectorIjN6thrust23THRUST_200600_302600_NS5tupleIffNS6_9null_typeES8_S8_S8_S8_S8_S8_S8_EEEEZZNS1_29radix_sort_onesweep_iterationIS3_Lb0ENS6_6detail15normal_iteratorINS6_10device_ptrIjEEEESG_NSD_INSE_IS9_EEEESI_jNS0_19identity_decomposerENS1_16block_id_wrapperIjLb0EEEEE10hipError_tT1_PNSt15iterator_traitsISN_E10value_typeET2_T3_PNSO_IST_E10value_typeET4_T5_PSY_SZ_PNS1_23onesweep_lookback_stateEbbT6_jjT7_P12ihipStream_tbENKUlT_T0_SN_SS_E_clISG_PjSI_PS9_EEDaS16_S17_SN_SS_EUlS16_E_NS1_11comp_targetILNS1_3genE9ELNS1_11target_archE1100ELNS1_3gpuE3ELNS1_3repE0EEENS1_47radix_sort_onesweep_sort_config_static_selectorELNS0_4arch9wavefront6targetE0EEEvSN_.num_named_barrier, 0
	.set _ZN7rocprim17ROCPRIM_400000_NS6detail17trampoline_kernelINS0_14default_configENS1_35radix_sort_onesweep_config_selectorIjN6thrust23THRUST_200600_302600_NS5tupleIffNS6_9null_typeES8_S8_S8_S8_S8_S8_S8_EEEEZZNS1_29radix_sort_onesweep_iterationIS3_Lb0ENS6_6detail15normal_iteratorINS6_10device_ptrIjEEEESG_NSD_INSE_IS9_EEEESI_jNS0_19identity_decomposerENS1_16block_id_wrapperIjLb0EEEEE10hipError_tT1_PNSt15iterator_traitsISN_E10value_typeET2_T3_PNSO_IST_E10value_typeET4_T5_PSY_SZ_PNS1_23onesweep_lookback_stateEbbT6_jjT7_P12ihipStream_tbENKUlT_T0_SN_SS_E_clISG_PjSI_PS9_EEDaS16_S17_SN_SS_EUlS16_E_NS1_11comp_targetILNS1_3genE9ELNS1_11target_archE1100ELNS1_3gpuE3ELNS1_3repE0EEENS1_47radix_sort_onesweep_sort_config_static_selectorELNS0_4arch9wavefront6targetE0EEEvSN_.private_seg_size, 0
	.set _ZN7rocprim17ROCPRIM_400000_NS6detail17trampoline_kernelINS0_14default_configENS1_35radix_sort_onesweep_config_selectorIjN6thrust23THRUST_200600_302600_NS5tupleIffNS6_9null_typeES8_S8_S8_S8_S8_S8_S8_EEEEZZNS1_29radix_sort_onesweep_iterationIS3_Lb0ENS6_6detail15normal_iteratorINS6_10device_ptrIjEEEESG_NSD_INSE_IS9_EEEESI_jNS0_19identity_decomposerENS1_16block_id_wrapperIjLb0EEEEE10hipError_tT1_PNSt15iterator_traitsISN_E10value_typeET2_T3_PNSO_IST_E10value_typeET4_T5_PSY_SZ_PNS1_23onesweep_lookback_stateEbbT6_jjT7_P12ihipStream_tbENKUlT_T0_SN_SS_E_clISG_PjSI_PS9_EEDaS16_S17_SN_SS_EUlS16_E_NS1_11comp_targetILNS1_3genE9ELNS1_11target_archE1100ELNS1_3gpuE3ELNS1_3repE0EEENS1_47radix_sort_onesweep_sort_config_static_selectorELNS0_4arch9wavefront6targetE0EEEvSN_.uses_vcc, 0
	.set _ZN7rocprim17ROCPRIM_400000_NS6detail17trampoline_kernelINS0_14default_configENS1_35radix_sort_onesweep_config_selectorIjN6thrust23THRUST_200600_302600_NS5tupleIffNS6_9null_typeES8_S8_S8_S8_S8_S8_S8_EEEEZZNS1_29radix_sort_onesweep_iterationIS3_Lb0ENS6_6detail15normal_iteratorINS6_10device_ptrIjEEEESG_NSD_INSE_IS9_EEEESI_jNS0_19identity_decomposerENS1_16block_id_wrapperIjLb0EEEEE10hipError_tT1_PNSt15iterator_traitsISN_E10value_typeET2_T3_PNSO_IST_E10value_typeET4_T5_PSY_SZ_PNS1_23onesweep_lookback_stateEbbT6_jjT7_P12ihipStream_tbENKUlT_T0_SN_SS_E_clISG_PjSI_PS9_EEDaS16_S17_SN_SS_EUlS16_E_NS1_11comp_targetILNS1_3genE9ELNS1_11target_archE1100ELNS1_3gpuE3ELNS1_3repE0EEENS1_47radix_sort_onesweep_sort_config_static_selectorELNS0_4arch9wavefront6targetE0EEEvSN_.uses_flat_scratch, 0
	.set _ZN7rocprim17ROCPRIM_400000_NS6detail17trampoline_kernelINS0_14default_configENS1_35radix_sort_onesweep_config_selectorIjN6thrust23THRUST_200600_302600_NS5tupleIffNS6_9null_typeES8_S8_S8_S8_S8_S8_S8_EEEEZZNS1_29radix_sort_onesweep_iterationIS3_Lb0ENS6_6detail15normal_iteratorINS6_10device_ptrIjEEEESG_NSD_INSE_IS9_EEEESI_jNS0_19identity_decomposerENS1_16block_id_wrapperIjLb0EEEEE10hipError_tT1_PNSt15iterator_traitsISN_E10value_typeET2_T3_PNSO_IST_E10value_typeET4_T5_PSY_SZ_PNS1_23onesweep_lookback_stateEbbT6_jjT7_P12ihipStream_tbENKUlT_T0_SN_SS_E_clISG_PjSI_PS9_EEDaS16_S17_SN_SS_EUlS16_E_NS1_11comp_targetILNS1_3genE9ELNS1_11target_archE1100ELNS1_3gpuE3ELNS1_3repE0EEENS1_47radix_sort_onesweep_sort_config_static_selectorELNS0_4arch9wavefront6targetE0EEEvSN_.has_dyn_sized_stack, 0
	.set _ZN7rocprim17ROCPRIM_400000_NS6detail17trampoline_kernelINS0_14default_configENS1_35radix_sort_onesweep_config_selectorIjN6thrust23THRUST_200600_302600_NS5tupleIffNS6_9null_typeES8_S8_S8_S8_S8_S8_S8_EEEEZZNS1_29radix_sort_onesweep_iterationIS3_Lb0ENS6_6detail15normal_iteratorINS6_10device_ptrIjEEEESG_NSD_INSE_IS9_EEEESI_jNS0_19identity_decomposerENS1_16block_id_wrapperIjLb0EEEEE10hipError_tT1_PNSt15iterator_traitsISN_E10value_typeET2_T3_PNSO_IST_E10value_typeET4_T5_PSY_SZ_PNS1_23onesweep_lookback_stateEbbT6_jjT7_P12ihipStream_tbENKUlT_T0_SN_SS_E_clISG_PjSI_PS9_EEDaS16_S17_SN_SS_EUlS16_E_NS1_11comp_targetILNS1_3genE9ELNS1_11target_archE1100ELNS1_3gpuE3ELNS1_3repE0EEENS1_47radix_sort_onesweep_sort_config_static_selectorELNS0_4arch9wavefront6targetE0EEEvSN_.has_recursion, 0
	.set _ZN7rocprim17ROCPRIM_400000_NS6detail17trampoline_kernelINS0_14default_configENS1_35radix_sort_onesweep_config_selectorIjN6thrust23THRUST_200600_302600_NS5tupleIffNS6_9null_typeES8_S8_S8_S8_S8_S8_S8_EEEEZZNS1_29radix_sort_onesweep_iterationIS3_Lb0ENS6_6detail15normal_iteratorINS6_10device_ptrIjEEEESG_NSD_INSE_IS9_EEEESI_jNS0_19identity_decomposerENS1_16block_id_wrapperIjLb0EEEEE10hipError_tT1_PNSt15iterator_traitsISN_E10value_typeET2_T3_PNSO_IST_E10value_typeET4_T5_PSY_SZ_PNS1_23onesweep_lookback_stateEbbT6_jjT7_P12ihipStream_tbENKUlT_T0_SN_SS_E_clISG_PjSI_PS9_EEDaS16_S17_SN_SS_EUlS16_E_NS1_11comp_targetILNS1_3genE9ELNS1_11target_archE1100ELNS1_3gpuE3ELNS1_3repE0EEENS1_47radix_sort_onesweep_sort_config_static_selectorELNS0_4arch9wavefront6targetE0EEEvSN_.has_indirect_call, 0
	.section	.AMDGPU.csdata,"",@progbits
; Kernel info:
; codeLenInByte = 0
; TotalNumSgprs: 0
; NumVgprs: 0
; ScratchSize: 0
; MemoryBound: 0
; FloatMode: 240
; IeeeMode: 1
; LDSByteSize: 0 bytes/workgroup (compile time only)
; SGPRBlocks: 0
; VGPRBlocks: 0
; NumSGPRsForWavesPerEU: 1
; NumVGPRsForWavesPerEU: 1
; Occupancy: 16
; WaveLimiterHint : 0
; COMPUTE_PGM_RSRC2:SCRATCH_EN: 0
; COMPUTE_PGM_RSRC2:USER_SGPR: 6
; COMPUTE_PGM_RSRC2:TRAP_HANDLER: 0
; COMPUTE_PGM_RSRC2:TGID_X_EN: 1
; COMPUTE_PGM_RSRC2:TGID_Y_EN: 0
; COMPUTE_PGM_RSRC2:TGID_Z_EN: 0
; COMPUTE_PGM_RSRC2:TIDIG_COMP_CNT: 0
	.section	.text._ZN7rocprim17ROCPRIM_400000_NS6detail17trampoline_kernelINS0_14default_configENS1_35radix_sort_onesweep_config_selectorIjN6thrust23THRUST_200600_302600_NS5tupleIffNS6_9null_typeES8_S8_S8_S8_S8_S8_S8_EEEEZZNS1_29radix_sort_onesweep_iterationIS3_Lb0ENS6_6detail15normal_iteratorINS6_10device_ptrIjEEEESG_NSD_INSE_IS9_EEEESI_jNS0_19identity_decomposerENS1_16block_id_wrapperIjLb0EEEEE10hipError_tT1_PNSt15iterator_traitsISN_E10value_typeET2_T3_PNSO_IST_E10value_typeET4_T5_PSY_SZ_PNS1_23onesweep_lookback_stateEbbT6_jjT7_P12ihipStream_tbENKUlT_T0_SN_SS_E_clISG_PjSI_PS9_EEDaS16_S17_SN_SS_EUlS16_E_NS1_11comp_targetILNS1_3genE8ELNS1_11target_archE1030ELNS1_3gpuE2ELNS1_3repE0EEENS1_47radix_sort_onesweep_sort_config_static_selectorELNS0_4arch9wavefront6targetE0EEEvSN_,"axG",@progbits,_ZN7rocprim17ROCPRIM_400000_NS6detail17trampoline_kernelINS0_14default_configENS1_35radix_sort_onesweep_config_selectorIjN6thrust23THRUST_200600_302600_NS5tupleIffNS6_9null_typeES8_S8_S8_S8_S8_S8_S8_EEEEZZNS1_29radix_sort_onesweep_iterationIS3_Lb0ENS6_6detail15normal_iteratorINS6_10device_ptrIjEEEESG_NSD_INSE_IS9_EEEESI_jNS0_19identity_decomposerENS1_16block_id_wrapperIjLb0EEEEE10hipError_tT1_PNSt15iterator_traitsISN_E10value_typeET2_T3_PNSO_IST_E10value_typeET4_T5_PSY_SZ_PNS1_23onesweep_lookback_stateEbbT6_jjT7_P12ihipStream_tbENKUlT_T0_SN_SS_E_clISG_PjSI_PS9_EEDaS16_S17_SN_SS_EUlS16_E_NS1_11comp_targetILNS1_3genE8ELNS1_11target_archE1030ELNS1_3gpuE2ELNS1_3repE0EEENS1_47radix_sort_onesweep_sort_config_static_selectorELNS0_4arch9wavefront6targetE0EEEvSN_,comdat
	.protected	_ZN7rocprim17ROCPRIM_400000_NS6detail17trampoline_kernelINS0_14default_configENS1_35radix_sort_onesweep_config_selectorIjN6thrust23THRUST_200600_302600_NS5tupleIffNS6_9null_typeES8_S8_S8_S8_S8_S8_S8_EEEEZZNS1_29radix_sort_onesweep_iterationIS3_Lb0ENS6_6detail15normal_iteratorINS6_10device_ptrIjEEEESG_NSD_INSE_IS9_EEEESI_jNS0_19identity_decomposerENS1_16block_id_wrapperIjLb0EEEEE10hipError_tT1_PNSt15iterator_traitsISN_E10value_typeET2_T3_PNSO_IST_E10value_typeET4_T5_PSY_SZ_PNS1_23onesweep_lookback_stateEbbT6_jjT7_P12ihipStream_tbENKUlT_T0_SN_SS_E_clISG_PjSI_PS9_EEDaS16_S17_SN_SS_EUlS16_E_NS1_11comp_targetILNS1_3genE8ELNS1_11target_archE1030ELNS1_3gpuE2ELNS1_3repE0EEENS1_47radix_sort_onesweep_sort_config_static_selectorELNS0_4arch9wavefront6targetE0EEEvSN_ ; -- Begin function _ZN7rocprim17ROCPRIM_400000_NS6detail17trampoline_kernelINS0_14default_configENS1_35radix_sort_onesweep_config_selectorIjN6thrust23THRUST_200600_302600_NS5tupleIffNS6_9null_typeES8_S8_S8_S8_S8_S8_S8_EEEEZZNS1_29radix_sort_onesweep_iterationIS3_Lb0ENS6_6detail15normal_iteratorINS6_10device_ptrIjEEEESG_NSD_INSE_IS9_EEEESI_jNS0_19identity_decomposerENS1_16block_id_wrapperIjLb0EEEEE10hipError_tT1_PNSt15iterator_traitsISN_E10value_typeET2_T3_PNSO_IST_E10value_typeET4_T5_PSY_SZ_PNS1_23onesweep_lookback_stateEbbT6_jjT7_P12ihipStream_tbENKUlT_T0_SN_SS_E_clISG_PjSI_PS9_EEDaS16_S17_SN_SS_EUlS16_E_NS1_11comp_targetILNS1_3genE8ELNS1_11target_archE1030ELNS1_3gpuE2ELNS1_3repE0EEENS1_47radix_sort_onesweep_sort_config_static_selectorELNS0_4arch9wavefront6targetE0EEEvSN_
	.globl	_ZN7rocprim17ROCPRIM_400000_NS6detail17trampoline_kernelINS0_14default_configENS1_35radix_sort_onesweep_config_selectorIjN6thrust23THRUST_200600_302600_NS5tupleIffNS6_9null_typeES8_S8_S8_S8_S8_S8_S8_EEEEZZNS1_29radix_sort_onesweep_iterationIS3_Lb0ENS6_6detail15normal_iteratorINS6_10device_ptrIjEEEESG_NSD_INSE_IS9_EEEESI_jNS0_19identity_decomposerENS1_16block_id_wrapperIjLb0EEEEE10hipError_tT1_PNSt15iterator_traitsISN_E10value_typeET2_T3_PNSO_IST_E10value_typeET4_T5_PSY_SZ_PNS1_23onesweep_lookback_stateEbbT6_jjT7_P12ihipStream_tbENKUlT_T0_SN_SS_E_clISG_PjSI_PS9_EEDaS16_S17_SN_SS_EUlS16_E_NS1_11comp_targetILNS1_3genE8ELNS1_11target_archE1030ELNS1_3gpuE2ELNS1_3repE0EEENS1_47radix_sort_onesweep_sort_config_static_selectorELNS0_4arch9wavefront6targetE0EEEvSN_
	.p2align	8
	.type	_ZN7rocprim17ROCPRIM_400000_NS6detail17trampoline_kernelINS0_14default_configENS1_35radix_sort_onesweep_config_selectorIjN6thrust23THRUST_200600_302600_NS5tupleIffNS6_9null_typeES8_S8_S8_S8_S8_S8_S8_EEEEZZNS1_29radix_sort_onesweep_iterationIS3_Lb0ENS6_6detail15normal_iteratorINS6_10device_ptrIjEEEESG_NSD_INSE_IS9_EEEESI_jNS0_19identity_decomposerENS1_16block_id_wrapperIjLb0EEEEE10hipError_tT1_PNSt15iterator_traitsISN_E10value_typeET2_T3_PNSO_IST_E10value_typeET4_T5_PSY_SZ_PNS1_23onesweep_lookback_stateEbbT6_jjT7_P12ihipStream_tbENKUlT_T0_SN_SS_E_clISG_PjSI_PS9_EEDaS16_S17_SN_SS_EUlS16_E_NS1_11comp_targetILNS1_3genE8ELNS1_11target_archE1030ELNS1_3gpuE2ELNS1_3repE0EEENS1_47radix_sort_onesweep_sort_config_static_selectorELNS0_4arch9wavefront6targetE0EEEvSN_,@function
_ZN7rocprim17ROCPRIM_400000_NS6detail17trampoline_kernelINS0_14default_configENS1_35radix_sort_onesweep_config_selectorIjN6thrust23THRUST_200600_302600_NS5tupleIffNS6_9null_typeES8_S8_S8_S8_S8_S8_S8_EEEEZZNS1_29radix_sort_onesweep_iterationIS3_Lb0ENS6_6detail15normal_iteratorINS6_10device_ptrIjEEEESG_NSD_INSE_IS9_EEEESI_jNS0_19identity_decomposerENS1_16block_id_wrapperIjLb0EEEEE10hipError_tT1_PNSt15iterator_traitsISN_E10value_typeET2_T3_PNSO_IST_E10value_typeET4_T5_PSY_SZ_PNS1_23onesweep_lookback_stateEbbT6_jjT7_P12ihipStream_tbENKUlT_T0_SN_SS_E_clISG_PjSI_PS9_EEDaS16_S17_SN_SS_EUlS16_E_NS1_11comp_targetILNS1_3genE8ELNS1_11target_archE1030ELNS1_3gpuE2ELNS1_3repE0EEENS1_47radix_sort_onesweep_sort_config_static_selectorELNS0_4arch9wavefront6targetE0EEEvSN_: ; @_ZN7rocprim17ROCPRIM_400000_NS6detail17trampoline_kernelINS0_14default_configENS1_35radix_sort_onesweep_config_selectorIjN6thrust23THRUST_200600_302600_NS5tupleIffNS6_9null_typeES8_S8_S8_S8_S8_S8_S8_EEEEZZNS1_29radix_sort_onesweep_iterationIS3_Lb0ENS6_6detail15normal_iteratorINS6_10device_ptrIjEEEESG_NSD_INSE_IS9_EEEESI_jNS0_19identity_decomposerENS1_16block_id_wrapperIjLb0EEEEE10hipError_tT1_PNSt15iterator_traitsISN_E10value_typeET2_T3_PNSO_IST_E10value_typeET4_T5_PSY_SZ_PNS1_23onesweep_lookback_stateEbbT6_jjT7_P12ihipStream_tbENKUlT_T0_SN_SS_E_clISG_PjSI_PS9_EEDaS16_S17_SN_SS_EUlS16_E_NS1_11comp_targetILNS1_3genE8ELNS1_11target_archE1030ELNS1_3gpuE2ELNS1_3repE0EEENS1_47radix_sort_onesweep_sort_config_static_selectorELNS0_4arch9wavefront6targetE0EEEvSN_
; %bb.0:
	s_clause 0x3
	s_load_dwordx4 s[28:31], s[4:5], 0x44
	s_load_dwordx8 s[16:23], s[4:5], 0x0
	s_load_dwordx4 s[24:27], s[4:5], 0x28
	s_load_dwordx2 s[14:15], s[4:5], 0x38
	v_mbcnt_lo_u32_b32 v18, -1, 0
	v_lshlrev_b32_e32 v17, 2, v0
	s_mov_b32 s0, -1
	s_waitcnt lgkmcnt(0)
	s_cmp_ge_u32 s6, s30
	s_cbranch_scc0 .LBB219_64
; %bb.1:
	s_load_dword s2, s[4:5], 0x20
	s_lshl_b32 s3, s30, 12
	s_lshl_b32 s30, s6, 12
	s_mov_b32 s31, 0
	v_and_b32_e32 v11, 0xf80, v17
	v_lshlrev_b32_e32 v3, 2, v18
	s_lshl_b64 s[0:1], s[30:31], 2
	v_mov_b32_e32 v12, -1
	v_mov_b32_e32 v13, -1
	v_lshlrev_b32_e32 v4, 2, v11
	v_or_b32_e32 v5, v18, v11
	s_waitcnt lgkmcnt(0)
	s_sub_i32 s33, s2, s3
	s_add_u32 s0, s16, s0
	s_addc_u32 s1, s17, s1
	v_add_co_u32 v3, s0, s0, v3
	v_add_co_ci_u32_e64 v6, null, s1, 0, s0
	v_cmp_gt_u32_e64 s1, s33, v5
	v_add_co_u32 v3, vcc_lo, v3, v4
	v_add_co_ci_u32_e64 v4, null, 0, v6, vcc_lo
	s_and_saveexec_b32 s0, s1
	s_cbranch_execz .LBB219_3
; %bb.2:
	global_load_dword v13, v[3:4], off
.LBB219_3:
	s_or_b32 exec_lo, exec_lo, s0
	v_or_b32_e32 v6, 32, v5
	v_cmp_gt_u32_e64 s2, s33, v6
	s_and_saveexec_b32 s0, s2
	s_cbranch_execz .LBB219_5
; %bb.4:
	global_load_dword v12, v[3:4], off offset:128
.LBB219_5:
	s_or_b32 exec_lo, exec_lo, s0
	v_or_b32_e32 v6, 64, v5
	v_mov_b32_e32 v14, -1
	v_mov_b32_e32 v15, -1
	v_cmp_gt_u32_e64 s0, s33, v6
	s_and_saveexec_b32 s3, s0
	s_cbranch_execz .LBB219_7
; %bb.6:
	global_load_dword v15, v[3:4], off offset:256
.LBB219_7:
	s_or_b32 exec_lo, exec_lo, s3
	v_or_b32_e32 v5, 0x60, v5
	v_cmp_gt_u32_e32 vcc_lo, s33, v5
	s_and_saveexec_b32 s3, vcc_lo
	s_cbranch_execz .LBB219_9
; %bb.8:
	global_load_dword v14, v[3:4], off offset:384
.LBB219_9:
	s_or_b32 exec_lo, exec_lo, s3
	s_clause 0x1
	s_load_dword s3, s[4:5], 0x64
	s_load_dword s13, s[4:5], 0x58
	s_add_u32 s7, s4, 0x58
	s_addc_u32 s9, s5, 0
	v_mov_b32_e32 v5, 0
	s_waitcnt vmcnt(0)
	v_lshrrev_b32_e32 v4, s28, v13
	s_waitcnt lgkmcnt(0)
	s_lshr_b32 s10, s3, 16
	s_cmp_lt_u32 s6, s13
	s_cselect_b32 s3, 12, 18
	s_add_u32 s8, s7, s3
	s_addc_u32 s9, s9, 0
	s_lshl_b32 s3, -1, s29
	global_load_ushort v3, v5, s[8:9]
	s_not_b32 s34, s3
	v_and_b32_e32 v6, s34, v4
	v_and_b32_e32 v4, 1, v6
	v_lshlrev_b32_e32 v7, 30, v6
	v_lshlrev_b32_e32 v8, 29, v6
	;; [unrolled: 1-line block ×4, first 2 shown]
	v_add_co_u32 v4, s3, v4, -1
	v_cndmask_b32_e64 v9, 0, 1, s3
	v_not_b32_e32 v20, v7
	v_cmp_gt_i32_e64 s7, 0, v7
	v_not_b32_e32 v7, v8
	v_lshlrev_b32_e32 v19, 26, v6
	v_cmp_ne_u32_e64 s3, 0, v9
	v_ashrrev_i32_e32 v20, 31, v20
	v_lshlrev_b32_e32 v9, 25, v6
	v_ashrrev_i32_e32 v7, 31, v7
	v_xor_b32_e32 v4, s3, v4
	v_cmp_gt_i32_e64 s3, 0, v8
	v_not_b32_e32 v8, v10
	v_xor_b32_e32 v20, s7, v20
	v_cmp_gt_i32_e64 s7, 0, v10
	v_and_b32_e32 v4, exec_lo, v4
	v_not_b32_e32 v10, v16
	v_ashrrev_i32_e32 v8, 31, v8
	v_xor_b32_e32 v7, s3, v7
	v_cmp_gt_i32_e64 s3, 0, v16
	v_and_b32_e32 v4, v4, v20
	v_not_b32_e32 v16, v19
	v_ashrrev_i32_e32 v10, 31, v10
	v_xor_b32_e32 v8, s7, v8
	v_cmp_gt_i32_e64 s7, 0, v19
	v_and_b32_e32 v4, v4, v7
	;; [unrolled: 5-line block ×3, first 2 shown]
	v_lshlrev_b32_e32 v8, 24, v6
	v_ashrrev_i32_e32 v7, 31, v7
	v_xor_b32_e32 v9, s7, v16
	v_mul_lo_u32 v6, 0x84, v6
	v_and_b32_e32 v4, v4, v10
	v_not_b32_e32 v10, v8
	v_xor_b32_e32 v7, s3, v7
	v_cmp_gt_i32_e64 s3, 0, v8
	v_mul_u32_u24_e32 v19, 36, v0
	v_and_b32_e32 v4, v4, v9
	v_mad_u32_u24 v9, v2, s10, v1
	v_ashrrev_i32_e32 v8, 31, v10
	ds_write2_b32 v19, v5, v5 offset0:32 offset1:33
	v_and_b32_e32 v7, v4, v7
	ds_write2_b32 v19, v5, v5 offset0:34 offset1:35
	ds_write2_b32 v19, v5, v5 offset0:36 offset1:37
	;; [unrolled: 1-line block ×3, first 2 shown]
	ds_write_b32 v19, v5 offset:160
	s_waitcnt vmcnt(0) lgkmcnt(0)
	s_barrier
	buffer_gl0_inv
	; wave barrier
	v_mad_u64_u32 v[3:4], null, v9, v3, v[0:1]
	v_xor_b32_e32 v4, s3, v8
	v_and_b32_e32 v4, v7, v4
	v_lshrrev_b32_e32 v3, 3, v3
	v_mbcnt_lo_u32_b32 v16, v4, 0
	v_and_b32_e32 v3, 0x1ffffffc, v3
	v_cmp_ne_u32_e64 s7, 0, v4
	v_cmp_eq_u32_e64 s3, 0, v16
	v_add_nc_u32_e32 v20, v3, v6
	s_and_b32 s7, s7, s3
	s_and_saveexec_b32 s3, s7
; %bb.10:
	v_bcnt_u32_b32 v4, v4, 0
	ds_write_b32 v20, v4 offset:128
; %bb.11:
	s_or_b32 exec_lo, exec_lo, s3
	v_lshrrev_b32_e32 v4, s28, v12
	; wave barrier
	v_and_b32_e32 v4, s34, v4
	v_and_b32_e32 v6, 1, v4
	v_lshlrev_b32_e32 v7, 30, v4
	v_lshlrev_b32_e32 v8, 29, v4
	;; [unrolled: 1-line block ×4, first 2 shown]
	v_add_co_u32 v6, s3, v6, -1
	v_cndmask_b32_e64 v10, 0, 1, s3
	v_not_b32_e32 v24, v7
	v_cmp_gt_i32_e64 s7, 0, v7
	v_not_b32_e32 v7, v8
	v_lshlrev_b32_e32 v22, 26, v4
	v_cmp_ne_u32_e64 s3, 0, v10
	v_ashrrev_i32_e32 v10, 31, v24
	v_lshlrev_b32_e32 v23, 25, v4
	v_ashrrev_i32_e32 v7, 31, v7
	v_mul_lo_u32 v5, 0x84, v4
	v_xor_b32_e32 v6, s3, v6
	v_cmp_gt_i32_e64 s3, 0, v8
	v_not_b32_e32 v8, v9
	v_xor_b32_e32 v10, s7, v10
	v_cmp_gt_i32_e64 s7, 0, v9
	v_and_b32_e32 v6, exec_lo, v6
	v_not_b32_e32 v9, v21
	v_ashrrev_i32_e32 v8, 31, v8
	v_xor_b32_e32 v7, s3, v7
	v_cmp_gt_i32_e64 s3, 0, v21
	v_and_b32_e32 v6, v6, v10
	v_not_b32_e32 v10, v22
	v_ashrrev_i32_e32 v9, 31, v9
	v_xor_b32_e32 v8, s7, v8
	v_lshlrev_b32_e32 v4, 24, v4
	v_and_b32_e32 v6, v6, v7
	v_cmp_gt_i32_e64 s7, 0, v22
	v_not_b32_e32 v7, v23
	v_ashrrev_i32_e32 v10, 31, v10
	v_xor_b32_e32 v9, s3, v9
	v_and_b32_e32 v6, v6, v8
	v_cmp_gt_i32_e64 s3, 0, v23
	v_not_b32_e32 v8, v4
	v_ashrrev_i32_e32 v7, 31, v7
	v_xor_b32_e32 v10, s7, v10
	v_and_b32_e32 v6, v6, v9
	v_cmp_gt_i32_e64 s7, 0, v4
	v_ashrrev_i32_e32 v4, 31, v8
	v_xor_b32_e32 v7, s3, v7
	v_add_nc_u32_e32 v23, v3, v5
	v_and_b32_e32 v6, v6, v10
	v_xor_b32_e32 v4, s7, v4
	ds_read_b32 v21, v23 offset:128
	v_and_b32_e32 v5, v6, v7
	; wave barrier
	v_and_b32_e32 v4, v5, v4
	v_mbcnt_lo_u32_b32 v22, v4, 0
	v_cmp_ne_u32_e64 s7, 0, v4
	v_cmp_eq_u32_e64 s3, 0, v22
	s_and_b32 s7, s7, s3
	s_and_saveexec_b32 s3, s7
	s_cbranch_execz .LBB219_13
; %bb.12:
	s_waitcnt lgkmcnt(0)
	v_bcnt_u32_b32 v4, v4, v21
	ds_write_b32 v23, v4 offset:128
.LBB219_13:
	s_or_b32 exec_lo, exec_lo, s3
	v_lshrrev_b32_e32 v4, s28, v15
	; wave barrier
	v_and_b32_e32 v4, s34, v4
	v_and_b32_e32 v6, 1, v4
	v_lshlrev_b32_e32 v7, 30, v4
	v_lshlrev_b32_e32 v8, 29, v4
	;; [unrolled: 1-line block ×4, first 2 shown]
	v_add_co_u32 v6, s3, v6, -1
	v_cndmask_b32_e64 v10, 0, 1, s3
	v_not_b32_e32 v27, v7
	v_cmp_gt_i32_e64 s7, 0, v7
	v_not_b32_e32 v7, v8
	v_lshlrev_b32_e32 v25, 26, v4
	v_cmp_ne_u32_e64 s3, 0, v10
	v_ashrrev_i32_e32 v10, 31, v27
	v_lshlrev_b32_e32 v26, 25, v4
	v_ashrrev_i32_e32 v7, 31, v7
	v_mul_lo_u32 v5, 0x84, v4
	v_xor_b32_e32 v6, s3, v6
	v_cmp_gt_i32_e64 s3, 0, v8
	v_not_b32_e32 v8, v9
	v_xor_b32_e32 v10, s7, v10
	v_cmp_gt_i32_e64 s7, 0, v9
	v_and_b32_e32 v6, exec_lo, v6
	v_not_b32_e32 v9, v24
	v_ashrrev_i32_e32 v8, 31, v8
	v_xor_b32_e32 v7, s3, v7
	v_cmp_gt_i32_e64 s3, 0, v24
	v_and_b32_e32 v6, v6, v10
	v_not_b32_e32 v10, v25
	v_ashrrev_i32_e32 v9, 31, v9
	v_xor_b32_e32 v8, s7, v8
	v_lshlrev_b32_e32 v4, 24, v4
	v_and_b32_e32 v6, v6, v7
	v_cmp_gt_i32_e64 s7, 0, v25
	v_not_b32_e32 v7, v26
	v_ashrrev_i32_e32 v10, 31, v10
	v_xor_b32_e32 v9, s3, v9
	v_and_b32_e32 v6, v6, v8
	v_cmp_gt_i32_e64 s3, 0, v26
	v_not_b32_e32 v8, v4
	v_ashrrev_i32_e32 v7, 31, v7
	v_xor_b32_e32 v10, s7, v10
	v_and_b32_e32 v6, v6, v9
	v_cmp_gt_i32_e64 s7, 0, v4
	v_ashrrev_i32_e32 v4, 31, v8
	v_xor_b32_e32 v7, s3, v7
	v_add_nc_u32_e32 v24, v3, v5
	v_and_b32_e32 v6, v6, v10
	v_xor_b32_e32 v4, s7, v4
	ds_read_b32 v25, v24 offset:128
	v_and_b32_e32 v5, v6, v7
	; wave barrier
	v_and_b32_e32 v4, v5, v4
	v_mbcnt_lo_u32_b32 v26, v4, 0
	v_cmp_ne_u32_e64 s7, 0, v4
	v_cmp_eq_u32_e64 s3, 0, v26
	s_and_b32 s7, s7, s3
	s_and_saveexec_b32 s3, s7
	s_cbranch_execz .LBB219_15
; %bb.14:
	s_waitcnt lgkmcnt(0)
	v_bcnt_u32_b32 v4, v4, v25
	ds_write_b32 v24, v4 offset:128
.LBB219_15:
	s_or_b32 exec_lo, exec_lo, s3
	v_lshrrev_b32_e32 v4, s28, v14
	; wave barrier
	v_and_b32_e32 v4, s34, v4
	v_and_b32_e32 v6, 1, v4
	v_lshlrev_b32_e32 v7, 30, v4
	v_lshlrev_b32_e32 v8, 29, v4
	;; [unrolled: 1-line block ×4, first 2 shown]
	v_add_co_u32 v6, s3, v6, -1
	v_cndmask_b32_e64 v10, 0, 1, s3
	v_not_b32_e32 v30, v7
	v_cmp_gt_i32_e64 s7, 0, v7
	v_not_b32_e32 v7, v8
	v_lshlrev_b32_e32 v28, 26, v4
	v_cmp_ne_u32_e64 s3, 0, v10
	v_ashrrev_i32_e32 v10, 31, v30
	v_lshlrev_b32_e32 v29, 25, v4
	v_ashrrev_i32_e32 v7, 31, v7
	v_mul_lo_u32 v5, 0x84, v4
	v_xor_b32_e32 v6, s3, v6
	v_cmp_gt_i32_e64 s3, 0, v8
	v_not_b32_e32 v8, v9
	v_xor_b32_e32 v10, s7, v10
	v_cmp_gt_i32_e64 s7, 0, v9
	v_and_b32_e32 v6, exec_lo, v6
	v_not_b32_e32 v9, v27
	v_ashrrev_i32_e32 v8, 31, v8
	v_xor_b32_e32 v7, s3, v7
	v_cmp_gt_i32_e64 s3, 0, v27
	v_and_b32_e32 v6, v6, v10
	v_not_b32_e32 v10, v28
	v_ashrrev_i32_e32 v9, 31, v9
	v_xor_b32_e32 v8, s7, v8
	v_lshlrev_b32_e32 v4, 24, v4
	v_and_b32_e32 v6, v6, v7
	v_cmp_gt_i32_e64 s7, 0, v28
	v_not_b32_e32 v7, v29
	v_ashrrev_i32_e32 v10, 31, v10
	v_xor_b32_e32 v9, s3, v9
	v_and_b32_e32 v6, v6, v8
	v_cmp_gt_i32_e64 s3, 0, v29
	v_not_b32_e32 v8, v4
	v_ashrrev_i32_e32 v7, 31, v7
	v_xor_b32_e32 v10, s7, v10
	v_and_b32_e32 v6, v6, v9
	v_cmp_gt_i32_e64 s7, 0, v4
	v_ashrrev_i32_e32 v4, 31, v8
	v_xor_b32_e32 v7, s3, v7
	v_add_nc_u32_e32 v29, v3, v5
	v_and_b32_e32 v6, v6, v10
	v_xor_b32_e32 v3, s7, v4
	ds_read_b32 v27, v29 offset:128
	v_and_b32_e32 v4, v6, v7
	; wave barrier
	v_and_b32_e32 v3, v4, v3
	v_mbcnt_lo_u32_b32 v28, v3, 0
	v_cmp_ne_u32_e64 s7, 0, v3
	v_cmp_eq_u32_e64 s3, 0, v28
	s_and_b32 s7, s7, s3
	s_and_saveexec_b32 s3, s7
	s_cbranch_execz .LBB219_17
; %bb.16:
	s_waitcnt lgkmcnt(0)
	v_bcnt_u32_b32 v3, v3, v27
	ds_write_b32 v29, v3 offset:128
.LBB219_17:
	s_or_b32 exec_lo, exec_lo, s3
	; wave barrier
	s_waitcnt lgkmcnt(0)
	s_barrier
	buffer_gl0_inv
	ds_read2_b32 v[9:10], v19 offset0:32 offset1:33
	ds_read2_b32 v[7:8], v19 offset0:34 offset1:35
	;; [unrolled: 1-line block ×4, first 2 shown]
	ds_read_b32 v30, v19 offset:160
	v_and_b32_e32 v33, 16, v18
	v_and_b32_e32 v34, 31, v0
	s_mov_b32 s12, exec_lo
	v_cmp_eq_u32_e64 s10, 0, v33
	s_waitcnt lgkmcnt(3)
	v_add3_u32 v31, v10, v9, v7
	s_waitcnt lgkmcnt(2)
	v_add3_u32 v31, v31, v8, v5
	;; [unrolled: 2-line block ×4, first 2 shown]
	v_and_b32_e32 v31, 15, v18
	v_mov_b32_dpp v32, v30 row_shr:1 row_mask:0xf bank_mask:0xf
	v_cmp_eq_u32_e64 s3, 0, v31
	v_cmp_lt_u32_e64 s7, 1, v31
	v_cmp_lt_u32_e64 s8, 3, v31
	;; [unrolled: 1-line block ×3, first 2 shown]
	v_cndmask_b32_e64 v32, v32, 0, s3
	v_add_nc_u32_e32 v30, v32, v30
	v_mov_b32_dpp v32, v30 row_shr:2 row_mask:0xf bank_mask:0xf
	v_cndmask_b32_e64 v32, 0, v32, s7
	v_add_nc_u32_e32 v30, v30, v32
	v_mov_b32_dpp v32, v30 row_shr:4 row_mask:0xf bank_mask:0xf
	;; [unrolled: 3-line block ×3, first 2 shown]
	v_cndmask_b32_e64 v31, 0, v32, s9
	v_bfe_i32 v32, v18, 4, 1
	v_add_nc_u32_e32 v30, v30, v31
	ds_swizzle_b32 v31, v30 offset:swizzle(BROADCAST,32,15)
	s_waitcnt lgkmcnt(0)
	v_and_b32_e32 v32, v32, v31
	v_lshrrev_b32_e32 v31, 5, v0
	v_add_nc_u32_e32 v30, v30, v32
	v_cmpx_eq_u32_e32 31, v34
; %bb.18:
	v_lshlrev_b32_e32 v32, 2, v31
	ds_write_b32 v32, v30
; %bb.19:
	s_or_b32 exec_lo, exec_lo, s12
	v_cmp_lt_u32_e64 s11, 31, v0
	s_mov_b32 s35, exec_lo
	s_waitcnt lgkmcnt(0)
	s_barrier
	buffer_gl0_inv
	v_cmpx_gt_u32_e32 32, v0
	s_cbranch_execz .LBB219_21
; %bb.20:
	ds_read_b32 v32, v17
	s_waitcnt lgkmcnt(0)
	v_mov_b32_dpp v33, v32 row_shr:1 row_mask:0xf bank_mask:0xf
	v_cndmask_b32_e64 v33, v33, 0, s3
	v_add_nc_u32_e32 v32, v33, v32
	v_mov_b32_dpp v33, v32 row_shr:2 row_mask:0xf bank_mask:0xf
	v_cndmask_b32_e64 v33, 0, v33, s7
	v_add_nc_u32_e32 v32, v32, v33
	;; [unrolled: 3-line block ×4, first 2 shown]
	ds_swizzle_b32 v33, v32 offset:swizzle(BROADCAST,32,15)
	s_waitcnt lgkmcnt(0)
	v_cndmask_b32_e64 v33, v33, 0, s10
	v_add_nc_u32_e32 v32, v32, v33
	ds_write_b32 v17, v32
.LBB219_21:
	s_or_b32 exec_lo, exec_lo, s35
	v_mov_b32_e32 v32, 0
	s_waitcnt lgkmcnt(0)
	s_barrier
	buffer_gl0_inv
	s_and_saveexec_b32 s3, s11
; %bb.22:
	v_lshl_add_u32 v31, v31, 2, -4
	ds_read_b32 v32, v31
; %bb.23:
	s_or_b32 exec_lo, exec_lo, s3
	v_sub_co_u32 v31, s3, v18, 1
	s_waitcnt lgkmcnt(0)
	v_add_nc_u32_e32 v30, v32, v30
	v_cmp_gt_i32_e64 s7, 0, v31
	v_cndmask_b32_e64 v31, v31, v18, s7
	v_cmp_gt_u32_e64 s7, 0x100, v0
	v_lshlrev_b32_e32 v31, 2, v31
	ds_bpermute_b32 v30, v31, v30
	s_waitcnt lgkmcnt(0)
	v_cndmask_b32_e64 v30, v30, v32, s3
	v_cmp_ne_u32_e64 s3, 0, v0
	v_cndmask_b32_e64 v30, 0, v30, s3
	v_cmp_lt_u32_e64 s3, 0xff, v0
	v_add_nc_u32_e32 v9, v30, v9
	v_add_nc_u32_e32 v10, v9, v10
	;; [unrolled: 1-line block ×8, first 2 shown]
	ds_write2_b32 v19, v30, v9 offset0:32 offset1:33
	ds_write2_b32 v19, v10, v7 offset0:34 offset1:35
	;; [unrolled: 1-line block ×4, first 2 shown]
	ds_write_b32 v19, v4 offset:160
	s_waitcnt lgkmcnt(0)
	s_barrier
	buffer_gl0_inv
	ds_read_b32 v3, v20 offset:128
	ds_read_b32 v4, v23 offset:128
	;; [unrolled: 1-line block ×4, first 2 shown]
                                        ; implicit-def: $vgpr19
                                        ; implicit-def: $vgpr20
	s_and_saveexec_b32 s9, s7
	s_cbranch_execz .LBB219_27
; %bb.24:
	v_mul_u32_u24_e32 v7, 0x84, v0
	v_add_nc_u32_e32 v8, 1, v0
	s_mov_b32 s10, exec_lo
	ds_read_b32 v19, v7 offset:128
	v_mov_b32_e32 v7, 0x1000
	v_cmpx_ne_u32_e32 0x100, v8
; %bb.25:
	v_mul_u32_u24_e32 v7, 0x84, v8
	ds_read_b32 v7, v7 offset:128
; %bb.26:
	s_or_b32 exec_lo, exec_lo, s10
	s_waitcnt lgkmcnt(0)
	v_sub_nc_u32_e32 v20, v7, v19
.LBB219_27:
	s_or_b32 exec_lo, exec_lo, s9
	s_waitcnt lgkmcnt(3)
	v_add_nc_u32_e32 v24, v3, v16
	s_waitcnt lgkmcnt(2)
	v_add3_u32 v23, v22, v21, v4
	s_waitcnt lgkmcnt(1)
	v_add3_u32 v22, v26, v25, v5
	;; [unrolled: 2-line block ×3, first 2 shown]
	v_mov_b32_e32 v4, 0
	v_lshlrev_b32_e32 v3, 2, v24
	v_lshlrev_b32_e32 v5, 2, v23
	;; [unrolled: 1-line block ×4, first 2 shown]
	s_barrier
	buffer_gl0_inv
	ds_write_b32 v3, v13 offset:1024
	ds_write_b32 v5, v12 offset:1024
	ds_write_b32 v6, v15 offset:1024
	ds_write_b32 v7, v14 offset:1024
	s_and_saveexec_b32 s8, s7
	s_cbranch_execz .LBB219_37
; %bb.28:
	v_lshl_add_u32 v3, s6, 8, v0
	v_mov_b32_e32 v9, 0
	s_mov_b32 s9, 0
	s_mov_b32 s10, s6
	v_lshlrev_b64 v[5:6], 2, v[3:4]
	v_or_b32_e32 v3, 2.0, v20
	v_add_co_u32 v5, s7, s14, v5
	v_add_co_ci_u32_e64 v6, null, s15, v6, s7
                                        ; implicit-def: $sgpr7
	global_store_dword v[5:6], v3, off
	s_branch .LBB219_31
	.p2align	6
.LBB219_29:                             ;   in Loop: Header=BB219_31 Depth=1
	s_or_b32 exec_lo, exec_lo, s12
.LBB219_30:                             ;   in Loop: Header=BB219_31 Depth=1
	s_or_b32 exec_lo, exec_lo, s11
	v_and_b32_e32 v7, 0x3fffffff, v3
	v_cmp_gt_i32_e64 s7, -2.0, v3
	v_add_nc_u32_e32 v9, v7, v9
	s_and_b32 s11, exec_lo, s7
	s_or_b32 s9, s11, s9
	s_andn2_b32 exec_lo, exec_lo, s9
	s_cbranch_execz .LBB219_36
.LBB219_31:                             ; =>This Loop Header: Depth=1
                                        ;     Child Loop BB219_34 Depth 2
	s_or_b32 s7, s7, exec_lo
	s_cmp_eq_u32 s10, 0
	s_cbranch_scc1 .LBB219_35
; %bb.32:                               ;   in Loop: Header=BB219_31 Depth=1
	s_add_i32 s10, s10, -1
	s_mov_b32 s11, exec_lo
	v_lshl_or_b32 v3, s10, 8, v0
	v_lshlrev_b64 v[7:8], 2, v[3:4]
	v_add_co_u32 v7, s7, s14, v7
	v_add_co_ci_u32_e64 v8, null, s15, v8, s7
	global_load_dword v3, v[7:8], off glc dlc
	s_waitcnt vmcnt(0)
	v_cmpx_gt_u32_e32 2.0, v3
	s_cbranch_execz .LBB219_30
; %bb.33:                               ;   in Loop: Header=BB219_31 Depth=1
	s_mov_b32 s12, 0
.LBB219_34:                             ;   Parent Loop BB219_31 Depth=1
                                        ; =>  This Inner Loop Header: Depth=2
	global_load_dword v3, v[7:8], off glc dlc
	s_waitcnt vmcnt(0)
	v_cmp_lt_u32_e64 s7, 0x3fffffff, v3
	s_or_b32 s12, s7, s12
	s_andn2_b32 exec_lo, exec_lo, s12
	s_cbranch_execnz .LBB219_34
	s_branch .LBB219_29
.LBB219_35:                             ;   in Loop: Header=BB219_31 Depth=1
                                        ; implicit-def: $sgpr10
	s_and_b32 s11, exec_lo, s7
	s_or_b32 s9, s11, s9
	s_andn2_b32 exec_lo, exec_lo, s9
	s_cbranch_execnz .LBB219_31
.LBB219_36:
	s_or_b32 exec_lo, exec_lo, s9
	v_add_nc_u32_e32 v3, v9, v20
	v_sub_nc_u32_e32 v4, v9, v19
	v_or_b32_e32 v3, 0x80000000, v3
	global_store_dword v[5:6], v3, off
	global_load_dword v3, v17, s[24:25]
	s_waitcnt vmcnt(0)
	v_add_nc_u32_e32 v3, v4, v3
	ds_write_b32 v17, v3
.LBB219_37:
	s_or_b32 exec_lo, exec_lo, s8
	v_mov_b32_e32 v3, 0
	v_cmp_gt_u32_e64 s7, s33, v0
	s_waitcnt lgkmcnt(0)
	s_waitcnt_vscnt null, 0x0
	s_barrier
	buffer_gl0_inv
	v_mov_b32_e32 v4, v3
	v_mov_b32_e32 v5, v3
	;; [unrolled: 1-line block ×3, first 2 shown]
	s_and_saveexec_b32 s9, s7
	s_cbranch_execz .LBB219_39
; %bb.38:
	ds_read_b32 v10, v17 offset:1024
	v_mov_b32_e32 v6, v3
	v_mov_b32_e32 v7, v3
	s_waitcnt lgkmcnt(0)
	v_lshrrev_b32_e32 v4, s28, v10
	v_and_b32_e32 v4, s34, v4
	v_lshlrev_b32_e32 v5, 2, v4
	ds_read_b32 v5, v5
	s_waitcnt lgkmcnt(0)
	v_add_nc_u32_e32 v5, v5, v0
	v_lshlrev_b64 v[8:9], 2, v[5:6]
	v_mov_b32_e32 v5, v3
	v_mov_b32_e32 v3, v4
	;; [unrolled: 1-line block ×5, first 2 shown]
	v_add_co_u32 v8, s8, s18, v8
	v_add_co_ci_u32_e64 v9, null, s19, v9, s8
	global_store_dword v[8:9], v10, off
.LBB219_39:
	s_or_b32 exec_lo, exec_lo, s9
	v_or_b32_e32 v25, 0x400, v0
	v_cmp_gt_u32_e64 s8, s33, v25
	s_and_saveexec_b32 s10, s8
	s_cbranch_execz .LBB219_41
; %bb.40:
	ds_read_b32 v9, v17 offset:5120
	v_mov_b32_e32 v8, 0
	s_waitcnt lgkmcnt(0)
	v_lshrrev_b32_e32 v4, s28, v9
	v_and_b32_e32 v4, s34, v4
	v_lshlrev_b32_e32 v7, 2, v4
	ds_read_b32 v7, v7
	s_waitcnt lgkmcnt(0)
	v_add_nc_u32_e32 v7, v7, v25
	v_lshlrev_b64 v[7:8], 2, v[7:8]
	v_add_co_u32 v7, s9, s18, v7
	v_add_co_ci_u32_e64 v8, null, s19, v8, s9
	global_store_dword v[7:8], v9, off
.LBB219_41:
	s_or_b32 exec_lo, exec_lo, s10
	v_or_b32_e32 v26, 0x800, v0
	v_cmp_gt_u32_e64 s9, s33, v26
	s_and_saveexec_b32 s11, s9
	s_cbranch_execz .LBB219_43
; %bb.42:
	ds_read_b32 v9, v17 offset:9216
	v_mov_b32_e32 v8, 0
	s_waitcnt lgkmcnt(0)
	v_lshrrev_b32_e32 v5, s28, v9
	v_and_b32_e32 v5, s34, v5
	v_lshlrev_b32_e32 v7, 2, v5
	ds_read_b32 v7, v7
	s_waitcnt lgkmcnt(0)
	v_add_nc_u32_e32 v7, v7, v26
	v_lshlrev_b64 v[7:8], 2, v[7:8]
	v_add_co_u32 v7, s10, s18, v7
	v_add_co_ci_u32_e64 v8, null, s19, v8, s10
	global_store_dword v[7:8], v9, off
.LBB219_43:
	;; [unrolled: 20-line block ×3, first 2 shown]
	s_or_b32 exec_lo, exec_lo, s12
	v_lshlrev_b32_e32 v7, 3, v18
	s_lshl_b64 s[30:31], s[30:31], 3
	v_lshlrev_b32_e32 v9, 3, v11
	s_add_u32 s11, s20, s30
	s_addc_u32 s12, s21, s31
	v_add_co_u32 v7, s11, s11, v7
	v_add_co_ci_u32_e64 v10, null, s12, 0, s11
	v_mov_b32_e32 v8, 0
	v_add_co_u32 v13, s11, v7, v9
	v_add_co_ci_u32_e64 v14, null, 0, v10, s11
	v_mov_b32_e32 v10, 0
	v_mov_b32_e32 v9, 0
	s_and_saveexec_b32 s11, s1
	s_cbranch_execz .LBB219_47
; %bb.46:
	global_load_dwordx2 v[9:10], v[13:14], off
.LBB219_47:
	s_or_b32 exec_lo, exec_lo, s11
	v_mov_b32_e32 v7, 0
	s_and_saveexec_b32 s1, s2
	s_cbranch_execz .LBB219_49
; %bb.48:
	global_load_dwordx2 v[7:8], v[13:14], off offset:256
.LBB219_49:
	s_or_b32 exec_lo, exec_lo, s1
	v_mov_b32_e32 v12, 0
	v_mov_b32_e32 v16, 0
	;; [unrolled: 1-line block ×3, first 2 shown]
	s_and_saveexec_b32 s1, s0
	s_cbranch_execz .LBB219_51
; %bb.50:
	global_load_dwordx2 v[15:16], v[13:14], off offset:512
.LBB219_51:
	s_or_b32 exec_lo, exec_lo, s1
	v_mov_b32_e32 v11, 0
	s_and_saveexec_b32 s0, vcc_lo
	s_cbranch_execz .LBB219_53
; %bb.52:
	global_load_dwordx2 v[11:12], v[13:14], off offset:768
.LBB219_53:
	s_or_b32 exec_lo, exec_lo, s0
	v_min_u32_e32 v13, 0x1000, v24
	v_min_u32_e32 v14, 0x1000, v23
	;; [unrolled: 1-line block ×4, first 2 shown]
	s_waitcnt vmcnt(0)
	s_waitcnt_vscnt null, 0x0
	v_lshlrev_b32_e32 v13, 3, v13
	v_lshlrev_b32_e32 v14, 3, v14
	;; [unrolled: 1-line block ×3, first 2 shown]
	s_barrier
	buffer_gl0_inv
	v_lshlrev_b32_e32 v21, 3, v21
	ds_write_b64 v13, v[9:10] offset:1024
	ds_write_b64 v14, v[7:8] offset:1024
	ds_write_b64 v22, v[15:16] offset:1024
	v_lshlrev_b32_e32 v7, 3, v0
	ds_write_b64 v21, v[11:12] offset:1024
	s_waitcnt lgkmcnt(0)
	s_barrier
	buffer_gl0_inv
	s_and_saveexec_b32 s0, s7
	s_cbranch_execz .LBB219_57
; %bb.54:
	v_lshlrev_b32_e32 v3, 2, v3
	v_mov_b32_e32 v11, 0
	ds_read_b32 v3, v3
	ds_read_b64 v[8:9], v7 offset:1024
	s_waitcnt lgkmcnt(1)
	v_add_nc_u32_e32 v10, v3, v0
	v_lshlrev_b64 v[10:11], 3, v[10:11]
	v_add_co_u32 v10, vcc_lo, s22, v10
	v_add_co_ci_u32_e64 v11, null, s23, v11, vcc_lo
	s_waitcnt lgkmcnt(0)
	global_store_dwordx2 v[10:11], v[8:9], off
	s_or_b32 exec_lo, exec_lo, s0
	s_and_saveexec_b32 s0, s8
	s_cbranch_execnz .LBB219_58
.LBB219_55:
	s_or_b32 exec_lo, exec_lo, s0
	s_and_saveexec_b32 s0, s9
	s_cbranch_execz .LBB219_59
.LBB219_56:
	v_lshlrev_b32_e32 v3, 2, v5
	v_mov_b32_e32 v9, 0
	ds_read_b32 v5, v3
	ds_read_b64 v[3:4], v7 offset:17408
	s_waitcnt lgkmcnt(1)
	v_add_nc_u32_e32 v8, v5, v26
	v_lshlrev_b64 v[8:9], 3, v[8:9]
	v_add_co_u32 v8, vcc_lo, s22, v8
	v_add_co_ci_u32_e64 v9, null, s23, v9, vcc_lo
	s_waitcnt lgkmcnt(0)
	global_store_dwordx2 v[8:9], v[3:4], off
	s_or_b32 exec_lo, exec_lo, s0
	s_and_saveexec_b32 s0, s10
	s_cbranch_execnz .LBB219_60
	s_branch .LBB219_61
.LBB219_57:
	s_or_b32 exec_lo, exec_lo, s0
	s_and_saveexec_b32 s0, s8
	s_cbranch_execz .LBB219_55
.LBB219_58:
	v_lshlrev_b32_e32 v3, 2, v4
	v_mov_b32_e32 v9, 0
	ds_read_b32 v8, v3
	ds_read_b64 v[3:4], v7 offset:9216
	s_waitcnt lgkmcnt(1)
	v_add_nc_u32_e32 v8, v8, v25
	v_lshlrev_b64 v[8:9], 3, v[8:9]
	v_add_co_u32 v8, vcc_lo, s22, v8
	v_add_co_ci_u32_e64 v9, null, s23, v9, vcc_lo
	s_waitcnt lgkmcnt(0)
	global_store_dwordx2 v[8:9], v[3:4], off
	s_or_b32 exec_lo, exec_lo, s0
	s_and_saveexec_b32 s0, s9
	s_cbranch_execnz .LBB219_56
.LBB219_59:
	s_or_b32 exec_lo, exec_lo, s0
	s_and_saveexec_b32 s0, s10
	s_cbranch_execz .LBB219_61
.LBB219_60:
	v_lshlrev_b32_e32 v3, 2, v6
	v_mov_b32_e32 v6, 0
	ds_read_b32 v5, v3
	ds_read_b64 v[3:4], v7 offset:25600
	s_waitcnt lgkmcnt(1)
	v_add_nc_u32_e32 v5, v5, v27
	v_lshlrev_b64 v[5:6], 3, v[5:6]
	v_add_co_u32 v5, vcc_lo, s22, v5
	v_add_co_ci_u32_e64 v6, null, s23, v6, vcc_lo
	s_waitcnt lgkmcnt(0)
	global_store_dwordx2 v[5:6], v[3:4], off
.LBB219_61:
	s_or_b32 exec_lo, exec_lo, s0
	s_add_i32 s13, s13, -1
	s_cmp_eq_u32 s6, s13
	s_cselect_b32 s0, -1, 0
	s_xor_b32 s1, s3, -1
	s_and_b32 s1, s1, s0
	s_and_saveexec_b32 s0, s1
	s_cbranch_execz .LBB219_63
; %bb.62:
	ds_read_b32 v3, v17
	s_waitcnt lgkmcnt(0)
	v_add3_u32 v3, v19, v20, v3
	global_store_dword v17, v3, s[26:27]
.LBB219_63:
	s_or_b32 exec_lo, exec_lo, s0
	s_mov_b32 s0, 0
.LBB219_64:
	s_and_b32 vcc_lo, exec_lo, s0
	s_cbranch_vccz .LBB219_95
; %bb.65:
	s_lshl_b32 s8, s6, 12
	s_mov_b32 s9, 0
	v_and_b32_e32 v9, 0xf80, v17
	v_lshlrev_b32_e32 v3, 2, v18
	s_lshl_b64 s[0:1], s[8:9], 2
	s_add_u32 s0, s16, s0
	s_addc_u32 s1, s17, s1
	v_lshlrev_b32_e32 v4, 2, v9
	v_add_co_u32 v3, s0, s0, v3
	v_add_co_ci_u32_e64 v5, null, s1, 0, s0
	s_add_u32 s1, s4, 0x58
	v_add_co_u32 v3, vcc_lo, v3, v4
	v_add_co_ci_u32_e64 v4, null, 0, v5, vcc_lo
	s_addc_u32 s2, s5, 0
	v_mov_b32_e32 v5, 0
	global_load_dword v10, v[3:4], off
	s_clause 0x1
	s_load_dword s0, s[4:5], 0x64
	s_load_dword s7, s[4:5], 0x58
	s_waitcnt lgkmcnt(0)
	s_lshr_b32 s3, s0, 16
	s_cmp_lt_u32 s6, s7
	v_mad_u32_u24 v1, v2, s3, v1
	s_cselect_b32 s0, 12, 18
	s_add_u32 s0, s1, s0
	s_addc_u32 s1, s2, 0
	global_load_ushort v6, v5, s[0:1]
	s_clause 0x2
	global_load_dword v11, v[3:4], off offset:128
	global_load_dword v12, v[3:4], off offset:256
	;; [unrolled: 1-line block ×3, first 2 shown]
	s_lshl_b32 s0, -1, s29
	s_not_b32 s10, s0
	s_waitcnt vmcnt(4)
	v_lshrrev_b32_e32 v3, s28, v10
	v_and_b32_e32 v3, s10, v3
	v_and_b32_e32 v4, 1, v3
	v_lshlrev_b32_e32 v7, 30, v3
	v_lshlrev_b32_e32 v8, 29, v3
	v_lshlrev_b32_e32 v14, 28, v3
	v_lshlrev_b32_e32 v16, 27, v3
	v_add_co_u32 v4, s0, v4, -1
	v_cndmask_b32_e64 v15, 0, 1, s0
	v_not_b32_e32 v21, v7
	v_cmp_gt_i32_e64 s0, 0, v7
	v_not_b32_e32 v7, v8
	v_lshlrev_b32_e32 v19, 26, v3
	v_cmp_ne_u32_e32 vcc_lo, 0, v15
	v_ashrrev_i32_e32 v21, 31, v21
	v_lshlrev_b32_e32 v20, 25, v3
	v_ashrrev_i32_e32 v7, 31, v7
	v_lshlrev_b32_e32 v15, 24, v3
	v_xor_b32_e32 v4, vcc_lo, v4
	v_cmp_gt_i32_e32 vcc_lo, 0, v8
	v_not_b32_e32 v8, v14
	v_xor_b32_e32 v21, s0, v21
	v_cmp_gt_i32_e64 s0, 0, v14
	v_and_b32_e32 v4, exec_lo, v4
	v_not_b32_e32 v14, v16
	v_ashrrev_i32_e32 v8, 31, v8
	v_xor_b32_e32 v7, vcc_lo, v7
	v_cmp_gt_i32_e32 vcc_lo, 0, v16
	v_and_b32_e32 v4, v4, v21
	v_not_b32_e32 v16, v19
	v_ashrrev_i32_e32 v14, 31, v14
	v_xor_b32_e32 v8, s0, v8
	v_cmp_gt_i32_e64 s0, 0, v19
	v_and_b32_e32 v4, v4, v7
	v_not_b32_e32 v7, v20
	v_ashrrev_i32_e32 v16, 31, v16
	v_xor_b32_e32 v14, vcc_lo, v14
	v_cmp_gt_i32_e32 vcc_lo, 0, v20
	v_and_b32_e32 v4, v4, v8
	v_not_b32_e32 v8, v15
	v_ashrrev_i32_e32 v7, 31, v7
	v_xor_b32_e32 v16, s0, v16
	v_cmp_gt_i32_e64 s0, 0, v15
	v_and_b32_e32 v4, v4, v14
	v_ashrrev_i32_e32 v8, 31, v8
	v_xor_b32_e32 v7, vcc_lo, v7
	s_waitcnt vmcnt(3)
	v_mad_u64_u32 v[1:2], null, v1, v6, v[0:1]
	v_and_b32_e32 v4, v4, v16
	v_xor_b32_e32 v2, s0, v8
	v_mul_lo_u32 v3, 0x84, v3
	v_mul_u32_u24_e32 v15, 36, v0
	v_and_b32_e32 v4, v4, v7
	v_lshrrev_b32_e32 v1, 3, v1
	ds_write2_b32 v15, v5, v5 offset0:32 offset1:33
	ds_write2_b32 v15, v5, v5 offset0:34 offset1:35
	;; [unrolled: 1-line block ×3, first 2 shown]
	v_and_b32_e32 v2, v4, v2
	v_and_b32_e32 v1, 0x1ffffffc, v1
	ds_write2_b32 v15, v5, v5 offset0:38 offset1:39
	ds_write_b32 v15, v5 offset:160
	s_waitcnt vmcnt(0) lgkmcnt(0)
	s_waitcnt_vscnt null, 0x0
	s_barrier
	v_mbcnt_lo_u32_b32 v14, v2, 0
	v_cmp_ne_u32_e64 s0, 0, v2
	v_add_nc_u32_e32 v16, v1, v3
	buffer_gl0_inv
	v_cmp_eq_u32_e32 vcc_lo, 0, v14
	; wave barrier
	s_and_b32 s1, s0, vcc_lo
	s_and_saveexec_b32 s0, s1
; %bb.66:
	v_bcnt_u32_b32 v2, v2, 0
	ds_write_b32 v16, v2 offset:128
; %bb.67:
	s_or_b32 exec_lo, exec_lo, s0
	v_lshrrev_b32_e32 v2, s28, v11
	; wave barrier
	v_and_b32_e32 v2, s10, v2
	v_and_b32_e32 v4, 1, v2
	v_lshlrev_b32_e32 v5, 30, v2
	v_lshlrev_b32_e32 v6, 29, v2
	;; [unrolled: 1-line block ×4, first 2 shown]
	v_add_co_u32 v4, s0, v4, -1
	v_cndmask_b32_e64 v8, 0, 1, s0
	v_not_b32_e32 v22, v5
	v_cmp_gt_i32_e64 s0, 0, v5
	v_not_b32_e32 v5, v6
	v_lshlrev_b32_e32 v20, 26, v2
	v_cmp_ne_u32_e32 vcc_lo, 0, v8
	v_ashrrev_i32_e32 v8, 31, v22
	v_lshlrev_b32_e32 v21, 25, v2
	v_ashrrev_i32_e32 v5, 31, v5
	v_mul_lo_u32 v3, 0x84, v2
	v_xor_b32_e32 v4, vcc_lo, v4
	v_cmp_gt_i32_e32 vcc_lo, 0, v6
	v_not_b32_e32 v6, v7
	v_xor_b32_e32 v8, s0, v8
	v_cmp_gt_i32_e64 s0, 0, v7
	v_and_b32_e32 v4, exec_lo, v4
	v_not_b32_e32 v7, v19
	v_ashrrev_i32_e32 v6, 31, v6
	v_xor_b32_e32 v5, vcc_lo, v5
	v_cmp_gt_i32_e32 vcc_lo, 0, v19
	v_and_b32_e32 v4, v4, v8
	v_not_b32_e32 v8, v20
	v_ashrrev_i32_e32 v7, 31, v7
	v_xor_b32_e32 v6, s0, v6
	v_lshlrev_b32_e32 v2, 24, v2
	v_and_b32_e32 v4, v4, v5
	v_cmp_gt_i32_e64 s0, 0, v20
	v_not_b32_e32 v5, v21
	v_ashrrev_i32_e32 v8, 31, v8
	v_xor_b32_e32 v7, vcc_lo, v7
	v_and_b32_e32 v4, v4, v6
	v_cmp_gt_i32_e32 vcc_lo, 0, v21
	v_not_b32_e32 v6, v2
	v_ashrrev_i32_e32 v5, 31, v5
	v_xor_b32_e32 v8, s0, v8
	v_and_b32_e32 v4, v4, v7
	v_cmp_gt_i32_e64 s0, 0, v2
	v_ashrrev_i32_e32 v2, 31, v6
	v_xor_b32_e32 v5, vcc_lo, v5
	v_add_nc_u32_e32 v21, v1, v3
	v_and_b32_e32 v4, v4, v8
	v_xor_b32_e32 v2, s0, v2
	ds_read_b32 v19, v21 offset:128
	v_and_b32_e32 v3, v4, v5
	; wave barrier
	v_and_b32_e32 v2, v3, v2
	v_mbcnt_lo_u32_b32 v20, v2, 0
	v_cmp_ne_u32_e64 s0, 0, v2
	v_cmp_eq_u32_e32 vcc_lo, 0, v20
	s_and_b32 s1, s0, vcc_lo
	s_and_saveexec_b32 s0, s1
	s_cbranch_execz .LBB219_69
; %bb.68:
	s_waitcnt lgkmcnt(0)
	v_bcnt_u32_b32 v2, v2, v19
	ds_write_b32 v21, v2 offset:128
.LBB219_69:
	s_or_b32 exec_lo, exec_lo, s0
	v_lshrrev_b32_e32 v2, s28, v12
	; wave barrier
	v_and_b32_e32 v2, s10, v2
	v_and_b32_e32 v4, 1, v2
	v_lshlrev_b32_e32 v5, 30, v2
	v_lshlrev_b32_e32 v6, 29, v2
	;; [unrolled: 1-line block ×4, first 2 shown]
	v_add_co_u32 v4, s0, v4, -1
	v_cndmask_b32_e64 v8, 0, 1, s0
	v_not_b32_e32 v25, v5
	v_cmp_gt_i32_e64 s0, 0, v5
	v_not_b32_e32 v5, v6
	v_lshlrev_b32_e32 v23, 26, v2
	v_cmp_ne_u32_e32 vcc_lo, 0, v8
	v_ashrrev_i32_e32 v8, 31, v25
	v_lshlrev_b32_e32 v24, 25, v2
	v_ashrrev_i32_e32 v5, 31, v5
	v_mul_lo_u32 v3, 0x84, v2
	v_xor_b32_e32 v4, vcc_lo, v4
	v_cmp_gt_i32_e32 vcc_lo, 0, v6
	v_not_b32_e32 v6, v7
	v_xor_b32_e32 v8, s0, v8
	v_cmp_gt_i32_e64 s0, 0, v7
	v_and_b32_e32 v4, exec_lo, v4
	v_not_b32_e32 v7, v22
	v_ashrrev_i32_e32 v6, 31, v6
	v_xor_b32_e32 v5, vcc_lo, v5
	v_cmp_gt_i32_e32 vcc_lo, 0, v22
	v_and_b32_e32 v4, v4, v8
	v_not_b32_e32 v8, v23
	v_ashrrev_i32_e32 v7, 31, v7
	v_xor_b32_e32 v6, s0, v6
	v_lshlrev_b32_e32 v2, 24, v2
	v_and_b32_e32 v4, v4, v5
	v_cmp_gt_i32_e64 s0, 0, v23
	v_not_b32_e32 v5, v24
	v_ashrrev_i32_e32 v8, 31, v8
	v_xor_b32_e32 v7, vcc_lo, v7
	v_and_b32_e32 v4, v4, v6
	v_cmp_gt_i32_e32 vcc_lo, 0, v24
	v_not_b32_e32 v6, v2
	v_ashrrev_i32_e32 v5, 31, v5
	v_xor_b32_e32 v8, s0, v8
	v_and_b32_e32 v4, v4, v7
	v_cmp_gt_i32_e64 s0, 0, v2
	v_ashrrev_i32_e32 v2, 31, v6
	v_xor_b32_e32 v5, vcc_lo, v5
	v_add_nc_u32_e32 v24, v1, v3
	v_and_b32_e32 v4, v4, v8
	v_xor_b32_e32 v2, s0, v2
	ds_read_b32 v22, v24 offset:128
	v_and_b32_e32 v3, v4, v5
	; wave barrier
	v_and_b32_e32 v2, v3, v2
	v_mbcnt_lo_u32_b32 v23, v2, 0
	v_cmp_ne_u32_e64 s0, 0, v2
	v_cmp_eq_u32_e32 vcc_lo, 0, v23
	s_and_b32 s1, s0, vcc_lo
	s_and_saveexec_b32 s0, s1
	s_cbranch_execz .LBB219_71
; %bb.70:
	s_waitcnt lgkmcnt(0)
	v_bcnt_u32_b32 v2, v2, v22
	ds_write_b32 v24, v2 offset:128
.LBB219_71:
	s_or_b32 exec_lo, exec_lo, s0
	v_lshrrev_b32_e32 v2, s28, v13
	; wave barrier
	v_and_b32_e32 v2, s10, v2
	v_and_b32_e32 v4, 1, v2
	v_lshlrev_b32_e32 v5, 30, v2
	v_lshlrev_b32_e32 v6, 29, v2
	;; [unrolled: 1-line block ×4, first 2 shown]
	v_add_co_u32 v4, s0, v4, -1
	v_cndmask_b32_e64 v8, 0, 1, s0
	v_not_b32_e32 v28, v5
	v_cmp_gt_i32_e64 s0, 0, v5
	v_not_b32_e32 v5, v6
	v_lshlrev_b32_e32 v26, 26, v2
	v_cmp_ne_u32_e32 vcc_lo, 0, v8
	v_ashrrev_i32_e32 v8, 31, v28
	v_lshlrev_b32_e32 v27, 25, v2
	v_ashrrev_i32_e32 v5, 31, v5
	v_mul_lo_u32 v3, 0x84, v2
	v_xor_b32_e32 v4, vcc_lo, v4
	v_cmp_gt_i32_e32 vcc_lo, 0, v6
	v_not_b32_e32 v6, v7
	v_xor_b32_e32 v8, s0, v8
	v_cmp_gt_i32_e64 s0, 0, v7
	v_and_b32_e32 v4, exec_lo, v4
	v_not_b32_e32 v7, v25
	v_ashrrev_i32_e32 v6, 31, v6
	v_xor_b32_e32 v5, vcc_lo, v5
	v_cmp_gt_i32_e32 vcc_lo, 0, v25
	v_and_b32_e32 v4, v4, v8
	v_not_b32_e32 v8, v26
	v_ashrrev_i32_e32 v7, 31, v7
	v_xor_b32_e32 v6, s0, v6
	v_lshlrev_b32_e32 v2, 24, v2
	v_and_b32_e32 v4, v4, v5
	v_cmp_gt_i32_e64 s0, 0, v26
	v_not_b32_e32 v5, v27
	v_ashrrev_i32_e32 v8, 31, v8
	v_xor_b32_e32 v7, vcc_lo, v7
	v_and_b32_e32 v4, v4, v6
	v_cmp_gt_i32_e32 vcc_lo, 0, v27
	v_not_b32_e32 v6, v2
	v_ashrrev_i32_e32 v5, 31, v5
	v_xor_b32_e32 v8, s0, v8
	v_and_b32_e32 v4, v4, v7
	v_cmp_gt_i32_e64 s0, 0, v2
	v_ashrrev_i32_e32 v2, 31, v6
	v_xor_b32_e32 v5, vcc_lo, v5
	v_add_nc_u32_e32 v27, v1, v3
	v_and_b32_e32 v4, v4, v8
	v_xor_b32_e32 v1, s0, v2
	ds_read_b32 v25, v27 offset:128
	v_and_b32_e32 v2, v4, v5
	; wave barrier
	v_and_b32_e32 v1, v2, v1
	v_mbcnt_lo_u32_b32 v26, v1, 0
	v_cmp_ne_u32_e64 s0, 0, v1
	v_cmp_eq_u32_e32 vcc_lo, 0, v26
	s_and_b32 s1, s0, vcc_lo
	s_and_saveexec_b32 s0, s1
	s_cbranch_execz .LBB219_73
; %bb.72:
	s_waitcnt lgkmcnt(0)
	v_bcnt_u32_b32 v1, v1, v25
	ds_write_b32 v27, v1 offset:128
.LBB219_73:
	s_or_b32 exec_lo, exec_lo, s0
	; wave barrier
	s_waitcnt lgkmcnt(0)
	s_barrier
	buffer_gl0_inv
	ds_read2_b32 v[7:8], v15 offset0:32 offset1:33
	ds_read2_b32 v[5:6], v15 offset0:34 offset1:35
	;; [unrolled: 1-line block ×4, first 2 shown]
	ds_read_b32 v28, v15 offset:160
	v_and_b32_e32 v31, 16, v18
	v_and_b32_e32 v32, 31, v0
	s_mov_b32 s5, exec_lo
	v_cmp_eq_u32_e64 s3, 0, v31
	s_waitcnt lgkmcnt(3)
	v_add3_u32 v29, v8, v7, v5
	s_waitcnt lgkmcnt(2)
	v_add3_u32 v29, v29, v6, v3
	;; [unrolled: 2-line block ×4, first 2 shown]
	v_and_b32_e32 v29, 15, v18
	v_mov_b32_dpp v30, v28 row_shr:1 row_mask:0xf bank_mask:0xf
	v_cmp_eq_u32_e32 vcc_lo, 0, v29
	v_cmp_lt_u32_e64 s0, 1, v29
	v_cmp_lt_u32_e64 s1, 3, v29
	;; [unrolled: 1-line block ×3, first 2 shown]
	v_cndmask_b32_e64 v30, v30, 0, vcc_lo
	v_add_nc_u32_e32 v28, v30, v28
	v_mov_b32_dpp v30, v28 row_shr:2 row_mask:0xf bank_mask:0xf
	v_cndmask_b32_e64 v30, 0, v30, s0
	v_add_nc_u32_e32 v28, v28, v30
	v_mov_b32_dpp v30, v28 row_shr:4 row_mask:0xf bank_mask:0xf
	v_cndmask_b32_e64 v30, 0, v30, s1
	;; [unrolled: 3-line block ×3, first 2 shown]
	v_bfe_i32 v30, v18, 4, 1
	v_add_nc_u32_e32 v28, v28, v29
	ds_swizzle_b32 v29, v28 offset:swizzle(BROADCAST,32,15)
	s_waitcnt lgkmcnt(0)
	v_and_b32_e32 v30, v30, v29
	v_lshrrev_b32_e32 v29, 5, v0
	v_add_nc_u32_e32 v28, v28, v30
	v_cmpx_eq_u32_e32 31, v32
; %bb.74:
	v_lshlrev_b32_e32 v30, 2, v29
	ds_write_b32 v30, v28
; %bb.75:
	s_or_b32 exec_lo, exec_lo, s5
	v_cmp_lt_u32_e64 s4, 31, v0
	s_mov_b32 s11, exec_lo
	s_waitcnt lgkmcnt(0)
	s_barrier
	buffer_gl0_inv
	v_cmpx_gt_u32_e32 32, v0
	s_cbranch_execz .LBB219_77
; %bb.76:
	ds_read_b32 v30, v17
	s_waitcnt lgkmcnt(0)
	v_mov_b32_dpp v31, v30 row_shr:1 row_mask:0xf bank_mask:0xf
	v_cndmask_b32_e64 v31, v31, 0, vcc_lo
	v_add_nc_u32_e32 v30, v31, v30
	v_mov_b32_dpp v31, v30 row_shr:2 row_mask:0xf bank_mask:0xf
	v_cndmask_b32_e64 v31, 0, v31, s0
	v_add_nc_u32_e32 v30, v30, v31
	v_mov_b32_dpp v31, v30 row_shr:4 row_mask:0xf bank_mask:0xf
	v_cndmask_b32_e64 v31, 0, v31, s1
	;; [unrolled: 3-line block ×3, first 2 shown]
	v_add_nc_u32_e32 v30, v30, v31
	ds_swizzle_b32 v31, v30 offset:swizzle(BROADCAST,32,15)
	s_waitcnt lgkmcnt(0)
	v_cndmask_b32_e64 v31, v31, 0, s3
	v_add_nc_u32_e32 v30, v30, v31
	ds_write_b32 v17, v30
.LBB219_77:
	s_or_b32 exec_lo, exec_lo, s11
	v_mov_b32_e32 v30, 0
	s_waitcnt lgkmcnt(0)
	s_barrier
	buffer_gl0_inv
	s_and_saveexec_b32 s0, s4
; %bb.78:
	v_lshl_add_u32 v29, v29, 2, -4
	ds_read_b32 v30, v29
; %bb.79:
	s_or_b32 exec_lo, exec_lo, s0
	v_sub_co_u32 v29, vcc_lo, v18, 1
	s_waitcnt lgkmcnt(0)
	v_add_nc_u32_e32 v28, v30, v28
	v_cmp_gt_i32_e64 s0, 0, v29
	v_cndmask_b32_e64 v29, v29, v18, s0
	v_cmp_gt_u32_e64 s0, 0x100, v0
	v_lshlrev_b32_e32 v29, 2, v29
	ds_bpermute_b32 v28, v29, v28
	s_waitcnt lgkmcnt(0)
	v_cndmask_b32_e32 v28, v28, v30, vcc_lo
	v_cmp_ne_u32_e32 vcc_lo, 0, v0
	v_cndmask_b32_e32 v28, 0, v28, vcc_lo
	v_cmp_lt_u32_e32 vcc_lo, 0xff, v0
	v_add_nc_u32_e32 v7, v28, v7
	v_add_nc_u32_e32 v8, v7, v8
	;; [unrolled: 1-line block ×8, first 2 shown]
	ds_write2_b32 v15, v28, v7 offset0:32 offset1:33
	ds_write2_b32 v15, v8, v5 offset0:34 offset1:35
	;; [unrolled: 1-line block ×4, first 2 shown]
	ds_write_b32 v15, v2 offset:160
	s_waitcnt lgkmcnt(0)
	s_barrier
	buffer_gl0_inv
	ds_read_b32 v1, v16 offset:128
	ds_read_b32 v2, v21 offset:128
	;; [unrolled: 1-line block ×4, first 2 shown]
                                        ; implicit-def: $vgpr7
                                        ; implicit-def: $vgpr8
	s_and_saveexec_b32 s2, s0
	s_cbranch_execz .LBB219_83
; %bb.80:
	v_mul_u32_u24_e32 v5, 0x84, v0
	v_add_nc_u32_e32 v6, 1, v0
	s_mov_b32 s3, exec_lo
	ds_read_b32 v7, v5 offset:128
	v_mov_b32_e32 v5, 0x1000
	v_cmpx_ne_u32_e32 0x100, v6
; %bb.81:
	v_mul_u32_u24_e32 v5, 0x84, v6
	ds_read_b32 v5, v5 offset:128
; %bb.82:
	s_or_b32 exec_lo, exec_lo, s3
	s_waitcnt lgkmcnt(0)
	v_sub_nc_u32_e32 v8, v5, v7
.LBB219_83:
	s_or_b32 exec_lo, exec_lo, s2
	s_waitcnt lgkmcnt(3)
	v_add_nc_u32_e32 v21, v1, v14
	s_waitcnt lgkmcnt(2)
	v_add3_u32 v16, v20, v19, v2
	s_waitcnt lgkmcnt(1)
	v_add3_u32 v15, v23, v22, v3
	s_waitcnt lgkmcnt(0)
	v_add3_u32 v14, v26, v25, v4
	v_mov_b32_e32 v2, 0
	v_lshlrev_b32_e32 v1, 2, v21
	v_lshlrev_b32_e32 v3, 2, v16
	;; [unrolled: 1-line block ×4, first 2 shown]
	s_barrier
	buffer_gl0_inv
	ds_write_b32 v1, v10 offset:1024
	ds_write_b32 v3, v11 offset:1024
	;; [unrolled: 1-line block ×4, first 2 shown]
	s_and_saveexec_b32 s1, s0
	s_cbranch_execz .LBB219_93
; %bb.84:
	v_lshl_add_u32 v1, s6, 8, v0
	v_mov_b32_e32 v10, 0
	s_mov_b32 s2, 0
	s_mov_b32 s3, s6
	v_lshlrev_b64 v[3:4], 2, v[1:2]
	v_or_b32_e32 v1, 2.0, v8
	v_add_co_u32 v3, s0, s14, v3
	v_add_co_ci_u32_e64 v4, null, s15, v4, s0
                                        ; implicit-def: $sgpr0
	global_store_dword v[3:4], v1, off
	s_branch .LBB219_87
	.p2align	6
.LBB219_85:                             ;   in Loop: Header=BB219_87 Depth=1
	s_or_b32 exec_lo, exec_lo, s5
.LBB219_86:                             ;   in Loop: Header=BB219_87 Depth=1
	s_or_b32 exec_lo, exec_lo, s4
	v_and_b32_e32 v5, 0x3fffffff, v1
	v_cmp_gt_i32_e64 s0, -2.0, v1
	v_add_nc_u32_e32 v10, v5, v10
	s_and_b32 s4, exec_lo, s0
	s_or_b32 s2, s4, s2
	s_andn2_b32 exec_lo, exec_lo, s2
	s_cbranch_execz .LBB219_92
.LBB219_87:                             ; =>This Loop Header: Depth=1
                                        ;     Child Loop BB219_90 Depth 2
	s_or_b32 s0, s0, exec_lo
	s_cmp_eq_u32 s3, 0
	s_cbranch_scc1 .LBB219_91
; %bb.88:                               ;   in Loop: Header=BB219_87 Depth=1
	s_add_i32 s3, s3, -1
	s_mov_b32 s4, exec_lo
	v_lshl_or_b32 v1, s3, 8, v0
	v_lshlrev_b64 v[5:6], 2, v[1:2]
	v_add_co_u32 v5, s0, s14, v5
	v_add_co_ci_u32_e64 v6, null, s15, v6, s0
	global_load_dword v1, v[5:6], off glc dlc
	s_waitcnt vmcnt(0)
	v_cmpx_gt_u32_e32 2.0, v1
	s_cbranch_execz .LBB219_86
; %bb.89:                               ;   in Loop: Header=BB219_87 Depth=1
	s_mov_b32 s5, 0
.LBB219_90:                             ;   Parent Loop BB219_87 Depth=1
                                        ; =>  This Inner Loop Header: Depth=2
	global_load_dword v1, v[5:6], off glc dlc
	s_waitcnt vmcnt(0)
	v_cmp_lt_u32_e64 s0, 0x3fffffff, v1
	s_or_b32 s5, s0, s5
	s_andn2_b32 exec_lo, exec_lo, s5
	s_cbranch_execnz .LBB219_90
	s_branch .LBB219_85
.LBB219_91:                             ;   in Loop: Header=BB219_87 Depth=1
                                        ; implicit-def: $sgpr3
	s_and_b32 s4, exec_lo, s0
	s_or_b32 s2, s4, s2
	s_andn2_b32 exec_lo, exec_lo, s2
	s_cbranch_execnz .LBB219_87
.LBB219_92:
	s_or_b32 exec_lo, exec_lo, s2
	v_add_nc_u32_e32 v1, v10, v8
	v_sub_nc_u32_e32 v2, v10, v7
	v_or_b32_e32 v1, 0x80000000, v1
	global_store_dword v[3:4], v1, off
	global_load_dword v1, v17, s[24:25]
	s_waitcnt vmcnt(0)
	v_add_nc_u32_e32 v1, v2, v1
	ds_write_b32 v17, v1
.LBB219_93:
	s_or_b32 exec_lo, exec_lo, s1
	s_waitcnt lgkmcnt(0)
	s_waitcnt_vscnt null, 0x0
	s_barrier
	buffer_gl0_inv
	ds_read2st64_b32 v[1:2], v17 offset0:4 offset1:20
	ds_read2st64_b32 v[3:4], v17 offset0:36 offset1:52
	v_or_b32_e32 v28, 0x400, v0
	v_or_b32_e32 v29, 0x800, v0
	v_lshlrev_b32_e32 v12, 3, v18
	v_lshlrev_b32_e32 v24, 3, v9
	s_lshl_b64 s[0:1], s[8:9], 3
	v_or_b32_e32 v30, 0xc00, v0
	s_add_u32 s0, s20, s0
	s_addc_u32 s1, s21, s1
	v_add_co_u32 v25, s0, s0, v12
	v_add_co_ci_u32_e64 v31, null, s1, 0, s0
	v_min_u32_e32 v16, 0x1000, v16
	v_min_u32_e32 v15, 0x1000, v15
	;; [unrolled: 1-line block ×3, first 2 shown]
	s_add_i32 s7, s7, -1
	v_lshlrev_b32_e32 v16, 3, v16
	s_waitcnt lgkmcnt(1)
	v_lshrrev_b32_e32 v5, s28, v1
	v_lshrrev_b32_e32 v6, s28, v2
	v_lshlrev_b32_e32 v15, 3, v15
	v_lshlrev_b32_e32 v14, 3, v14
	s_cmp_eq_u32 s6, s7
	v_and_b32_e32 v5, s10, v5
	v_lshlrev_b32_e32 v13, 2, v5
	v_and_b32_e32 v5, s10, v6
	s_waitcnt lgkmcnt(0)
	v_lshrrev_b32_e32 v6, s28, v3
	ds_read_b32 v10, v13
	v_lshlrev_b32_e32 v20, 2, v5
	v_and_b32_e32 v5, s10, v6
	v_lshrrev_b32_e32 v6, s28, v4
	ds_read_b32 v11, v20
	v_lshlrev_b32_e32 v26, 2, v5
	v_and_b32_e32 v5, s10, v6
	v_mov_b32_e32 v6, 0
	ds_read_b32 v19, v26
	v_lshlrev_b32_e32 v27, 2, v5
	ds_read_b32 v22, v27
	s_waitcnt lgkmcnt(3)
	v_add_nc_u32_e32 v5, v10, v0
	v_lshlrev_b64 v[9:10], 2, v[5:6]
	s_waitcnt lgkmcnt(2)
	v_add_nc_u32_e32 v5, v11, v28
	v_lshlrev_b64 v[11:12], 2, v[5:6]
	s_waitcnt lgkmcnt(1)
	v_add_nc_u32_e32 v5, v19, v29
	v_add_co_u32 v9, s0, s18, v9
	v_add_co_ci_u32_e64 v10, null, s19, v10, s0
	v_lshlrev_b64 v[18:19], 2, v[5:6]
	s_waitcnt lgkmcnt(0)
	v_add_nc_u32_e32 v5, v22, v30
	v_add_co_u32 v11, s0, s18, v11
	v_add_co_ci_u32_e64 v12, null, s19, v12, s0
	v_lshlrev_b64 v[22:23], 2, v[5:6]
	v_add_co_u32 v18, s0, s18, v18
	v_add_co_ci_u32_e64 v19, null, s19, v19, s0
	v_min_u32_e32 v5, 0x1000, v21
	v_add_co_u32 v22, s0, s18, v22
	v_add_co_ci_u32_e64 v23, null, s19, v23, s0
	v_add_co_u32 v24, s0, v25, v24
	v_add_co_ci_u32_e64 v25, null, 0, v31, s0
	global_store_dword v[9:10], v1, off
	global_store_dword v[11:12], v2, off
	;; [unrolled: 1-line block ×4, first 2 shown]
	s_clause 0x3
	global_load_dwordx2 v[1:2], v[24:25], off
	global_load_dwordx2 v[3:4], v[24:25], off offset:256
	global_load_dwordx2 v[9:10], v[24:25], off offset:512
	;; [unrolled: 1-line block ×3, first 2 shown]
	v_lshlrev_b32_e32 v5, 3, v5
	s_waitcnt vmcnt(0)
	s_waitcnt_vscnt null, 0x0
	s_barrier
	buffer_gl0_inv
	ds_write_b64 v5, v[1:2] offset:1024
	ds_write_b64 v16, v[3:4] offset:1024
	;; [unrolled: 1-line block ×4, first 2 shown]
	s_waitcnt lgkmcnt(0)
	s_barrier
	buffer_gl0_inv
	ds_read_b32 v1, v13
	ds_read_b32 v4, v20
	;; [unrolled: 1-line block ×4, first 2 shown]
	v_add_nc_u32_e32 v9, v17, v17
	s_waitcnt lgkmcnt(3)
	v_add_nc_u32_e32 v5, v1, v0
	ds_read2st64_b64 v[0:3], v9 offset0:2 offset1:18
	ds_read2st64_b64 v[9:12], v9 offset0:34 offset1:50
	v_lshlrev_b64 v[13:14], 3, v[5:6]
	s_waitcnt lgkmcnt(4)
	v_add_nc_u32_e32 v5, v4, v28
	v_lshlrev_b64 v[15:16], 3, v[5:6]
	s_waitcnt lgkmcnt(3)
	v_add_nc_u32_e32 v5, v18, v29
	v_add_co_u32 v13, s0, s22, v13
	v_add_co_ci_u32_e64 v14, null, s23, v14, s0
	v_lshlrev_b64 v[18:19], 3, v[5:6]
	s_waitcnt lgkmcnt(2)
	v_add_nc_u32_e32 v5, v20, v30
	v_add_co_u32 v15, s0, s22, v15
	v_add_co_ci_u32_e64 v16, null, s23, v16, s0
	s_waitcnt lgkmcnt(1)
	global_store_dwordx2 v[13:14], v[0:1], off
	v_lshlrev_b64 v[0:1], 3, v[5:6]
	global_store_dwordx2 v[15:16], v[2:3], off
	v_add_co_u32 v2, s0, s22, v18
	v_add_co_ci_u32_e64 v3, null, s23, v19, s0
	v_add_co_u32 v0, s0, s22, v0
	v_add_co_ci_u32_e64 v1, null, s23, v1, s0
	s_cselect_b32 s0, -1, 0
	s_xor_b32 s1, vcc_lo, -1
	s_waitcnt lgkmcnt(0)
	global_store_dwordx2 v[2:3], v[9:10], off
	s_and_b32 s0, s1, s0
	global_store_dwordx2 v[0:1], v[11:12], off
	s_and_saveexec_b32 s1, s0
	s_cbranch_execz .LBB219_95
; %bb.94:
	ds_read_b32 v0, v17
	s_waitcnt lgkmcnt(0)
	v_add3_u32 v0, v7, v8, v0
	global_store_dword v17, v0, s[26:27]
.LBB219_95:
	s_endpgm
	.section	.rodata,"a",@progbits
	.p2align	6, 0x0
	.amdhsa_kernel _ZN7rocprim17ROCPRIM_400000_NS6detail17trampoline_kernelINS0_14default_configENS1_35radix_sort_onesweep_config_selectorIjN6thrust23THRUST_200600_302600_NS5tupleIffNS6_9null_typeES8_S8_S8_S8_S8_S8_S8_EEEEZZNS1_29radix_sort_onesweep_iterationIS3_Lb0ENS6_6detail15normal_iteratorINS6_10device_ptrIjEEEESG_NSD_INSE_IS9_EEEESI_jNS0_19identity_decomposerENS1_16block_id_wrapperIjLb0EEEEE10hipError_tT1_PNSt15iterator_traitsISN_E10value_typeET2_T3_PNSO_IST_E10value_typeET4_T5_PSY_SZ_PNS1_23onesweep_lookback_stateEbbT6_jjT7_P12ihipStream_tbENKUlT_T0_SN_SS_E_clISG_PjSI_PS9_EEDaS16_S17_SN_SS_EUlS16_E_NS1_11comp_targetILNS1_3genE8ELNS1_11target_archE1030ELNS1_3gpuE2ELNS1_3repE0EEENS1_47radix_sort_onesweep_sort_config_static_selectorELNS0_4arch9wavefront6targetE0EEEvSN_
		.amdhsa_group_segment_fixed_size 37000
		.amdhsa_private_segment_fixed_size 0
		.amdhsa_kernarg_size 344
		.amdhsa_user_sgpr_count 6
		.amdhsa_user_sgpr_private_segment_buffer 1
		.amdhsa_user_sgpr_dispatch_ptr 0
		.amdhsa_user_sgpr_queue_ptr 0
		.amdhsa_user_sgpr_kernarg_segment_ptr 1
		.amdhsa_user_sgpr_dispatch_id 0
		.amdhsa_user_sgpr_flat_scratch_init 0
		.amdhsa_user_sgpr_private_segment_size 0
		.amdhsa_wavefront_size32 1
		.amdhsa_uses_dynamic_stack 0
		.amdhsa_system_sgpr_private_segment_wavefront_offset 0
		.amdhsa_system_sgpr_workgroup_id_x 1
		.amdhsa_system_sgpr_workgroup_id_y 0
		.amdhsa_system_sgpr_workgroup_id_z 0
		.amdhsa_system_sgpr_workgroup_info 0
		.amdhsa_system_vgpr_workitem_id 2
		.amdhsa_next_free_vgpr 35
		.amdhsa_next_free_sgpr 36
		.amdhsa_reserve_vcc 1
		.amdhsa_reserve_flat_scratch 0
		.amdhsa_float_round_mode_32 0
		.amdhsa_float_round_mode_16_64 0
		.amdhsa_float_denorm_mode_32 3
		.amdhsa_float_denorm_mode_16_64 3
		.amdhsa_dx10_clamp 1
		.amdhsa_ieee_mode 1
		.amdhsa_fp16_overflow 0
		.amdhsa_workgroup_processor_mode 1
		.amdhsa_memory_ordered 1
		.amdhsa_forward_progress 1
		.amdhsa_shared_vgpr_count 0
		.amdhsa_exception_fp_ieee_invalid_op 0
		.amdhsa_exception_fp_denorm_src 0
		.amdhsa_exception_fp_ieee_div_zero 0
		.amdhsa_exception_fp_ieee_overflow 0
		.amdhsa_exception_fp_ieee_underflow 0
		.amdhsa_exception_fp_ieee_inexact 0
		.amdhsa_exception_int_div_zero 0
	.end_amdhsa_kernel
	.section	.text._ZN7rocprim17ROCPRIM_400000_NS6detail17trampoline_kernelINS0_14default_configENS1_35radix_sort_onesweep_config_selectorIjN6thrust23THRUST_200600_302600_NS5tupleIffNS6_9null_typeES8_S8_S8_S8_S8_S8_S8_EEEEZZNS1_29radix_sort_onesweep_iterationIS3_Lb0ENS6_6detail15normal_iteratorINS6_10device_ptrIjEEEESG_NSD_INSE_IS9_EEEESI_jNS0_19identity_decomposerENS1_16block_id_wrapperIjLb0EEEEE10hipError_tT1_PNSt15iterator_traitsISN_E10value_typeET2_T3_PNSO_IST_E10value_typeET4_T5_PSY_SZ_PNS1_23onesweep_lookback_stateEbbT6_jjT7_P12ihipStream_tbENKUlT_T0_SN_SS_E_clISG_PjSI_PS9_EEDaS16_S17_SN_SS_EUlS16_E_NS1_11comp_targetILNS1_3genE8ELNS1_11target_archE1030ELNS1_3gpuE2ELNS1_3repE0EEENS1_47radix_sort_onesweep_sort_config_static_selectorELNS0_4arch9wavefront6targetE0EEEvSN_,"axG",@progbits,_ZN7rocprim17ROCPRIM_400000_NS6detail17trampoline_kernelINS0_14default_configENS1_35radix_sort_onesweep_config_selectorIjN6thrust23THRUST_200600_302600_NS5tupleIffNS6_9null_typeES8_S8_S8_S8_S8_S8_S8_EEEEZZNS1_29radix_sort_onesweep_iterationIS3_Lb0ENS6_6detail15normal_iteratorINS6_10device_ptrIjEEEESG_NSD_INSE_IS9_EEEESI_jNS0_19identity_decomposerENS1_16block_id_wrapperIjLb0EEEEE10hipError_tT1_PNSt15iterator_traitsISN_E10value_typeET2_T3_PNSO_IST_E10value_typeET4_T5_PSY_SZ_PNS1_23onesweep_lookback_stateEbbT6_jjT7_P12ihipStream_tbENKUlT_T0_SN_SS_E_clISG_PjSI_PS9_EEDaS16_S17_SN_SS_EUlS16_E_NS1_11comp_targetILNS1_3genE8ELNS1_11target_archE1030ELNS1_3gpuE2ELNS1_3repE0EEENS1_47radix_sort_onesweep_sort_config_static_selectorELNS0_4arch9wavefront6targetE0EEEvSN_,comdat
.Lfunc_end219:
	.size	_ZN7rocprim17ROCPRIM_400000_NS6detail17trampoline_kernelINS0_14default_configENS1_35radix_sort_onesweep_config_selectorIjN6thrust23THRUST_200600_302600_NS5tupleIffNS6_9null_typeES8_S8_S8_S8_S8_S8_S8_EEEEZZNS1_29radix_sort_onesweep_iterationIS3_Lb0ENS6_6detail15normal_iteratorINS6_10device_ptrIjEEEESG_NSD_INSE_IS9_EEEESI_jNS0_19identity_decomposerENS1_16block_id_wrapperIjLb0EEEEE10hipError_tT1_PNSt15iterator_traitsISN_E10value_typeET2_T3_PNSO_IST_E10value_typeET4_T5_PSY_SZ_PNS1_23onesweep_lookback_stateEbbT6_jjT7_P12ihipStream_tbENKUlT_T0_SN_SS_E_clISG_PjSI_PS9_EEDaS16_S17_SN_SS_EUlS16_E_NS1_11comp_targetILNS1_3genE8ELNS1_11target_archE1030ELNS1_3gpuE2ELNS1_3repE0EEENS1_47radix_sort_onesweep_sort_config_static_selectorELNS0_4arch9wavefront6targetE0EEEvSN_, .Lfunc_end219-_ZN7rocprim17ROCPRIM_400000_NS6detail17trampoline_kernelINS0_14default_configENS1_35radix_sort_onesweep_config_selectorIjN6thrust23THRUST_200600_302600_NS5tupleIffNS6_9null_typeES8_S8_S8_S8_S8_S8_S8_EEEEZZNS1_29radix_sort_onesweep_iterationIS3_Lb0ENS6_6detail15normal_iteratorINS6_10device_ptrIjEEEESG_NSD_INSE_IS9_EEEESI_jNS0_19identity_decomposerENS1_16block_id_wrapperIjLb0EEEEE10hipError_tT1_PNSt15iterator_traitsISN_E10value_typeET2_T3_PNSO_IST_E10value_typeET4_T5_PSY_SZ_PNS1_23onesweep_lookback_stateEbbT6_jjT7_P12ihipStream_tbENKUlT_T0_SN_SS_E_clISG_PjSI_PS9_EEDaS16_S17_SN_SS_EUlS16_E_NS1_11comp_targetILNS1_3genE8ELNS1_11target_archE1030ELNS1_3gpuE2ELNS1_3repE0EEENS1_47radix_sort_onesweep_sort_config_static_selectorELNS0_4arch9wavefront6targetE0EEEvSN_
                                        ; -- End function
	.set _ZN7rocprim17ROCPRIM_400000_NS6detail17trampoline_kernelINS0_14default_configENS1_35radix_sort_onesweep_config_selectorIjN6thrust23THRUST_200600_302600_NS5tupleIffNS6_9null_typeES8_S8_S8_S8_S8_S8_S8_EEEEZZNS1_29radix_sort_onesweep_iterationIS3_Lb0ENS6_6detail15normal_iteratorINS6_10device_ptrIjEEEESG_NSD_INSE_IS9_EEEESI_jNS0_19identity_decomposerENS1_16block_id_wrapperIjLb0EEEEE10hipError_tT1_PNSt15iterator_traitsISN_E10value_typeET2_T3_PNSO_IST_E10value_typeET4_T5_PSY_SZ_PNS1_23onesweep_lookback_stateEbbT6_jjT7_P12ihipStream_tbENKUlT_T0_SN_SS_E_clISG_PjSI_PS9_EEDaS16_S17_SN_SS_EUlS16_E_NS1_11comp_targetILNS1_3genE8ELNS1_11target_archE1030ELNS1_3gpuE2ELNS1_3repE0EEENS1_47radix_sort_onesweep_sort_config_static_selectorELNS0_4arch9wavefront6targetE0EEEvSN_.num_vgpr, 35
	.set _ZN7rocprim17ROCPRIM_400000_NS6detail17trampoline_kernelINS0_14default_configENS1_35radix_sort_onesweep_config_selectorIjN6thrust23THRUST_200600_302600_NS5tupleIffNS6_9null_typeES8_S8_S8_S8_S8_S8_S8_EEEEZZNS1_29radix_sort_onesweep_iterationIS3_Lb0ENS6_6detail15normal_iteratorINS6_10device_ptrIjEEEESG_NSD_INSE_IS9_EEEESI_jNS0_19identity_decomposerENS1_16block_id_wrapperIjLb0EEEEE10hipError_tT1_PNSt15iterator_traitsISN_E10value_typeET2_T3_PNSO_IST_E10value_typeET4_T5_PSY_SZ_PNS1_23onesweep_lookback_stateEbbT6_jjT7_P12ihipStream_tbENKUlT_T0_SN_SS_E_clISG_PjSI_PS9_EEDaS16_S17_SN_SS_EUlS16_E_NS1_11comp_targetILNS1_3genE8ELNS1_11target_archE1030ELNS1_3gpuE2ELNS1_3repE0EEENS1_47radix_sort_onesweep_sort_config_static_selectorELNS0_4arch9wavefront6targetE0EEEvSN_.num_agpr, 0
	.set _ZN7rocprim17ROCPRIM_400000_NS6detail17trampoline_kernelINS0_14default_configENS1_35radix_sort_onesweep_config_selectorIjN6thrust23THRUST_200600_302600_NS5tupleIffNS6_9null_typeES8_S8_S8_S8_S8_S8_S8_EEEEZZNS1_29radix_sort_onesweep_iterationIS3_Lb0ENS6_6detail15normal_iteratorINS6_10device_ptrIjEEEESG_NSD_INSE_IS9_EEEESI_jNS0_19identity_decomposerENS1_16block_id_wrapperIjLb0EEEEE10hipError_tT1_PNSt15iterator_traitsISN_E10value_typeET2_T3_PNSO_IST_E10value_typeET4_T5_PSY_SZ_PNS1_23onesweep_lookback_stateEbbT6_jjT7_P12ihipStream_tbENKUlT_T0_SN_SS_E_clISG_PjSI_PS9_EEDaS16_S17_SN_SS_EUlS16_E_NS1_11comp_targetILNS1_3genE8ELNS1_11target_archE1030ELNS1_3gpuE2ELNS1_3repE0EEENS1_47radix_sort_onesweep_sort_config_static_selectorELNS0_4arch9wavefront6targetE0EEEvSN_.numbered_sgpr, 36
	.set _ZN7rocprim17ROCPRIM_400000_NS6detail17trampoline_kernelINS0_14default_configENS1_35radix_sort_onesweep_config_selectorIjN6thrust23THRUST_200600_302600_NS5tupleIffNS6_9null_typeES8_S8_S8_S8_S8_S8_S8_EEEEZZNS1_29radix_sort_onesweep_iterationIS3_Lb0ENS6_6detail15normal_iteratorINS6_10device_ptrIjEEEESG_NSD_INSE_IS9_EEEESI_jNS0_19identity_decomposerENS1_16block_id_wrapperIjLb0EEEEE10hipError_tT1_PNSt15iterator_traitsISN_E10value_typeET2_T3_PNSO_IST_E10value_typeET4_T5_PSY_SZ_PNS1_23onesweep_lookback_stateEbbT6_jjT7_P12ihipStream_tbENKUlT_T0_SN_SS_E_clISG_PjSI_PS9_EEDaS16_S17_SN_SS_EUlS16_E_NS1_11comp_targetILNS1_3genE8ELNS1_11target_archE1030ELNS1_3gpuE2ELNS1_3repE0EEENS1_47radix_sort_onesweep_sort_config_static_selectorELNS0_4arch9wavefront6targetE0EEEvSN_.num_named_barrier, 0
	.set _ZN7rocprim17ROCPRIM_400000_NS6detail17trampoline_kernelINS0_14default_configENS1_35radix_sort_onesweep_config_selectorIjN6thrust23THRUST_200600_302600_NS5tupleIffNS6_9null_typeES8_S8_S8_S8_S8_S8_S8_EEEEZZNS1_29radix_sort_onesweep_iterationIS3_Lb0ENS6_6detail15normal_iteratorINS6_10device_ptrIjEEEESG_NSD_INSE_IS9_EEEESI_jNS0_19identity_decomposerENS1_16block_id_wrapperIjLb0EEEEE10hipError_tT1_PNSt15iterator_traitsISN_E10value_typeET2_T3_PNSO_IST_E10value_typeET4_T5_PSY_SZ_PNS1_23onesweep_lookback_stateEbbT6_jjT7_P12ihipStream_tbENKUlT_T0_SN_SS_E_clISG_PjSI_PS9_EEDaS16_S17_SN_SS_EUlS16_E_NS1_11comp_targetILNS1_3genE8ELNS1_11target_archE1030ELNS1_3gpuE2ELNS1_3repE0EEENS1_47radix_sort_onesweep_sort_config_static_selectorELNS0_4arch9wavefront6targetE0EEEvSN_.private_seg_size, 0
	.set _ZN7rocprim17ROCPRIM_400000_NS6detail17trampoline_kernelINS0_14default_configENS1_35radix_sort_onesweep_config_selectorIjN6thrust23THRUST_200600_302600_NS5tupleIffNS6_9null_typeES8_S8_S8_S8_S8_S8_S8_EEEEZZNS1_29radix_sort_onesweep_iterationIS3_Lb0ENS6_6detail15normal_iteratorINS6_10device_ptrIjEEEESG_NSD_INSE_IS9_EEEESI_jNS0_19identity_decomposerENS1_16block_id_wrapperIjLb0EEEEE10hipError_tT1_PNSt15iterator_traitsISN_E10value_typeET2_T3_PNSO_IST_E10value_typeET4_T5_PSY_SZ_PNS1_23onesweep_lookback_stateEbbT6_jjT7_P12ihipStream_tbENKUlT_T0_SN_SS_E_clISG_PjSI_PS9_EEDaS16_S17_SN_SS_EUlS16_E_NS1_11comp_targetILNS1_3genE8ELNS1_11target_archE1030ELNS1_3gpuE2ELNS1_3repE0EEENS1_47radix_sort_onesweep_sort_config_static_selectorELNS0_4arch9wavefront6targetE0EEEvSN_.uses_vcc, 1
	.set _ZN7rocprim17ROCPRIM_400000_NS6detail17trampoline_kernelINS0_14default_configENS1_35radix_sort_onesweep_config_selectorIjN6thrust23THRUST_200600_302600_NS5tupleIffNS6_9null_typeES8_S8_S8_S8_S8_S8_S8_EEEEZZNS1_29radix_sort_onesweep_iterationIS3_Lb0ENS6_6detail15normal_iteratorINS6_10device_ptrIjEEEESG_NSD_INSE_IS9_EEEESI_jNS0_19identity_decomposerENS1_16block_id_wrapperIjLb0EEEEE10hipError_tT1_PNSt15iterator_traitsISN_E10value_typeET2_T3_PNSO_IST_E10value_typeET4_T5_PSY_SZ_PNS1_23onesweep_lookback_stateEbbT6_jjT7_P12ihipStream_tbENKUlT_T0_SN_SS_E_clISG_PjSI_PS9_EEDaS16_S17_SN_SS_EUlS16_E_NS1_11comp_targetILNS1_3genE8ELNS1_11target_archE1030ELNS1_3gpuE2ELNS1_3repE0EEENS1_47radix_sort_onesweep_sort_config_static_selectorELNS0_4arch9wavefront6targetE0EEEvSN_.uses_flat_scratch, 0
	.set _ZN7rocprim17ROCPRIM_400000_NS6detail17trampoline_kernelINS0_14default_configENS1_35radix_sort_onesweep_config_selectorIjN6thrust23THRUST_200600_302600_NS5tupleIffNS6_9null_typeES8_S8_S8_S8_S8_S8_S8_EEEEZZNS1_29radix_sort_onesweep_iterationIS3_Lb0ENS6_6detail15normal_iteratorINS6_10device_ptrIjEEEESG_NSD_INSE_IS9_EEEESI_jNS0_19identity_decomposerENS1_16block_id_wrapperIjLb0EEEEE10hipError_tT1_PNSt15iterator_traitsISN_E10value_typeET2_T3_PNSO_IST_E10value_typeET4_T5_PSY_SZ_PNS1_23onesweep_lookback_stateEbbT6_jjT7_P12ihipStream_tbENKUlT_T0_SN_SS_E_clISG_PjSI_PS9_EEDaS16_S17_SN_SS_EUlS16_E_NS1_11comp_targetILNS1_3genE8ELNS1_11target_archE1030ELNS1_3gpuE2ELNS1_3repE0EEENS1_47radix_sort_onesweep_sort_config_static_selectorELNS0_4arch9wavefront6targetE0EEEvSN_.has_dyn_sized_stack, 0
	.set _ZN7rocprim17ROCPRIM_400000_NS6detail17trampoline_kernelINS0_14default_configENS1_35radix_sort_onesweep_config_selectorIjN6thrust23THRUST_200600_302600_NS5tupleIffNS6_9null_typeES8_S8_S8_S8_S8_S8_S8_EEEEZZNS1_29radix_sort_onesweep_iterationIS3_Lb0ENS6_6detail15normal_iteratorINS6_10device_ptrIjEEEESG_NSD_INSE_IS9_EEEESI_jNS0_19identity_decomposerENS1_16block_id_wrapperIjLb0EEEEE10hipError_tT1_PNSt15iterator_traitsISN_E10value_typeET2_T3_PNSO_IST_E10value_typeET4_T5_PSY_SZ_PNS1_23onesweep_lookback_stateEbbT6_jjT7_P12ihipStream_tbENKUlT_T0_SN_SS_E_clISG_PjSI_PS9_EEDaS16_S17_SN_SS_EUlS16_E_NS1_11comp_targetILNS1_3genE8ELNS1_11target_archE1030ELNS1_3gpuE2ELNS1_3repE0EEENS1_47radix_sort_onesweep_sort_config_static_selectorELNS0_4arch9wavefront6targetE0EEEvSN_.has_recursion, 0
	.set _ZN7rocprim17ROCPRIM_400000_NS6detail17trampoline_kernelINS0_14default_configENS1_35radix_sort_onesweep_config_selectorIjN6thrust23THRUST_200600_302600_NS5tupleIffNS6_9null_typeES8_S8_S8_S8_S8_S8_S8_EEEEZZNS1_29radix_sort_onesweep_iterationIS3_Lb0ENS6_6detail15normal_iteratorINS6_10device_ptrIjEEEESG_NSD_INSE_IS9_EEEESI_jNS0_19identity_decomposerENS1_16block_id_wrapperIjLb0EEEEE10hipError_tT1_PNSt15iterator_traitsISN_E10value_typeET2_T3_PNSO_IST_E10value_typeET4_T5_PSY_SZ_PNS1_23onesweep_lookback_stateEbbT6_jjT7_P12ihipStream_tbENKUlT_T0_SN_SS_E_clISG_PjSI_PS9_EEDaS16_S17_SN_SS_EUlS16_E_NS1_11comp_targetILNS1_3genE8ELNS1_11target_archE1030ELNS1_3gpuE2ELNS1_3repE0EEENS1_47radix_sort_onesweep_sort_config_static_selectorELNS0_4arch9wavefront6targetE0EEEvSN_.has_indirect_call, 0
	.section	.AMDGPU.csdata,"",@progbits
; Kernel info:
; codeLenInByte = 7684
; TotalNumSgprs: 38
; NumVgprs: 35
; ScratchSize: 0
; MemoryBound: 0
; FloatMode: 240
; IeeeMode: 1
; LDSByteSize: 37000 bytes/workgroup (compile time only)
; SGPRBlocks: 0
; VGPRBlocks: 4
; NumSGPRsForWavesPerEU: 38
; NumVGPRsForWavesPerEU: 35
; Occupancy: 16
; WaveLimiterHint : 1
; COMPUTE_PGM_RSRC2:SCRATCH_EN: 0
; COMPUTE_PGM_RSRC2:USER_SGPR: 6
; COMPUTE_PGM_RSRC2:TRAP_HANDLER: 0
; COMPUTE_PGM_RSRC2:TGID_X_EN: 1
; COMPUTE_PGM_RSRC2:TGID_Y_EN: 0
; COMPUTE_PGM_RSRC2:TGID_Z_EN: 0
; COMPUTE_PGM_RSRC2:TIDIG_COMP_CNT: 2
	.section	.text._ZN7rocprim17ROCPRIM_400000_NS6detail17trampoline_kernelINS0_14default_configENS1_35radix_sort_onesweep_config_selectorIjN6thrust23THRUST_200600_302600_NS5tupleIffNS6_9null_typeES8_S8_S8_S8_S8_S8_S8_EEEEZZNS1_29radix_sort_onesweep_iterationIS3_Lb0ENS6_6detail15normal_iteratorINS6_10device_ptrIjEEEESG_NSD_INSE_IS9_EEEESI_jNS0_19identity_decomposerENS1_16block_id_wrapperIjLb0EEEEE10hipError_tT1_PNSt15iterator_traitsISN_E10value_typeET2_T3_PNSO_IST_E10value_typeET4_T5_PSY_SZ_PNS1_23onesweep_lookback_stateEbbT6_jjT7_P12ihipStream_tbENKUlT_T0_SN_SS_E_clIPjSG_PS9_SI_EEDaS16_S17_SN_SS_EUlS16_E_NS1_11comp_targetILNS1_3genE0ELNS1_11target_archE4294967295ELNS1_3gpuE0ELNS1_3repE0EEENS1_47radix_sort_onesweep_sort_config_static_selectorELNS0_4arch9wavefront6targetE0EEEvSN_,"axG",@progbits,_ZN7rocprim17ROCPRIM_400000_NS6detail17trampoline_kernelINS0_14default_configENS1_35radix_sort_onesweep_config_selectorIjN6thrust23THRUST_200600_302600_NS5tupleIffNS6_9null_typeES8_S8_S8_S8_S8_S8_S8_EEEEZZNS1_29radix_sort_onesweep_iterationIS3_Lb0ENS6_6detail15normal_iteratorINS6_10device_ptrIjEEEESG_NSD_INSE_IS9_EEEESI_jNS0_19identity_decomposerENS1_16block_id_wrapperIjLb0EEEEE10hipError_tT1_PNSt15iterator_traitsISN_E10value_typeET2_T3_PNSO_IST_E10value_typeET4_T5_PSY_SZ_PNS1_23onesweep_lookback_stateEbbT6_jjT7_P12ihipStream_tbENKUlT_T0_SN_SS_E_clIPjSG_PS9_SI_EEDaS16_S17_SN_SS_EUlS16_E_NS1_11comp_targetILNS1_3genE0ELNS1_11target_archE4294967295ELNS1_3gpuE0ELNS1_3repE0EEENS1_47radix_sort_onesweep_sort_config_static_selectorELNS0_4arch9wavefront6targetE0EEEvSN_,comdat
	.protected	_ZN7rocprim17ROCPRIM_400000_NS6detail17trampoline_kernelINS0_14default_configENS1_35radix_sort_onesweep_config_selectorIjN6thrust23THRUST_200600_302600_NS5tupleIffNS6_9null_typeES8_S8_S8_S8_S8_S8_S8_EEEEZZNS1_29radix_sort_onesweep_iterationIS3_Lb0ENS6_6detail15normal_iteratorINS6_10device_ptrIjEEEESG_NSD_INSE_IS9_EEEESI_jNS0_19identity_decomposerENS1_16block_id_wrapperIjLb0EEEEE10hipError_tT1_PNSt15iterator_traitsISN_E10value_typeET2_T3_PNSO_IST_E10value_typeET4_T5_PSY_SZ_PNS1_23onesweep_lookback_stateEbbT6_jjT7_P12ihipStream_tbENKUlT_T0_SN_SS_E_clIPjSG_PS9_SI_EEDaS16_S17_SN_SS_EUlS16_E_NS1_11comp_targetILNS1_3genE0ELNS1_11target_archE4294967295ELNS1_3gpuE0ELNS1_3repE0EEENS1_47radix_sort_onesweep_sort_config_static_selectorELNS0_4arch9wavefront6targetE0EEEvSN_ ; -- Begin function _ZN7rocprim17ROCPRIM_400000_NS6detail17trampoline_kernelINS0_14default_configENS1_35radix_sort_onesweep_config_selectorIjN6thrust23THRUST_200600_302600_NS5tupleIffNS6_9null_typeES8_S8_S8_S8_S8_S8_S8_EEEEZZNS1_29radix_sort_onesweep_iterationIS3_Lb0ENS6_6detail15normal_iteratorINS6_10device_ptrIjEEEESG_NSD_INSE_IS9_EEEESI_jNS0_19identity_decomposerENS1_16block_id_wrapperIjLb0EEEEE10hipError_tT1_PNSt15iterator_traitsISN_E10value_typeET2_T3_PNSO_IST_E10value_typeET4_T5_PSY_SZ_PNS1_23onesweep_lookback_stateEbbT6_jjT7_P12ihipStream_tbENKUlT_T0_SN_SS_E_clIPjSG_PS9_SI_EEDaS16_S17_SN_SS_EUlS16_E_NS1_11comp_targetILNS1_3genE0ELNS1_11target_archE4294967295ELNS1_3gpuE0ELNS1_3repE0EEENS1_47radix_sort_onesweep_sort_config_static_selectorELNS0_4arch9wavefront6targetE0EEEvSN_
	.globl	_ZN7rocprim17ROCPRIM_400000_NS6detail17trampoline_kernelINS0_14default_configENS1_35radix_sort_onesweep_config_selectorIjN6thrust23THRUST_200600_302600_NS5tupleIffNS6_9null_typeES8_S8_S8_S8_S8_S8_S8_EEEEZZNS1_29radix_sort_onesweep_iterationIS3_Lb0ENS6_6detail15normal_iteratorINS6_10device_ptrIjEEEESG_NSD_INSE_IS9_EEEESI_jNS0_19identity_decomposerENS1_16block_id_wrapperIjLb0EEEEE10hipError_tT1_PNSt15iterator_traitsISN_E10value_typeET2_T3_PNSO_IST_E10value_typeET4_T5_PSY_SZ_PNS1_23onesweep_lookback_stateEbbT6_jjT7_P12ihipStream_tbENKUlT_T0_SN_SS_E_clIPjSG_PS9_SI_EEDaS16_S17_SN_SS_EUlS16_E_NS1_11comp_targetILNS1_3genE0ELNS1_11target_archE4294967295ELNS1_3gpuE0ELNS1_3repE0EEENS1_47radix_sort_onesweep_sort_config_static_selectorELNS0_4arch9wavefront6targetE0EEEvSN_
	.p2align	8
	.type	_ZN7rocprim17ROCPRIM_400000_NS6detail17trampoline_kernelINS0_14default_configENS1_35radix_sort_onesweep_config_selectorIjN6thrust23THRUST_200600_302600_NS5tupleIffNS6_9null_typeES8_S8_S8_S8_S8_S8_S8_EEEEZZNS1_29radix_sort_onesweep_iterationIS3_Lb0ENS6_6detail15normal_iteratorINS6_10device_ptrIjEEEESG_NSD_INSE_IS9_EEEESI_jNS0_19identity_decomposerENS1_16block_id_wrapperIjLb0EEEEE10hipError_tT1_PNSt15iterator_traitsISN_E10value_typeET2_T3_PNSO_IST_E10value_typeET4_T5_PSY_SZ_PNS1_23onesweep_lookback_stateEbbT6_jjT7_P12ihipStream_tbENKUlT_T0_SN_SS_E_clIPjSG_PS9_SI_EEDaS16_S17_SN_SS_EUlS16_E_NS1_11comp_targetILNS1_3genE0ELNS1_11target_archE4294967295ELNS1_3gpuE0ELNS1_3repE0EEENS1_47radix_sort_onesweep_sort_config_static_selectorELNS0_4arch9wavefront6targetE0EEEvSN_,@function
_ZN7rocprim17ROCPRIM_400000_NS6detail17trampoline_kernelINS0_14default_configENS1_35radix_sort_onesweep_config_selectorIjN6thrust23THRUST_200600_302600_NS5tupleIffNS6_9null_typeES8_S8_S8_S8_S8_S8_S8_EEEEZZNS1_29radix_sort_onesweep_iterationIS3_Lb0ENS6_6detail15normal_iteratorINS6_10device_ptrIjEEEESG_NSD_INSE_IS9_EEEESI_jNS0_19identity_decomposerENS1_16block_id_wrapperIjLb0EEEEE10hipError_tT1_PNSt15iterator_traitsISN_E10value_typeET2_T3_PNSO_IST_E10value_typeET4_T5_PSY_SZ_PNS1_23onesweep_lookback_stateEbbT6_jjT7_P12ihipStream_tbENKUlT_T0_SN_SS_E_clIPjSG_PS9_SI_EEDaS16_S17_SN_SS_EUlS16_E_NS1_11comp_targetILNS1_3genE0ELNS1_11target_archE4294967295ELNS1_3gpuE0ELNS1_3repE0EEENS1_47radix_sort_onesweep_sort_config_static_selectorELNS0_4arch9wavefront6targetE0EEEvSN_: ; @_ZN7rocprim17ROCPRIM_400000_NS6detail17trampoline_kernelINS0_14default_configENS1_35radix_sort_onesweep_config_selectorIjN6thrust23THRUST_200600_302600_NS5tupleIffNS6_9null_typeES8_S8_S8_S8_S8_S8_S8_EEEEZZNS1_29radix_sort_onesweep_iterationIS3_Lb0ENS6_6detail15normal_iteratorINS6_10device_ptrIjEEEESG_NSD_INSE_IS9_EEEESI_jNS0_19identity_decomposerENS1_16block_id_wrapperIjLb0EEEEE10hipError_tT1_PNSt15iterator_traitsISN_E10value_typeET2_T3_PNSO_IST_E10value_typeET4_T5_PSY_SZ_PNS1_23onesweep_lookback_stateEbbT6_jjT7_P12ihipStream_tbENKUlT_T0_SN_SS_E_clIPjSG_PS9_SI_EEDaS16_S17_SN_SS_EUlS16_E_NS1_11comp_targetILNS1_3genE0ELNS1_11target_archE4294967295ELNS1_3gpuE0ELNS1_3repE0EEENS1_47radix_sort_onesweep_sort_config_static_selectorELNS0_4arch9wavefront6targetE0EEEvSN_
; %bb.0:
	.section	.rodata,"a",@progbits
	.p2align	6, 0x0
	.amdhsa_kernel _ZN7rocprim17ROCPRIM_400000_NS6detail17trampoline_kernelINS0_14default_configENS1_35radix_sort_onesweep_config_selectorIjN6thrust23THRUST_200600_302600_NS5tupleIffNS6_9null_typeES8_S8_S8_S8_S8_S8_S8_EEEEZZNS1_29radix_sort_onesweep_iterationIS3_Lb0ENS6_6detail15normal_iteratorINS6_10device_ptrIjEEEESG_NSD_INSE_IS9_EEEESI_jNS0_19identity_decomposerENS1_16block_id_wrapperIjLb0EEEEE10hipError_tT1_PNSt15iterator_traitsISN_E10value_typeET2_T3_PNSO_IST_E10value_typeET4_T5_PSY_SZ_PNS1_23onesweep_lookback_stateEbbT6_jjT7_P12ihipStream_tbENKUlT_T0_SN_SS_E_clIPjSG_PS9_SI_EEDaS16_S17_SN_SS_EUlS16_E_NS1_11comp_targetILNS1_3genE0ELNS1_11target_archE4294967295ELNS1_3gpuE0ELNS1_3repE0EEENS1_47radix_sort_onesweep_sort_config_static_selectorELNS0_4arch9wavefront6targetE0EEEvSN_
		.amdhsa_group_segment_fixed_size 0
		.amdhsa_private_segment_fixed_size 0
		.amdhsa_kernarg_size 88
		.amdhsa_user_sgpr_count 6
		.amdhsa_user_sgpr_private_segment_buffer 1
		.amdhsa_user_sgpr_dispatch_ptr 0
		.amdhsa_user_sgpr_queue_ptr 0
		.amdhsa_user_sgpr_kernarg_segment_ptr 1
		.amdhsa_user_sgpr_dispatch_id 0
		.amdhsa_user_sgpr_flat_scratch_init 0
		.amdhsa_user_sgpr_private_segment_size 0
		.amdhsa_wavefront_size32 1
		.amdhsa_uses_dynamic_stack 0
		.amdhsa_system_sgpr_private_segment_wavefront_offset 0
		.amdhsa_system_sgpr_workgroup_id_x 1
		.amdhsa_system_sgpr_workgroup_id_y 0
		.amdhsa_system_sgpr_workgroup_id_z 0
		.amdhsa_system_sgpr_workgroup_info 0
		.amdhsa_system_vgpr_workitem_id 0
		.amdhsa_next_free_vgpr 1
		.amdhsa_next_free_sgpr 1
		.amdhsa_reserve_vcc 0
		.amdhsa_reserve_flat_scratch 0
		.amdhsa_float_round_mode_32 0
		.amdhsa_float_round_mode_16_64 0
		.amdhsa_float_denorm_mode_32 3
		.amdhsa_float_denorm_mode_16_64 3
		.amdhsa_dx10_clamp 1
		.amdhsa_ieee_mode 1
		.amdhsa_fp16_overflow 0
		.amdhsa_workgroup_processor_mode 1
		.amdhsa_memory_ordered 1
		.amdhsa_forward_progress 1
		.amdhsa_shared_vgpr_count 0
		.amdhsa_exception_fp_ieee_invalid_op 0
		.amdhsa_exception_fp_denorm_src 0
		.amdhsa_exception_fp_ieee_div_zero 0
		.amdhsa_exception_fp_ieee_overflow 0
		.amdhsa_exception_fp_ieee_underflow 0
		.amdhsa_exception_fp_ieee_inexact 0
		.amdhsa_exception_int_div_zero 0
	.end_amdhsa_kernel
	.section	.text._ZN7rocprim17ROCPRIM_400000_NS6detail17trampoline_kernelINS0_14default_configENS1_35radix_sort_onesweep_config_selectorIjN6thrust23THRUST_200600_302600_NS5tupleIffNS6_9null_typeES8_S8_S8_S8_S8_S8_S8_EEEEZZNS1_29radix_sort_onesweep_iterationIS3_Lb0ENS6_6detail15normal_iteratorINS6_10device_ptrIjEEEESG_NSD_INSE_IS9_EEEESI_jNS0_19identity_decomposerENS1_16block_id_wrapperIjLb0EEEEE10hipError_tT1_PNSt15iterator_traitsISN_E10value_typeET2_T3_PNSO_IST_E10value_typeET4_T5_PSY_SZ_PNS1_23onesweep_lookback_stateEbbT6_jjT7_P12ihipStream_tbENKUlT_T0_SN_SS_E_clIPjSG_PS9_SI_EEDaS16_S17_SN_SS_EUlS16_E_NS1_11comp_targetILNS1_3genE0ELNS1_11target_archE4294967295ELNS1_3gpuE0ELNS1_3repE0EEENS1_47radix_sort_onesweep_sort_config_static_selectorELNS0_4arch9wavefront6targetE0EEEvSN_,"axG",@progbits,_ZN7rocprim17ROCPRIM_400000_NS6detail17trampoline_kernelINS0_14default_configENS1_35radix_sort_onesweep_config_selectorIjN6thrust23THRUST_200600_302600_NS5tupleIffNS6_9null_typeES8_S8_S8_S8_S8_S8_S8_EEEEZZNS1_29radix_sort_onesweep_iterationIS3_Lb0ENS6_6detail15normal_iteratorINS6_10device_ptrIjEEEESG_NSD_INSE_IS9_EEEESI_jNS0_19identity_decomposerENS1_16block_id_wrapperIjLb0EEEEE10hipError_tT1_PNSt15iterator_traitsISN_E10value_typeET2_T3_PNSO_IST_E10value_typeET4_T5_PSY_SZ_PNS1_23onesweep_lookback_stateEbbT6_jjT7_P12ihipStream_tbENKUlT_T0_SN_SS_E_clIPjSG_PS9_SI_EEDaS16_S17_SN_SS_EUlS16_E_NS1_11comp_targetILNS1_3genE0ELNS1_11target_archE4294967295ELNS1_3gpuE0ELNS1_3repE0EEENS1_47radix_sort_onesweep_sort_config_static_selectorELNS0_4arch9wavefront6targetE0EEEvSN_,comdat
.Lfunc_end220:
	.size	_ZN7rocprim17ROCPRIM_400000_NS6detail17trampoline_kernelINS0_14default_configENS1_35radix_sort_onesweep_config_selectorIjN6thrust23THRUST_200600_302600_NS5tupleIffNS6_9null_typeES8_S8_S8_S8_S8_S8_S8_EEEEZZNS1_29radix_sort_onesweep_iterationIS3_Lb0ENS6_6detail15normal_iteratorINS6_10device_ptrIjEEEESG_NSD_INSE_IS9_EEEESI_jNS0_19identity_decomposerENS1_16block_id_wrapperIjLb0EEEEE10hipError_tT1_PNSt15iterator_traitsISN_E10value_typeET2_T3_PNSO_IST_E10value_typeET4_T5_PSY_SZ_PNS1_23onesweep_lookback_stateEbbT6_jjT7_P12ihipStream_tbENKUlT_T0_SN_SS_E_clIPjSG_PS9_SI_EEDaS16_S17_SN_SS_EUlS16_E_NS1_11comp_targetILNS1_3genE0ELNS1_11target_archE4294967295ELNS1_3gpuE0ELNS1_3repE0EEENS1_47radix_sort_onesweep_sort_config_static_selectorELNS0_4arch9wavefront6targetE0EEEvSN_, .Lfunc_end220-_ZN7rocprim17ROCPRIM_400000_NS6detail17trampoline_kernelINS0_14default_configENS1_35radix_sort_onesweep_config_selectorIjN6thrust23THRUST_200600_302600_NS5tupleIffNS6_9null_typeES8_S8_S8_S8_S8_S8_S8_EEEEZZNS1_29radix_sort_onesweep_iterationIS3_Lb0ENS6_6detail15normal_iteratorINS6_10device_ptrIjEEEESG_NSD_INSE_IS9_EEEESI_jNS0_19identity_decomposerENS1_16block_id_wrapperIjLb0EEEEE10hipError_tT1_PNSt15iterator_traitsISN_E10value_typeET2_T3_PNSO_IST_E10value_typeET4_T5_PSY_SZ_PNS1_23onesweep_lookback_stateEbbT6_jjT7_P12ihipStream_tbENKUlT_T0_SN_SS_E_clIPjSG_PS9_SI_EEDaS16_S17_SN_SS_EUlS16_E_NS1_11comp_targetILNS1_3genE0ELNS1_11target_archE4294967295ELNS1_3gpuE0ELNS1_3repE0EEENS1_47radix_sort_onesweep_sort_config_static_selectorELNS0_4arch9wavefront6targetE0EEEvSN_
                                        ; -- End function
	.set _ZN7rocprim17ROCPRIM_400000_NS6detail17trampoline_kernelINS0_14default_configENS1_35radix_sort_onesweep_config_selectorIjN6thrust23THRUST_200600_302600_NS5tupleIffNS6_9null_typeES8_S8_S8_S8_S8_S8_S8_EEEEZZNS1_29radix_sort_onesweep_iterationIS3_Lb0ENS6_6detail15normal_iteratorINS6_10device_ptrIjEEEESG_NSD_INSE_IS9_EEEESI_jNS0_19identity_decomposerENS1_16block_id_wrapperIjLb0EEEEE10hipError_tT1_PNSt15iterator_traitsISN_E10value_typeET2_T3_PNSO_IST_E10value_typeET4_T5_PSY_SZ_PNS1_23onesweep_lookback_stateEbbT6_jjT7_P12ihipStream_tbENKUlT_T0_SN_SS_E_clIPjSG_PS9_SI_EEDaS16_S17_SN_SS_EUlS16_E_NS1_11comp_targetILNS1_3genE0ELNS1_11target_archE4294967295ELNS1_3gpuE0ELNS1_3repE0EEENS1_47radix_sort_onesweep_sort_config_static_selectorELNS0_4arch9wavefront6targetE0EEEvSN_.num_vgpr, 0
	.set _ZN7rocprim17ROCPRIM_400000_NS6detail17trampoline_kernelINS0_14default_configENS1_35radix_sort_onesweep_config_selectorIjN6thrust23THRUST_200600_302600_NS5tupleIffNS6_9null_typeES8_S8_S8_S8_S8_S8_S8_EEEEZZNS1_29radix_sort_onesweep_iterationIS3_Lb0ENS6_6detail15normal_iteratorINS6_10device_ptrIjEEEESG_NSD_INSE_IS9_EEEESI_jNS0_19identity_decomposerENS1_16block_id_wrapperIjLb0EEEEE10hipError_tT1_PNSt15iterator_traitsISN_E10value_typeET2_T3_PNSO_IST_E10value_typeET4_T5_PSY_SZ_PNS1_23onesweep_lookback_stateEbbT6_jjT7_P12ihipStream_tbENKUlT_T0_SN_SS_E_clIPjSG_PS9_SI_EEDaS16_S17_SN_SS_EUlS16_E_NS1_11comp_targetILNS1_3genE0ELNS1_11target_archE4294967295ELNS1_3gpuE0ELNS1_3repE0EEENS1_47radix_sort_onesweep_sort_config_static_selectorELNS0_4arch9wavefront6targetE0EEEvSN_.num_agpr, 0
	.set _ZN7rocprim17ROCPRIM_400000_NS6detail17trampoline_kernelINS0_14default_configENS1_35radix_sort_onesweep_config_selectorIjN6thrust23THRUST_200600_302600_NS5tupleIffNS6_9null_typeES8_S8_S8_S8_S8_S8_S8_EEEEZZNS1_29radix_sort_onesweep_iterationIS3_Lb0ENS6_6detail15normal_iteratorINS6_10device_ptrIjEEEESG_NSD_INSE_IS9_EEEESI_jNS0_19identity_decomposerENS1_16block_id_wrapperIjLb0EEEEE10hipError_tT1_PNSt15iterator_traitsISN_E10value_typeET2_T3_PNSO_IST_E10value_typeET4_T5_PSY_SZ_PNS1_23onesweep_lookback_stateEbbT6_jjT7_P12ihipStream_tbENKUlT_T0_SN_SS_E_clIPjSG_PS9_SI_EEDaS16_S17_SN_SS_EUlS16_E_NS1_11comp_targetILNS1_3genE0ELNS1_11target_archE4294967295ELNS1_3gpuE0ELNS1_3repE0EEENS1_47radix_sort_onesweep_sort_config_static_selectorELNS0_4arch9wavefront6targetE0EEEvSN_.numbered_sgpr, 0
	.set _ZN7rocprim17ROCPRIM_400000_NS6detail17trampoline_kernelINS0_14default_configENS1_35radix_sort_onesweep_config_selectorIjN6thrust23THRUST_200600_302600_NS5tupleIffNS6_9null_typeES8_S8_S8_S8_S8_S8_S8_EEEEZZNS1_29radix_sort_onesweep_iterationIS3_Lb0ENS6_6detail15normal_iteratorINS6_10device_ptrIjEEEESG_NSD_INSE_IS9_EEEESI_jNS0_19identity_decomposerENS1_16block_id_wrapperIjLb0EEEEE10hipError_tT1_PNSt15iterator_traitsISN_E10value_typeET2_T3_PNSO_IST_E10value_typeET4_T5_PSY_SZ_PNS1_23onesweep_lookback_stateEbbT6_jjT7_P12ihipStream_tbENKUlT_T0_SN_SS_E_clIPjSG_PS9_SI_EEDaS16_S17_SN_SS_EUlS16_E_NS1_11comp_targetILNS1_3genE0ELNS1_11target_archE4294967295ELNS1_3gpuE0ELNS1_3repE0EEENS1_47radix_sort_onesweep_sort_config_static_selectorELNS0_4arch9wavefront6targetE0EEEvSN_.num_named_barrier, 0
	.set _ZN7rocprim17ROCPRIM_400000_NS6detail17trampoline_kernelINS0_14default_configENS1_35radix_sort_onesweep_config_selectorIjN6thrust23THRUST_200600_302600_NS5tupleIffNS6_9null_typeES8_S8_S8_S8_S8_S8_S8_EEEEZZNS1_29radix_sort_onesweep_iterationIS3_Lb0ENS6_6detail15normal_iteratorINS6_10device_ptrIjEEEESG_NSD_INSE_IS9_EEEESI_jNS0_19identity_decomposerENS1_16block_id_wrapperIjLb0EEEEE10hipError_tT1_PNSt15iterator_traitsISN_E10value_typeET2_T3_PNSO_IST_E10value_typeET4_T5_PSY_SZ_PNS1_23onesweep_lookback_stateEbbT6_jjT7_P12ihipStream_tbENKUlT_T0_SN_SS_E_clIPjSG_PS9_SI_EEDaS16_S17_SN_SS_EUlS16_E_NS1_11comp_targetILNS1_3genE0ELNS1_11target_archE4294967295ELNS1_3gpuE0ELNS1_3repE0EEENS1_47radix_sort_onesweep_sort_config_static_selectorELNS0_4arch9wavefront6targetE0EEEvSN_.private_seg_size, 0
	.set _ZN7rocprim17ROCPRIM_400000_NS6detail17trampoline_kernelINS0_14default_configENS1_35radix_sort_onesweep_config_selectorIjN6thrust23THRUST_200600_302600_NS5tupleIffNS6_9null_typeES8_S8_S8_S8_S8_S8_S8_EEEEZZNS1_29radix_sort_onesweep_iterationIS3_Lb0ENS6_6detail15normal_iteratorINS6_10device_ptrIjEEEESG_NSD_INSE_IS9_EEEESI_jNS0_19identity_decomposerENS1_16block_id_wrapperIjLb0EEEEE10hipError_tT1_PNSt15iterator_traitsISN_E10value_typeET2_T3_PNSO_IST_E10value_typeET4_T5_PSY_SZ_PNS1_23onesweep_lookback_stateEbbT6_jjT7_P12ihipStream_tbENKUlT_T0_SN_SS_E_clIPjSG_PS9_SI_EEDaS16_S17_SN_SS_EUlS16_E_NS1_11comp_targetILNS1_3genE0ELNS1_11target_archE4294967295ELNS1_3gpuE0ELNS1_3repE0EEENS1_47radix_sort_onesweep_sort_config_static_selectorELNS0_4arch9wavefront6targetE0EEEvSN_.uses_vcc, 0
	.set _ZN7rocprim17ROCPRIM_400000_NS6detail17trampoline_kernelINS0_14default_configENS1_35radix_sort_onesweep_config_selectorIjN6thrust23THRUST_200600_302600_NS5tupleIffNS6_9null_typeES8_S8_S8_S8_S8_S8_S8_EEEEZZNS1_29radix_sort_onesweep_iterationIS3_Lb0ENS6_6detail15normal_iteratorINS6_10device_ptrIjEEEESG_NSD_INSE_IS9_EEEESI_jNS0_19identity_decomposerENS1_16block_id_wrapperIjLb0EEEEE10hipError_tT1_PNSt15iterator_traitsISN_E10value_typeET2_T3_PNSO_IST_E10value_typeET4_T5_PSY_SZ_PNS1_23onesweep_lookback_stateEbbT6_jjT7_P12ihipStream_tbENKUlT_T0_SN_SS_E_clIPjSG_PS9_SI_EEDaS16_S17_SN_SS_EUlS16_E_NS1_11comp_targetILNS1_3genE0ELNS1_11target_archE4294967295ELNS1_3gpuE0ELNS1_3repE0EEENS1_47radix_sort_onesweep_sort_config_static_selectorELNS0_4arch9wavefront6targetE0EEEvSN_.uses_flat_scratch, 0
	.set _ZN7rocprim17ROCPRIM_400000_NS6detail17trampoline_kernelINS0_14default_configENS1_35radix_sort_onesweep_config_selectorIjN6thrust23THRUST_200600_302600_NS5tupleIffNS6_9null_typeES8_S8_S8_S8_S8_S8_S8_EEEEZZNS1_29radix_sort_onesweep_iterationIS3_Lb0ENS6_6detail15normal_iteratorINS6_10device_ptrIjEEEESG_NSD_INSE_IS9_EEEESI_jNS0_19identity_decomposerENS1_16block_id_wrapperIjLb0EEEEE10hipError_tT1_PNSt15iterator_traitsISN_E10value_typeET2_T3_PNSO_IST_E10value_typeET4_T5_PSY_SZ_PNS1_23onesweep_lookback_stateEbbT6_jjT7_P12ihipStream_tbENKUlT_T0_SN_SS_E_clIPjSG_PS9_SI_EEDaS16_S17_SN_SS_EUlS16_E_NS1_11comp_targetILNS1_3genE0ELNS1_11target_archE4294967295ELNS1_3gpuE0ELNS1_3repE0EEENS1_47radix_sort_onesweep_sort_config_static_selectorELNS0_4arch9wavefront6targetE0EEEvSN_.has_dyn_sized_stack, 0
	.set _ZN7rocprim17ROCPRIM_400000_NS6detail17trampoline_kernelINS0_14default_configENS1_35radix_sort_onesweep_config_selectorIjN6thrust23THRUST_200600_302600_NS5tupleIffNS6_9null_typeES8_S8_S8_S8_S8_S8_S8_EEEEZZNS1_29radix_sort_onesweep_iterationIS3_Lb0ENS6_6detail15normal_iteratorINS6_10device_ptrIjEEEESG_NSD_INSE_IS9_EEEESI_jNS0_19identity_decomposerENS1_16block_id_wrapperIjLb0EEEEE10hipError_tT1_PNSt15iterator_traitsISN_E10value_typeET2_T3_PNSO_IST_E10value_typeET4_T5_PSY_SZ_PNS1_23onesweep_lookback_stateEbbT6_jjT7_P12ihipStream_tbENKUlT_T0_SN_SS_E_clIPjSG_PS9_SI_EEDaS16_S17_SN_SS_EUlS16_E_NS1_11comp_targetILNS1_3genE0ELNS1_11target_archE4294967295ELNS1_3gpuE0ELNS1_3repE0EEENS1_47radix_sort_onesweep_sort_config_static_selectorELNS0_4arch9wavefront6targetE0EEEvSN_.has_recursion, 0
	.set _ZN7rocprim17ROCPRIM_400000_NS6detail17trampoline_kernelINS0_14default_configENS1_35radix_sort_onesweep_config_selectorIjN6thrust23THRUST_200600_302600_NS5tupleIffNS6_9null_typeES8_S8_S8_S8_S8_S8_S8_EEEEZZNS1_29radix_sort_onesweep_iterationIS3_Lb0ENS6_6detail15normal_iteratorINS6_10device_ptrIjEEEESG_NSD_INSE_IS9_EEEESI_jNS0_19identity_decomposerENS1_16block_id_wrapperIjLb0EEEEE10hipError_tT1_PNSt15iterator_traitsISN_E10value_typeET2_T3_PNSO_IST_E10value_typeET4_T5_PSY_SZ_PNS1_23onesweep_lookback_stateEbbT6_jjT7_P12ihipStream_tbENKUlT_T0_SN_SS_E_clIPjSG_PS9_SI_EEDaS16_S17_SN_SS_EUlS16_E_NS1_11comp_targetILNS1_3genE0ELNS1_11target_archE4294967295ELNS1_3gpuE0ELNS1_3repE0EEENS1_47radix_sort_onesweep_sort_config_static_selectorELNS0_4arch9wavefront6targetE0EEEvSN_.has_indirect_call, 0
	.section	.AMDGPU.csdata,"",@progbits
; Kernel info:
; codeLenInByte = 0
; TotalNumSgprs: 0
; NumVgprs: 0
; ScratchSize: 0
; MemoryBound: 0
; FloatMode: 240
; IeeeMode: 1
; LDSByteSize: 0 bytes/workgroup (compile time only)
; SGPRBlocks: 0
; VGPRBlocks: 0
; NumSGPRsForWavesPerEU: 1
; NumVGPRsForWavesPerEU: 1
; Occupancy: 16
; WaveLimiterHint : 0
; COMPUTE_PGM_RSRC2:SCRATCH_EN: 0
; COMPUTE_PGM_RSRC2:USER_SGPR: 6
; COMPUTE_PGM_RSRC2:TRAP_HANDLER: 0
; COMPUTE_PGM_RSRC2:TGID_X_EN: 1
; COMPUTE_PGM_RSRC2:TGID_Y_EN: 0
; COMPUTE_PGM_RSRC2:TGID_Z_EN: 0
; COMPUTE_PGM_RSRC2:TIDIG_COMP_CNT: 0
	.section	.text._ZN7rocprim17ROCPRIM_400000_NS6detail17trampoline_kernelINS0_14default_configENS1_35radix_sort_onesweep_config_selectorIjN6thrust23THRUST_200600_302600_NS5tupleIffNS6_9null_typeES8_S8_S8_S8_S8_S8_S8_EEEEZZNS1_29radix_sort_onesweep_iterationIS3_Lb0ENS6_6detail15normal_iteratorINS6_10device_ptrIjEEEESG_NSD_INSE_IS9_EEEESI_jNS0_19identity_decomposerENS1_16block_id_wrapperIjLb0EEEEE10hipError_tT1_PNSt15iterator_traitsISN_E10value_typeET2_T3_PNSO_IST_E10value_typeET4_T5_PSY_SZ_PNS1_23onesweep_lookback_stateEbbT6_jjT7_P12ihipStream_tbENKUlT_T0_SN_SS_E_clIPjSG_PS9_SI_EEDaS16_S17_SN_SS_EUlS16_E_NS1_11comp_targetILNS1_3genE6ELNS1_11target_archE950ELNS1_3gpuE13ELNS1_3repE0EEENS1_47radix_sort_onesweep_sort_config_static_selectorELNS0_4arch9wavefront6targetE0EEEvSN_,"axG",@progbits,_ZN7rocprim17ROCPRIM_400000_NS6detail17trampoline_kernelINS0_14default_configENS1_35radix_sort_onesweep_config_selectorIjN6thrust23THRUST_200600_302600_NS5tupleIffNS6_9null_typeES8_S8_S8_S8_S8_S8_S8_EEEEZZNS1_29radix_sort_onesweep_iterationIS3_Lb0ENS6_6detail15normal_iteratorINS6_10device_ptrIjEEEESG_NSD_INSE_IS9_EEEESI_jNS0_19identity_decomposerENS1_16block_id_wrapperIjLb0EEEEE10hipError_tT1_PNSt15iterator_traitsISN_E10value_typeET2_T3_PNSO_IST_E10value_typeET4_T5_PSY_SZ_PNS1_23onesweep_lookback_stateEbbT6_jjT7_P12ihipStream_tbENKUlT_T0_SN_SS_E_clIPjSG_PS9_SI_EEDaS16_S17_SN_SS_EUlS16_E_NS1_11comp_targetILNS1_3genE6ELNS1_11target_archE950ELNS1_3gpuE13ELNS1_3repE0EEENS1_47radix_sort_onesweep_sort_config_static_selectorELNS0_4arch9wavefront6targetE0EEEvSN_,comdat
	.protected	_ZN7rocprim17ROCPRIM_400000_NS6detail17trampoline_kernelINS0_14default_configENS1_35radix_sort_onesweep_config_selectorIjN6thrust23THRUST_200600_302600_NS5tupleIffNS6_9null_typeES8_S8_S8_S8_S8_S8_S8_EEEEZZNS1_29radix_sort_onesweep_iterationIS3_Lb0ENS6_6detail15normal_iteratorINS6_10device_ptrIjEEEESG_NSD_INSE_IS9_EEEESI_jNS0_19identity_decomposerENS1_16block_id_wrapperIjLb0EEEEE10hipError_tT1_PNSt15iterator_traitsISN_E10value_typeET2_T3_PNSO_IST_E10value_typeET4_T5_PSY_SZ_PNS1_23onesweep_lookback_stateEbbT6_jjT7_P12ihipStream_tbENKUlT_T0_SN_SS_E_clIPjSG_PS9_SI_EEDaS16_S17_SN_SS_EUlS16_E_NS1_11comp_targetILNS1_3genE6ELNS1_11target_archE950ELNS1_3gpuE13ELNS1_3repE0EEENS1_47radix_sort_onesweep_sort_config_static_selectorELNS0_4arch9wavefront6targetE0EEEvSN_ ; -- Begin function _ZN7rocprim17ROCPRIM_400000_NS6detail17trampoline_kernelINS0_14default_configENS1_35radix_sort_onesweep_config_selectorIjN6thrust23THRUST_200600_302600_NS5tupleIffNS6_9null_typeES8_S8_S8_S8_S8_S8_S8_EEEEZZNS1_29radix_sort_onesweep_iterationIS3_Lb0ENS6_6detail15normal_iteratorINS6_10device_ptrIjEEEESG_NSD_INSE_IS9_EEEESI_jNS0_19identity_decomposerENS1_16block_id_wrapperIjLb0EEEEE10hipError_tT1_PNSt15iterator_traitsISN_E10value_typeET2_T3_PNSO_IST_E10value_typeET4_T5_PSY_SZ_PNS1_23onesweep_lookback_stateEbbT6_jjT7_P12ihipStream_tbENKUlT_T0_SN_SS_E_clIPjSG_PS9_SI_EEDaS16_S17_SN_SS_EUlS16_E_NS1_11comp_targetILNS1_3genE6ELNS1_11target_archE950ELNS1_3gpuE13ELNS1_3repE0EEENS1_47radix_sort_onesweep_sort_config_static_selectorELNS0_4arch9wavefront6targetE0EEEvSN_
	.globl	_ZN7rocprim17ROCPRIM_400000_NS6detail17trampoline_kernelINS0_14default_configENS1_35radix_sort_onesweep_config_selectorIjN6thrust23THRUST_200600_302600_NS5tupleIffNS6_9null_typeES8_S8_S8_S8_S8_S8_S8_EEEEZZNS1_29radix_sort_onesweep_iterationIS3_Lb0ENS6_6detail15normal_iteratorINS6_10device_ptrIjEEEESG_NSD_INSE_IS9_EEEESI_jNS0_19identity_decomposerENS1_16block_id_wrapperIjLb0EEEEE10hipError_tT1_PNSt15iterator_traitsISN_E10value_typeET2_T3_PNSO_IST_E10value_typeET4_T5_PSY_SZ_PNS1_23onesweep_lookback_stateEbbT6_jjT7_P12ihipStream_tbENKUlT_T0_SN_SS_E_clIPjSG_PS9_SI_EEDaS16_S17_SN_SS_EUlS16_E_NS1_11comp_targetILNS1_3genE6ELNS1_11target_archE950ELNS1_3gpuE13ELNS1_3repE0EEENS1_47radix_sort_onesweep_sort_config_static_selectorELNS0_4arch9wavefront6targetE0EEEvSN_
	.p2align	8
	.type	_ZN7rocprim17ROCPRIM_400000_NS6detail17trampoline_kernelINS0_14default_configENS1_35radix_sort_onesweep_config_selectorIjN6thrust23THRUST_200600_302600_NS5tupleIffNS6_9null_typeES8_S8_S8_S8_S8_S8_S8_EEEEZZNS1_29radix_sort_onesweep_iterationIS3_Lb0ENS6_6detail15normal_iteratorINS6_10device_ptrIjEEEESG_NSD_INSE_IS9_EEEESI_jNS0_19identity_decomposerENS1_16block_id_wrapperIjLb0EEEEE10hipError_tT1_PNSt15iterator_traitsISN_E10value_typeET2_T3_PNSO_IST_E10value_typeET4_T5_PSY_SZ_PNS1_23onesweep_lookback_stateEbbT6_jjT7_P12ihipStream_tbENKUlT_T0_SN_SS_E_clIPjSG_PS9_SI_EEDaS16_S17_SN_SS_EUlS16_E_NS1_11comp_targetILNS1_3genE6ELNS1_11target_archE950ELNS1_3gpuE13ELNS1_3repE0EEENS1_47radix_sort_onesweep_sort_config_static_selectorELNS0_4arch9wavefront6targetE0EEEvSN_,@function
_ZN7rocprim17ROCPRIM_400000_NS6detail17trampoline_kernelINS0_14default_configENS1_35radix_sort_onesweep_config_selectorIjN6thrust23THRUST_200600_302600_NS5tupleIffNS6_9null_typeES8_S8_S8_S8_S8_S8_S8_EEEEZZNS1_29radix_sort_onesweep_iterationIS3_Lb0ENS6_6detail15normal_iteratorINS6_10device_ptrIjEEEESG_NSD_INSE_IS9_EEEESI_jNS0_19identity_decomposerENS1_16block_id_wrapperIjLb0EEEEE10hipError_tT1_PNSt15iterator_traitsISN_E10value_typeET2_T3_PNSO_IST_E10value_typeET4_T5_PSY_SZ_PNS1_23onesweep_lookback_stateEbbT6_jjT7_P12ihipStream_tbENKUlT_T0_SN_SS_E_clIPjSG_PS9_SI_EEDaS16_S17_SN_SS_EUlS16_E_NS1_11comp_targetILNS1_3genE6ELNS1_11target_archE950ELNS1_3gpuE13ELNS1_3repE0EEENS1_47radix_sort_onesweep_sort_config_static_selectorELNS0_4arch9wavefront6targetE0EEEvSN_: ; @_ZN7rocprim17ROCPRIM_400000_NS6detail17trampoline_kernelINS0_14default_configENS1_35radix_sort_onesweep_config_selectorIjN6thrust23THRUST_200600_302600_NS5tupleIffNS6_9null_typeES8_S8_S8_S8_S8_S8_S8_EEEEZZNS1_29radix_sort_onesweep_iterationIS3_Lb0ENS6_6detail15normal_iteratorINS6_10device_ptrIjEEEESG_NSD_INSE_IS9_EEEESI_jNS0_19identity_decomposerENS1_16block_id_wrapperIjLb0EEEEE10hipError_tT1_PNSt15iterator_traitsISN_E10value_typeET2_T3_PNSO_IST_E10value_typeET4_T5_PSY_SZ_PNS1_23onesweep_lookback_stateEbbT6_jjT7_P12ihipStream_tbENKUlT_T0_SN_SS_E_clIPjSG_PS9_SI_EEDaS16_S17_SN_SS_EUlS16_E_NS1_11comp_targetILNS1_3genE6ELNS1_11target_archE950ELNS1_3gpuE13ELNS1_3repE0EEENS1_47radix_sort_onesweep_sort_config_static_selectorELNS0_4arch9wavefront6targetE0EEEvSN_
; %bb.0:
	.section	.rodata,"a",@progbits
	.p2align	6, 0x0
	.amdhsa_kernel _ZN7rocprim17ROCPRIM_400000_NS6detail17trampoline_kernelINS0_14default_configENS1_35radix_sort_onesweep_config_selectorIjN6thrust23THRUST_200600_302600_NS5tupleIffNS6_9null_typeES8_S8_S8_S8_S8_S8_S8_EEEEZZNS1_29radix_sort_onesweep_iterationIS3_Lb0ENS6_6detail15normal_iteratorINS6_10device_ptrIjEEEESG_NSD_INSE_IS9_EEEESI_jNS0_19identity_decomposerENS1_16block_id_wrapperIjLb0EEEEE10hipError_tT1_PNSt15iterator_traitsISN_E10value_typeET2_T3_PNSO_IST_E10value_typeET4_T5_PSY_SZ_PNS1_23onesweep_lookback_stateEbbT6_jjT7_P12ihipStream_tbENKUlT_T0_SN_SS_E_clIPjSG_PS9_SI_EEDaS16_S17_SN_SS_EUlS16_E_NS1_11comp_targetILNS1_3genE6ELNS1_11target_archE950ELNS1_3gpuE13ELNS1_3repE0EEENS1_47radix_sort_onesweep_sort_config_static_selectorELNS0_4arch9wavefront6targetE0EEEvSN_
		.amdhsa_group_segment_fixed_size 0
		.amdhsa_private_segment_fixed_size 0
		.amdhsa_kernarg_size 88
		.amdhsa_user_sgpr_count 6
		.amdhsa_user_sgpr_private_segment_buffer 1
		.amdhsa_user_sgpr_dispatch_ptr 0
		.amdhsa_user_sgpr_queue_ptr 0
		.amdhsa_user_sgpr_kernarg_segment_ptr 1
		.amdhsa_user_sgpr_dispatch_id 0
		.amdhsa_user_sgpr_flat_scratch_init 0
		.amdhsa_user_sgpr_private_segment_size 0
		.amdhsa_wavefront_size32 1
		.amdhsa_uses_dynamic_stack 0
		.amdhsa_system_sgpr_private_segment_wavefront_offset 0
		.amdhsa_system_sgpr_workgroup_id_x 1
		.amdhsa_system_sgpr_workgroup_id_y 0
		.amdhsa_system_sgpr_workgroup_id_z 0
		.amdhsa_system_sgpr_workgroup_info 0
		.amdhsa_system_vgpr_workitem_id 0
		.amdhsa_next_free_vgpr 1
		.amdhsa_next_free_sgpr 1
		.amdhsa_reserve_vcc 0
		.amdhsa_reserve_flat_scratch 0
		.amdhsa_float_round_mode_32 0
		.amdhsa_float_round_mode_16_64 0
		.amdhsa_float_denorm_mode_32 3
		.amdhsa_float_denorm_mode_16_64 3
		.amdhsa_dx10_clamp 1
		.amdhsa_ieee_mode 1
		.amdhsa_fp16_overflow 0
		.amdhsa_workgroup_processor_mode 1
		.amdhsa_memory_ordered 1
		.amdhsa_forward_progress 1
		.amdhsa_shared_vgpr_count 0
		.amdhsa_exception_fp_ieee_invalid_op 0
		.amdhsa_exception_fp_denorm_src 0
		.amdhsa_exception_fp_ieee_div_zero 0
		.amdhsa_exception_fp_ieee_overflow 0
		.amdhsa_exception_fp_ieee_underflow 0
		.amdhsa_exception_fp_ieee_inexact 0
		.amdhsa_exception_int_div_zero 0
	.end_amdhsa_kernel
	.section	.text._ZN7rocprim17ROCPRIM_400000_NS6detail17trampoline_kernelINS0_14default_configENS1_35radix_sort_onesweep_config_selectorIjN6thrust23THRUST_200600_302600_NS5tupleIffNS6_9null_typeES8_S8_S8_S8_S8_S8_S8_EEEEZZNS1_29radix_sort_onesweep_iterationIS3_Lb0ENS6_6detail15normal_iteratorINS6_10device_ptrIjEEEESG_NSD_INSE_IS9_EEEESI_jNS0_19identity_decomposerENS1_16block_id_wrapperIjLb0EEEEE10hipError_tT1_PNSt15iterator_traitsISN_E10value_typeET2_T3_PNSO_IST_E10value_typeET4_T5_PSY_SZ_PNS1_23onesweep_lookback_stateEbbT6_jjT7_P12ihipStream_tbENKUlT_T0_SN_SS_E_clIPjSG_PS9_SI_EEDaS16_S17_SN_SS_EUlS16_E_NS1_11comp_targetILNS1_3genE6ELNS1_11target_archE950ELNS1_3gpuE13ELNS1_3repE0EEENS1_47radix_sort_onesweep_sort_config_static_selectorELNS0_4arch9wavefront6targetE0EEEvSN_,"axG",@progbits,_ZN7rocprim17ROCPRIM_400000_NS6detail17trampoline_kernelINS0_14default_configENS1_35radix_sort_onesweep_config_selectorIjN6thrust23THRUST_200600_302600_NS5tupleIffNS6_9null_typeES8_S8_S8_S8_S8_S8_S8_EEEEZZNS1_29radix_sort_onesweep_iterationIS3_Lb0ENS6_6detail15normal_iteratorINS6_10device_ptrIjEEEESG_NSD_INSE_IS9_EEEESI_jNS0_19identity_decomposerENS1_16block_id_wrapperIjLb0EEEEE10hipError_tT1_PNSt15iterator_traitsISN_E10value_typeET2_T3_PNSO_IST_E10value_typeET4_T5_PSY_SZ_PNS1_23onesweep_lookback_stateEbbT6_jjT7_P12ihipStream_tbENKUlT_T0_SN_SS_E_clIPjSG_PS9_SI_EEDaS16_S17_SN_SS_EUlS16_E_NS1_11comp_targetILNS1_3genE6ELNS1_11target_archE950ELNS1_3gpuE13ELNS1_3repE0EEENS1_47radix_sort_onesweep_sort_config_static_selectorELNS0_4arch9wavefront6targetE0EEEvSN_,comdat
.Lfunc_end221:
	.size	_ZN7rocprim17ROCPRIM_400000_NS6detail17trampoline_kernelINS0_14default_configENS1_35radix_sort_onesweep_config_selectorIjN6thrust23THRUST_200600_302600_NS5tupleIffNS6_9null_typeES8_S8_S8_S8_S8_S8_S8_EEEEZZNS1_29radix_sort_onesweep_iterationIS3_Lb0ENS6_6detail15normal_iteratorINS6_10device_ptrIjEEEESG_NSD_INSE_IS9_EEEESI_jNS0_19identity_decomposerENS1_16block_id_wrapperIjLb0EEEEE10hipError_tT1_PNSt15iterator_traitsISN_E10value_typeET2_T3_PNSO_IST_E10value_typeET4_T5_PSY_SZ_PNS1_23onesweep_lookback_stateEbbT6_jjT7_P12ihipStream_tbENKUlT_T0_SN_SS_E_clIPjSG_PS9_SI_EEDaS16_S17_SN_SS_EUlS16_E_NS1_11comp_targetILNS1_3genE6ELNS1_11target_archE950ELNS1_3gpuE13ELNS1_3repE0EEENS1_47radix_sort_onesweep_sort_config_static_selectorELNS0_4arch9wavefront6targetE0EEEvSN_, .Lfunc_end221-_ZN7rocprim17ROCPRIM_400000_NS6detail17trampoline_kernelINS0_14default_configENS1_35radix_sort_onesweep_config_selectorIjN6thrust23THRUST_200600_302600_NS5tupleIffNS6_9null_typeES8_S8_S8_S8_S8_S8_S8_EEEEZZNS1_29radix_sort_onesweep_iterationIS3_Lb0ENS6_6detail15normal_iteratorINS6_10device_ptrIjEEEESG_NSD_INSE_IS9_EEEESI_jNS0_19identity_decomposerENS1_16block_id_wrapperIjLb0EEEEE10hipError_tT1_PNSt15iterator_traitsISN_E10value_typeET2_T3_PNSO_IST_E10value_typeET4_T5_PSY_SZ_PNS1_23onesweep_lookback_stateEbbT6_jjT7_P12ihipStream_tbENKUlT_T0_SN_SS_E_clIPjSG_PS9_SI_EEDaS16_S17_SN_SS_EUlS16_E_NS1_11comp_targetILNS1_3genE6ELNS1_11target_archE950ELNS1_3gpuE13ELNS1_3repE0EEENS1_47radix_sort_onesweep_sort_config_static_selectorELNS0_4arch9wavefront6targetE0EEEvSN_
                                        ; -- End function
	.set _ZN7rocprim17ROCPRIM_400000_NS6detail17trampoline_kernelINS0_14default_configENS1_35radix_sort_onesweep_config_selectorIjN6thrust23THRUST_200600_302600_NS5tupleIffNS6_9null_typeES8_S8_S8_S8_S8_S8_S8_EEEEZZNS1_29radix_sort_onesweep_iterationIS3_Lb0ENS6_6detail15normal_iteratorINS6_10device_ptrIjEEEESG_NSD_INSE_IS9_EEEESI_jNS0_19identity_decomposerENS1_16block_id_wrapperIjLb0EEEEE10hipError_tT1_PNSt15iterator_traitsISN_E10value_typeET2_T3_PNSO_IST_E10value_typeET4_T5_PSY_SZ_PNS1_23onesweep_lookback_stateEbbT6_jjT7_P12ihipStream_tbENKUlT_T0_SN_SS_E_clIPjSG_PS9_SI_EEDaS16_S17_SN_SS_EUlS16_E_NS1_11comp_targetILNS1_3genE6ELNS1_11target_archE950ELNS1_3gpuE13ELNS1_3repE0EEENS1_47radix_sort_onesweep_sort_config_static_selectorELNS0_4arch9wavefront6targetE0EEEvSN_.num_vgpr, 0
	.set _ZN7rocprim17ROCPRIM_400000_NS6detail17trampoline_kernelINS0_14default_configENS1_35radix_sort_onesweep_config_selectorIjN6thrust23THRUST_200600_302600_NS5tupleIffNS6_9null_typeES8_S8_S8_S8_S8_S8_S8_EEEEZZNS1_29radix_sort_onesweep_iterationIS3_Lb0ENS6_6detail15normal_iteratorINS6_10device_ptrIjEEEESG_NSD_INSE_IS9_EEEESI_jNS0_19identity_decomposerENS1_16block_id_wrapperIjLb0EEEEE10hipError_tT1_PNSt15iterator_traitsISN_E10value_typeET2_T3_PNSO_IST_E10value_typeET4_T5_PSY_SZ_PNS1_23onesweep_lookback_stateEbbT6_jjT7_P12ihipStream_tbENKUlT_T0_SN_SS_E_clIPjSG_PS9_SI_EEDaS16_S17_SN_SS_EUlS16_E_NS1_11comp_targetILNS1_3genE6ELNS1_11target_archE950ELNS1_3gpuE13ELNS1_3repE0EEENS1_47radix_sort_onesweep_sort_config_static_selectorELNS0_4arch9wavefront6targetE0EEEvSN_.num_agpr, 0
	.set _ZN7rocprim17ROCPRIM_400000_NS6detail17trampoline_kernelINS0_14default_configENS1_35radix_sort_onesweep_config_selectorIjN6thrust23THRUST_200600_302600_NS5tupleIffNS6_9null_typeES8_S8_S8_S8_S8_S8_S8_EEEEZZNS1_29radix_sort_onesweep_iterationIS3_Lb0ENS6_6detail15normal_iteratorINS6_10device_ptrIjEEEESG_NSD_INSE_IS9_EEEESI_jNS0_19identity_decomposerENS1_16block_id_wrapperIjLb0EEEEE10hipError_tT1_PNSt15iterator_traitsISN_E10value_typeET2_T3_PNSO_IST_E10value_typeET4_T5_PSY_SZ_PNS1_23onesweep_lookback_stateEbbT6_jjT7_P12ihipStream_tbENKUlT_T0_SN_SS_E_clIPjSG_PS9_SI_EEDaS16_S17_SN_SS_EUlS16_E_NS1_11comp_targetILNS1_3genE6ELNS1_11target_archE950ELNS1_3gpuE13ELNS1_3repE0EEENS1_47radix_sort_onesweep_sort_config_static_selectorELNS0_4arch9wavefront6targetE0EEEvSN_.numbered_sgpr, 0
	.set _ZN7rocprim17ROCPRIM_400000_NS6detail17trampoline_kernelINS0_14default_configENS1_35radix_sort_onesweep_config_selectorIjN6thrust23THRUST_200600_302600_NS5tupleIffNS6_9null_typeES8_S8_S8_S8_S8_S8_S8_EEEEZZNS1_29radix_sort_onesweep_iterationIS3_Lb0ENS6_6detail15normal_iteratorINS6_10device_ptrIjEEEESG_NSD_INSE_IS9_EEEESI_jNS0_19identity_decomposerENS1_16block_id_wrapperIjLb0EEEEE10hipError_tT1_PNSt15iterator_traitsISN_E10value_typeET2_T3_PNSO_IST_E10value_typeET4_T5_PSY_SZ_PNS1_23onesweep_lookback_stateEbbT6_jjT7_P12ihipStream_tbENKUlT_T0_SN_SS_E_clIPjSG_PS9_SI_EEDaS16_S17_SN_SS_EUlS16_E_NS1_11comp_targetILNS1_3genE6ELNS1_11target_archE950ELNS1_3gpuE13ELNS1_3repE0EEENS1_47radix_sort_onesweep_sort_config_static_selectorELNS0_4arch9wavefront6targetE0EEEvSN_.num_named_barrier, 0
	.set _ZN7rocprim17ROCPRIM_400000_NS6detail17trampoline_kernelINS0_14default_configENS1_35radix_sort_onesweep_config_selectorIjN6thrust23THRUST_200600_302600_NS5tupleIffNS6_9null_typeES8_S8_S8_S8_S8_S8_S8_EEEEZZNS1_29radix_sort_onesweep_iterationIS3_Lb0ENS6_6detail15normal_iteratorINS6_10device_ptrIjEEEESG_NSD_INSE_IS9_EEEESI_jNS0_19identity_decomposerENS1_16block_id_wrapperIjLb0EEEEE10hipError_tT1_PNSt15iterator_traitsISN_E10value_typeET2_T3_PNSO_IST_E10value_typeET4_T5_PSY_SZ_PNS1_23onesweep_lookback_stateEbbT6_jjT7_P12ihipStream_tbENKUlT_T0_SN_SS_E_clIPjSG_PS9_SI_EEDaS16_S17_SN_SS_EUlS16_E_NS1_11comp_targetILNS1_3genE6ELNS1_11target_archE950ELNS1_3gpuE13ELNS1_3repE0EEENS1_47radix_sort_onesweep_sort_config_static_selectorELNS0_4arch9wavefront6targetE0EEEvSN_.private_seg_size, 0
	.set _ZN7rocprim17ROCPRIM_400000_NS6detail17trampoline_kernelINS0_14default_configENS1_35radix_sort_onesweep_config_selectorIjN6thrust23THRUST_200600_302600_NS5tupleIffNS6_9null_typeES8_S8_S8_S8_S8_S8_S8_EEEEZZNS1_29radix_sort_onesweep_iterationIS3_Lb0ENS6_6detail15normal_iteratorINS6_10device_ptrIjEEEESG_NSD_INSE_IS9_EEEESI_jNS0_19identity_decomposerENS1_16block_id_wrapperIjLb0EEEEE10hipError_tT1_PNSt15iterator_traitsISN_E10value_typeET2_T3_PNSO_IST_E10value_typeET4_T5_PSY_SZ_PNS1_23onesweep_lookback_stateEbbT6_jjT7_P12ihipStream_tbENKUlT_T0_SN_SS_E_clIPjSG_PS9_SI_EEDaS16_S17_SN_SS_EUlS16_E_NS1_11comp_targetILNS1_3genE6ELNS1_11target_archE950ELNS1_3gpuE13ELNS1_3repE0EEENS1_47radix_sort_onesweep_sort_config_static_selectorELNS0_4arch9wavefront6targetE0EEEvSN_.uses_vcc, 0
	.set _ZN7rocprim17ROCPRIM_400000_NS6detail17trampoline_kernelINS0_14default_configENS1_35radix_sort_onesweep_config_selectorIjN6thrust23THRUST_200600_302600_NS5tupleIffNS6_9null_typeES8_S8_S8_S8_S8_S8_S8_EEEEZZNS1_29radix_sort_onesweep_iterationIS3_Lb0ENS6_6detail15normal_iteratorINS6_10device_ptrIjEEEESG_NSD_INSE_IS9_EEEESI_jNS0_19identity_decomposerENS1_16block_id_wrapperIjLb0EEEEE10hipError_tT1_PNSt15iterator_traitsISN_E10value_typeET2_T3_PNSO_IST_E10value_typeET4_T5_PSY_SZ_PNS1_23onesweep_lookback_stateEbbT6_jjT7_P12ihipStream_tbENKUlT_T0_SN_SS_E_clIPjSG_PS9_SI_EEDaS16_S17_SN_SS_EUlS16_E_NS1_11comp_targetILNS1_3genE6ELNS1_11target_archE950ELNS1_3gpuE13ELNS1_3repE0EEENS1_47radix_sort_onesweep_sort_config_static_selectorELNS0_4arch9wavefront6targetE0EEEvSN_.uses_flat_scratch, 0
	.set _ZN7rocprim17ROCPRIM_400000_NS6detail17trampoline_kernelINS0_14default_configENS1_35radix_sort_onesweep_config_selectorIjN6thrust23THRUST_200600_302600_NS5tupleIffNS6_9null_typeES8_S8_S8_S8_S8_S8_S8_EEEEZZNS1_29radix_sort_onesweep_iterationIS3_Lb0ENS6_6detail15normal_iteratorINS6_10device_ptrIjEEEESG_NSD_INSE_IS9_EEEESI_jNS0_19identity_decomposerENS1_16block_id_wrapperIjLb0EEEEE10hipError_tT1_PNSt15iterator_traitsISN_E10value_typeET2_T3_PNSO_IST_E10value_typeET4_T5_PSY_SZ_PNS1_23onesweep_lookback_stateEbbT6_jjT7_P12ihipStream_tbENKUlT_T0_SN_SS_E_clIPjSG_PS9_SI_EEDaS16_S17_SN_SS_EUlS16_E_NS1_11comp_targetILNS1_3genE6ELNS1_11target_archE950ELNS1_3gpuE13ELNS1_3repE0EEENS1_47radix_sort_onesweep_sort_config_static_selectorELNS0_4arch9wavefront6targetE0EEEvSN_.has_dyn_sized_stack, 0
	.set _ZN7rocprim17ROCPRIM_400000_NS6detail17trampoline_kernelINS0_14default_configENS1_35radix_sort_onesweep_config_selectorIjN6thrust23THRUST_200600_302600_NS5tupleIffNS6_9null_typeES8_S8_S8_S8_S8_S8_S8_EEEEZZNS1_29radix_sort_onesweep_iterationIS3_Lb0ENS6_6detail15normal_iteratorINS6_10device_ptrIjEEEESG_NSD_INSE_IS9_EEEESI_jNS0_19identity_decomposerENS1_16block_id_wrapperIjLb0EEEEE10hipError_tT1_PNSt15iterator_traitsISN_E10value_typeET2_T3_PNSO_IST_E10value_typeET4_T5_PSY_SZ_PNS1_23onesweep_lookback_stateEbbT6_jjT7_P12ihipStream_tbENKUlT_T0_SN_SS_E_clIPjSG_PS9_SI_EEDaS16_S17_SN_SS_EUlS16_E_NS1_11comp_targetILNS1_3genE6ELNS1_11target_archE950ELNS1_3gpuE13ELNS1_3repE0EEENS1_47radix_sort_onesweep_sort_config_static_selectorELNS0_4arch9wavefront6targetE0EEEvSN_.has_recursion, 0
	.set _ZN7rocprim17ROCPRIM_400000_NS6detail17trampoline_kernelINS0_14default_configENS1_35radix_sort_onesweep_config_selectorIjN6thrust23THRUST_200600_302600_NS5tupleIffNS6_9null_typeES8_S8_S8_S8_S8_S8_S8_EEEEZZNS1_29radix_sort_onesweep_iterationIS3_Lb0ENS6_6detail15normal_iteratorINS6_10device_ptrIjEEEESG_NSD_INSE_IS9_EEEESI_jNS0_19identity_decomposerENS1_16block_id_wrapperIjLb0EEEEE10hipError_tT1_PNSt15iterator_traitsISN_E10value_typeET2_T3_PNSO_IST_E10value_typeET4_T5_PSY_SZ_PNS1_23onesweep_lookback_stateEbbT6_jjT7_P12ihipStream_tbENKUlT_T0_SN_SS_E_clIPjSG_PS9_SI_EEDaS16_S17_SN_SS_EUlS16_E_NS1_11comp_targetILNS1_3genE6ELNS1_11target_archE950ELNS1_3gpuE13ELNS1_3repE0EEENS1_47radix_sort_onesweep_sort_config_static_selectorELNS0_4arch9wavefront6targetE0EEEvSN_.has_indirect_call, 0
	.section	.AMDGPU.csdata,"",@progbits
; Kernel info:
; codeLenInByte = 0
; TotalNumSgprs: 0
; NumVgprs: 0
; ScratchSize: 0
; MemoryBound: 0
; FloatMode: 240
; IeeeMode: 1
; LDSByteSize: 0 bytes/workgroup (compile time only)
; SGPRBlocks: 0
; VGPRBlocks: 0
; NumSGPRsForWavesPerEU: 1
; NumVGPRsForWavesPerEU: 1
; Occupancy: 16
; WaveLimiterHint : 0
; COMPUTE_PGM_RSRC2:SCRATCH_EN: 0
; COMPUTE_PGM_RSRC2:USER_SGPR: 6
; COMPUTE_PGM_RSRC2:TRAP_HANDLER: 0
; COMPUTE_PGM_RSRC2:TGID_X_EN: 1
; COMPUTE_PGM_RSRC2:TGID_Y_EN: 0
; COMPUTE_PGM_RSRC2:TGID_Z_EN: 0
; COMPUTE_PGM_RSRC2:TIDIG_COMP_CNT: 0
	.section	.text._ZN7rocprim17ROCPRIM_400000_NS6detail17trampoline_kernelINS0_14default_configENS1_35radix_sort_onesweep_config_selectorIjN6thrust23THRUST_200600_302600_NS5tupleIffNS6_9null_typeES8_S8_S8_S8_S8_S8_S8_EEEEZZNS1_29radix_sort_onesweep_iterationIS3_Lb0ENS6_6detail15normal_iteratorINS6_10device_ptrIjEEEESG_NSD_INSE_IS9_EEEESI_jNS0_19identity_decomposerENS1_16block_id_wrapperIjLb0EEEEE10hipError_tT1_PNSt15iterator_traitsISN_E10value_typeET2_T3_PNSO_IST_E10value_typeET4_T5_PSY_SZ_PNS1_23onesweep_lookback_stateEbbT6_jjT7_P12ihipStream_tbENKUlT_T0_SN_SS_E_clIPjSG_PS9_SI_EEDaS16_S17_SN_SS_EUlS16_E_NS1_11comp_targetILNS1_3genE5ELNS1_11target_archE942ELNS1_3gpuE9ELNS1_3repE0EEENS1_47radix_sort_onesweep_sort_config_static_selectorELNS0_4arch9wavefront6targetE0EEEvSN_,"axG",@progbits,_ZN7rocprim17ROCPRIM_400000_NS6detail17trampoline_kernelINS0_14default_configENS1_35radix_sort_onesweep_config_selectorIjN6thrust23THRUST_200600_302600_NS5tupleIffNS6_9null_typeES8_S8_S8_S8_S8_S8_S8_EEEEZZNS1_29radix_sort_onesweep_iterationIS3_Lb0ENS6_6detail15normal_iteratorINS6_10device_ptrIjEEEESG_NSD_INSE_IS9_EEEESI_jNS0_19identity_decomposerENS1_16block_id_wrapperIjLb0EEEEE10hipError_tT1_PNSt15iterator_traitsISN_E10value_typeET2_T3_PNSO_IST_E10value_typeET4_T5_PSY_SZ_PNS1_23onesweep_lookback_stateEbbT6_jjT7_P12ihipStream_tbENKUlT_T0_SN_SS_E_clIPjSG_PS9_SI_EEDaS16_S17_SN_SS_EUlS16_E_NS1_11comp_targetILNS1_3genE5ELNS1_11target_archE942ELNS1_3gpuE9ELNS1_3repE0EEENS1_47radix_sort_onesweep_sort_config_static_selectorELNS0_4arch9wavefront6targetE0EEEvSN_,comdat
	.protected	_ZN7rocprim17ROCPRIM_400000_NS6detail17trampoline_kernelINS0_14default_configENS1_35radix_sort_onesweep_config_selectorIjN6thrust23THRUST_200600_302600_NS5tupleIffNS6_9null_typeES8_S8_S8_S8_S8_S8_S8_EEEEZZNS1_29radix_sort_onesweep_iterationIS3_Lb0ENS6_6detail15normal_iteratorINS6_10device_ptrIjEEEESG_NSD_INSE_IS9_EEEESI_jNS0_19identity_decomposerENS1_16block_id_wrapperIjLb0EEEEE10hipError_tT1_PNSt15iterator_traitsISN_E10value_typeET2_T3_PNSO_IST_E10value_typeET4_T5_PSY_SZ_PNS1_23onesweep_lookback_stateEbbT6_jjT7_P12ihipStream_tbENKUlT_T0_SN_SS_E_clIPjSG_PS9_SI_EEDaS16_S17_SN_SS_EUlS16_E_NS1_11comp_targetILNS1_3genE5ELNS1_11target_archE942ELNS1_3gpuE9ELNS1_3repE0EEENS1_47radix_sort_onesweep_sort_config_static_selectorELNS0_4arch9wavefront6targetE0EEEvSN_ ; -- Begin function _ZN7rocprim17ROCPRIM_400000_NS6detail17trampoline_kernelINS0_14default_configENS1_35radix_sort_onesweep_config_selectorIjN6thrust23THRUST_200600_302600_NS5tupleIffNS6_9null_typeES8_S8_S8_S8_S8_S8_S8_EEEEZZNS1_29radix_sort_onesweep_iterationIS3_Lb0ENS6_6detail15normal_iteratorINS6_10device_ptrIjEEEESG_NSD_INSE_IS9_EEEESI_jNS0_19identity_decomposerENS1_16block_id_wrapperIjLb0EEEEE10hipError_tT1_PNSt15iterator_traitsISN_E10value_typeET2_T3_PNSO_IST_E10value_typeET4_T5_PSY_SZ_PNS1_23onesweep_lookback_stateEbbT6_jjT7_P12ihipStream_tbENKUlT_T0_SN_SS_E_clIPjSG_PS9_SI_EEDaS16_S17_SN_SS_EUlS16_E_NS1_11comp_targetILNS1_3genE5ELNS1_11target_archE942ELNS1_3gpuE9ELNS1_3repE0EEENS1_47radix_sort_onesweep_sort_config_static_selectorELNS0_4arch9wavefront6targetE0EEEvSN_
	.globl	_ZN7rocprim17ROCPRIM_400000_NS6detail17trampoline_kernelINS0_14default_configENS1_35radix_sort_onesweep_config_selectorIjN6thrust23THRUST_200600_302600_NS5tupleIffNS6_9null_typeES8_S8_S8_S8_S8_S8_S8_EEEEZZNS1_29radix_sort_onesweep_iterationIS3_Lb0ENS6_6detail15normal_iteratorINS6_10device_ptrIjEEEESG_NSD_INSE_IS9_EEEESI_jNS0_19identity_decomposerENS1_16block_id_wrapperIjLb0EEEEE10hipError_tT1_PNSt15iterator_traitsISN_E10value_typeET2_T3_PNSO_IST_E10value_typeET4_T5_PSY_SZ_PNS1_23onesweep_lookback_stateEbbT6_jjT7_P12ihipStream_tbENKUlT_T0_SN_SS_E_clIPjSG_PS9_SI_EEDaS16_S17_SN_SS_EUlS16_E_NS1_11comp_targetILNS1_3genE5ELNS1_11target_archE942ELNS1_3gpuE9ELNS1_3repE0EEENS1_47radix_sort_onesweep_sort_config_static_selectorELNS0_4arch9wavefront6targetE0EEEvSN_
	.p2align	8
	.type	_ZN7rocprim17ROCPRIM_400000_NS6detail17trampoline_kernelINS0_14default_configENS1_35radix_sort_onesweep_config_selectorIjN6thrust23THRUST_200600_302600_NS5tupleIffNS6_9null_typeES8_S8_S8_S8_S8_S8_S8_EEEEZZNS1_29radix_sort_onesweep_iterationIS3_Lb0ENS6_6detail15normal_iteratorINS6_10device_ptrIjEEEESG_NSD_INSE_IS9_EEEESI_jNS0_19identity_decomposerENS1_16block_id_wrapperIjLb0EEEEE10hipError_tT1_PNSt15iterator_traitsISN_E10value_typeET2_T3_PNSO_IST_E10value_typeET4_T5_PSY_SZ_PNS1_23onesweep_lookback_stateEbbT6_jjT7_P12ihipStream_tbENKUlT_T0_SN_SS_E_clIPjSG_PS9_SI_EEDaS16_S17_SN_SS_EUlS16_E_NS1_11comp_targetILNS1_3genE5ELNS1_11target_archE942ELNS1_3gpuE9ELNS1_3repE0EEENS1_47radix_sort_onesweep_sort_config_static_selectorELNS0_4arch9wavefront6targetE0EEEvSN_,@function
_ZN7rocprim17ROCPRIM_400000_NS6detail17trampoline_kernelINS0_14default_configENS1_35radix_sort_onesweep_config_selectorIjN6thrust23THRUST_200600_302600_NS5tupleIffNS6_9null_typeES8_S8_S8_S8_S8_S8_S8_EEEEZZNS1_29radix_sort_onesweep_iterationIS3_Lb0ENS6_6detail15normal_iteratorINS6_10device_ptrIjEEEESG_NSD_INSE_IS9_EEEESI_jNS0_19identity_decomposerENS1_16block_id_wrapperIjLb0EEEEE10hipError_tT1_PNSt15iterator_traitsISN_E10value_typeET2_T3_PNSO_IST_E10value_typeET4_T5_PSY_SZ_PNS1_23onesweep_lookback_stateEbbT6_jjT7_P12ihipStream_tbENKUlT_T0_SN_SS_E_clIPjSG_PS9_SI_EEDaS16_S17_SN_SS_EUlS16_E_NS1_11comp_targetILNS1_3genE5ELNS1_11target_archE942ELNS1_3gpuE9ELNS1_3repE0EEENS1_47radix_sort_onesweep_sort_config_static_selectorELNS0_4arch9wavefront6targetE0EEEvSN_: ; @_ZN7rocprim17ROCPRIM_400000_NS6detail17trampoline_kernelINS0_14default_configENS1_35radix_sort_onesweep_config_selectorIjN6thrust23THRUST_200600_302600_NS5tupleIffNS6_9null_typeES8_S8_S8_S8_S8_S8_S8_EEEEZZNS1_29radix_sort_onesweep_iterationIS3_Lb0ENS6_6detail15normal_iteratorINS6_10device_ptrIjEEEESG_NSD_INSE_IS9_EEEESI_jNS0_19identity_decomposerENS1_16block_id_wrapperIjLb0EEEEE10hipError_tT1_PNSt15iterator_traitsISN_E10value_typeET2_T3_PNSO_IST_E10value_typeET4_T5_PSY_SZ_PNS1_23onesweep_lookback_stateEbbT6_jjT7_P12ihipStream_tbENKUlT_T0_SN_SS_E_clIPjSG_PS9_SI_EEDaS16_S17_SN_SS_EUlS16_E_NS1_11comp_targetILNS1_3genE5ELNS1_11target_archE942ELNS1_3gpuE9ELNS1_3repE0EEENS1_47radix_sort_onesweep_sort_config_static_selectorELNS0_4arch9wavefront6targetE0EEEvSN_
; %bb.0:
	.section	.rodata,"a",@progbits
	.p2align	6, 0x0
	.amdhsa_kernel _ZN7rocprim17ROCPRIM_400000_NS6detail17trampoline_kernelINS0_14default_configENS1_35radix_sort_onesweep_config_selectorIjN6thrust23THRUST_200600_302600_NS5tupleIffNS6_9null_typeES8_S8_S8_S8_S8_S8_S8_EEEEZZNS1_29radix_sort_onesweep_iterationIS3_Lb0ENS6_6detail15normal_iteratorINS6_10device_ptrIjEEEESG_NSD_INSE_IS9_EEEESI_jNS0_19identity_decomposerENS1_16block_id_wrapperIjLb0EEEEE10hipError_tT1_PNSt15iterator_traitsISN_E10value_typeET2_T3_PNSO_IST_E10value_typeET4_T5_PSY_SZ_PNS1_23onesweep_lookback_stateEbbT6_jjT7_P12ihipStream_tbENKUlT_T0_SN_SS_E_clIPjSG_PS9_SI_EEDaS16_S17_SN_SS_EUlS16_E_NS1_11comp_targetILNS1_3genE5ELNS1_11target_archE942ELNS1_3gpuE9ELNS1_3repE0EEENS1_47radix_sort_onesweep_sort_config_static_selectorELNS0_4arch9wavefront6targetE0EEEvSN_
		.amdhsa_group_segment_fixed_size 0
		.amdhsa_private_segment_fixed_size 0
		.amdhsa_kernarg_size 88
		.amdhsa_user_sgpr_count 6
		.amdhsa_user_sgpr_private_segment_buffer 1
		.amdhsa_user_sgpr_dispatch_ptr 0
		.amdhsa_user_sgpr_queue_ptr 0
		.amdhsa_user_sgpr_kernarg_segment_ptr 1
		.amdhsa_user_sgpr_dispatch_id 0
		.amdhsa_user_sgpr_flat_scratch_init 0
		.amdhsa_user_sgpr_private_segment_size 0
		.amdhsa_wavefront_size32 1
		.amdhsa_uses_dynamic_stack 0
		.amdhsa_system_sgpr_private_segment_wavefront_offset 0
		.amdhsa_system_sgpr_workgroup_id_x 1
		.amdhsa_system_sgpr_workgroup_id_y 0
		.amdhsa_system_sgpr_workgroup_id_z 0
		.amdhsa_system_sgpr_workgroup_info 0
		.amdhsa_system_vgpr_workitem_id 0
		.amdhsa_next_free_vgpr 1
		.amdhsa_next_free_sgpr 1
		.amdhsa_reserve_vcc 0
		.amdhsa_reserve_flat_scratch 0
		.amdhsa_float_round_mode_32 0
		.amdhsa_float_round_mode_16_64 0
		.amdhsa_float_denorm_mode_32 3
		.amdhsa_float_denorm_mode_16_64 3
		.amdhsa_dx10_clamp 1
		.amdhsa_ieee_mode 1
		.amdhsa_fp16_overflow 0
		.amdhsa_workgroup_processor_mode 1
		.amdhsa_memory_ordered 1
		.amdhsa_forward_progress 1
		.amdhsa_shared_vgpr_count 0
		.amdhsa_exception_fp_ieee_invalid_op 0
		.amdhsa_exception_fp_denorm_src 0
		.amdhsa_exception_fp_ieee_div_zero 0
		.amdhsa_exception_fp_ieee_overflow 0
		.amdhsa_exception_fp_ieee_underflow 0
		.amdhsa_exception_fp_ieee_inexact 0
		.amdhsa_exception_int_div_zero 0
	.end_amdhsa_kernel
	.section	.text._ZN7rocprim17ROCPRIM_400000_NS6detail17trampoline_kernelINS0_14default_configENS1_35radix_sort_onesweep_config_selectorIjN6thrust23THRUST_200600_302600_NS5tupleIffNS6_9null_typeES8_S8_S8_S8_S8_S8_S8_EEEEZZNS1_29radix_sort_onesweep_iterationIS3_Lb0ENS6_6detail15normal_iteratorINS6_10device_ptrIjEEEESG_NSD_INSE_IS9_EEEESI_jNS0_19identity_decomposerENS1_16block_id_wrapperIjLb0EEEEE10hipError_tT1_PNSt15iterator_traitsISN_E10value_typeET2_T3_PNSO_IST_E10value_typeET4_T5_PSY_SZ_PNS1_23onesweep_lookback_stateEbbT6_jjT7_P12ihipStream_tbENKUlT_T0_SN_SS_E_clIPjSG_PS9_SI_EEDaS16_S17_SN_SS_EUlS16_E_NS1_11comp_targetILNS1_3genE5ELNS1_11target_archE942ELNS1_3gpuE9ELNS1_3repE0EEENS1_47radix_sort_onesweep_sort_config_static_selectorELNS0_4arch9wavefront6targetE0EEEvSN_,"axG",@progbits,_ZN7rocprim17ROCPRIM_400000_NS6detail17trampoline_kernelINS0_14default_configENS1_35radix_sort_onesweep_config_selectorIjN6thrust23THRUST_200600_302600_NS5tupleIffNS6_9null_typeES8_S8_S8_S8_S8_S8_S8_EEEEZZNS1_29radix_sort_onesweep_iterationIS3_Lb0ENS6_6detail15normal_iteratorINS6_10device_ptrIjEEEESG_NSD_INSE_IS9_EEEESI_jNS0_19identity_decomposerENS1_16block_id_wrapperIjLb0EEEEE10hipError_tT1_PNSt15iterator_traitsISN_E10value_typeET2_T3_PNSO_IST_E10value_typeET4_T5_PSY_SZ_PNS1_23onesweep_lookback_stateEbbT6_jjT7_P12ihipStream_tbENKUlT_T0_SN_SS_E_clIPjSG_PS9_SI_EEDaS16_S17_SN_SS_EUlS16_E_NS1_11comp_targetILNS1_3genE5ELNS1_11target_archE942ELNS1_3gpuE9ELNS1_3repE0EEENS1_47radix_sort_onesweep_sort_config_static_selectorELNS0_4arch9wavefront6targetE0EEEvSN_,comdat
.Lfunc_end222:
	.size	_ZN7rocprim17ROCPRIM_400000_NS6detail17trampoline_kernelINS0_14default_configENS1_35radix_sort_onesweep_config_selectorIjN6thrust23THRUST_200600_302600_NS5tupleIffNS6_9null_typeES8_S8_S8_S8_S8_S8_S8_EEEEZZNS1_29radix_sort_onesweep_iterationIS3_Lb0ENS6_6detail15normal_iteratorINS6_10device_ptrIjEEEESG_NSD_INSE_IS9_EEEESI_jNS0_19identity_decomposerENS1_16block_id_wrapperIjLb0EEEEE10hipError_tT1_PNSt15iterator_traitsISN_E10value_typeET2_T3_PNSO_IST_E10value_typeET4_T5_PSY_SZ_PNS1_23onesweep_lookback_stateEbbT6_jjT7_P12ihipStream_tbENKUlT_T0_SN_SS_E_clIPjSG_PS9_SI_EEDaS16_S17_SN_SS_EUlS16_E_NS1_11comp_targetILNS1_3genE5ELNS1_11target_archE942ELNS1_3gpuE9ELNS1_3repE0EEENS1_47radix_sort_onesweep_sort_config_static_selectorELNS0_4arch9wavefront6targetE0EEEvSN_, .Lfunc_end222-_ZN7rocprim17ROCPRIM_400000_NS6detail17trampoline_kernelINS0_14default_configENS1_35radix_sort_onesweep_config_selectorIjN6thrust23THRUST_200600_302600_NS5tupleIffNS6_9null_typeES8_S8_S8_S8_S8_S8_S8_EEEEZZNS1_29radix_sort_onesweep_iterationIS3_Lb0ENS6_6detail15normal_iteratorINS6_10device_ptrIjEEEESG_NSD_INSE_IS9_EEEESI_jNS0_19identity_decomposerENS1_16block_id_wrapperIjLb0EEEEE10hipError_tT1_PNSt15iterator_traitsISN_E10value_typeET2_T3_PNSO_IST_E10value_typeET4_T5_PSY_SZ_PNS1_23onesweep_lookback_stateEbbT6_jjT7_P12ihipStream_tbENKUlT_T0_SN_SS_E_clIPjSG_PS9_SI_EEDaS16_S17_SN_SS_EUlS16_E_NS1_11comp_targetILNS1_3genE5ELNS1_11target_archE942ELNS1_3gpuE9ELNS1_3repE0EEENS1_47radix_sort_onesweep_sort_config_static_selectorELNS0_4arch9wavefront6targetE0EEEvSN_
                                        ; -- End function
	.set _ZN7rocprim17ROCPRIM_400000_NS6detail17trampoline_kernelINS0_14default_configENS1_35radix_sort_onesweep_config_selectorIjN6thrust23THRUST_200600_302600_NS5tupleIffNS6_9null_typeES8_S8_S8_S8_S8_S8_S8_EEEEZZNS1_29radix_sort_onesweep_iterationIS3_Lb0ENS6_6detail15normal_iteratorINS6_10device_ptrIjEEEESG_NSD_INSE_IS9_EEEESI_jNS0_19identity_decomposerENS1_16block_id_wrapperIjLb0EEEEE10hipError_tT1_PNSt15iterator_traitsISN_E10value_typeET2_T3_PNSO_IST_E10value_typeET4_T5_PSY_SZ_PNS1_23onesweep_lookback_stateEbbT6_jjT7_P12ihipStream_tbENKUlT_T0_SN_SS_E_clIPjSG_PS9_SI_EEDaS16_S17_SN_SS_EUlS16_E_NS1_11comp_targetILNS1_3genE5ELNS1_11target_archE942ELNS1_3gpuE9ELNS1_3repE0EEENS1_47radix_sort_onesweep_sort_config_static_selectorELNS0_4arch9wavefront6targetE0EEEvSN_.num_vgpr, 0
	.set _ZN7rocprim17ROCPRIM_400000_NS6detail17trampoline_kernelINS0_14default_configENS1_35radix_sort_onesweep_config_selectorIjN6thrust23THRUST_200600_302600_NS5tupleIffNS6_9null_typeES8_S8_S8_S8_S8_S8_S8_EEEEZZNS1_29radix_sort_onesweep_iterationIS3_Lb0ENS6_6detail15normal_iteratorINS6_10device_ptrIjEEEESG_NSD_INSE_IS9_EEEESI_jNS0_19identity_decomposerENS1_16block_id_wrapperIjLb0EEEEE10hipError_tT1_PNSt15iterator_traitsISN_E10value_typeET2_T3_PNSO_IST_E10value_typeET4_T5_PSY_SZ_PNS1_23onesweep_lookback_stateEbbT6_jjT7_P12ihipStream_tbENKUlT_T0_SN_SS_E_clIPjSG_PS9_SI_EEDaS16_S17_SN_SS_EUlS16_E_NS1_11comp_targetILNS1_3genE5ELNS1_11target_archE942ELNS1_3gpuE9ELNS1_3repE0EEENS1_47radix_sort_onesweep_sort_config_static_selectorELNS0_4arch9wavefront6targetE0EEEvSN_.num_agpr, 0
	.set _ZN7rocprim17ROCPRIM_400000_NS6detail17trampoline_kernelINS0_14default_configENS1_35radix_sort_onesweep_config_selectorIjN6thrust23THRUST_200600_302600_NS5tupleIffNS6_9null_typeES8_S8_S8_S8_S8_S8_S8_EEEEZZNS1_29radix_sort_onesweep_iterationIS3_Lb0ENS6_6detail15normal_iteratorINS6_10device_ptrIjEEEESG_NSD_INSE_IS9_EEEESI_jNS0_19identity_decomposerENS1_16block_id_wrapperIjLb0EEEEE10hipError_tT1_PNSt15iterator_traitsISN_E10value_typeET2_T3_PNSO_IST_E10value_typeET4_T5_PSY_SZ_PNS1_23onesweep_lookback_stateEbbT6_jjT7_P12ihipStream_tbENKUlT_T0_SN_SS_E_clIPjSG_PS9_SI_EEDaS16_S17_SN_SS_EUlS16_E_NS1_11comp_targetILNS1_3genE5ELNS1_11target_archE942ELNS1_3gpuE9ELNS1_3repE0EEENS1_47radix_sort_onesweep_sort_config_static_selectorELNS0_4arch9wavefront6targetE0EEEvSN_.numbered_sgpr, 0
	.set _ZN7rocprim17ROCPRIM_400000_NS6detail17trampoline_kernelINS0_14default_configENS1_35radix_sort_onesweep_config_selectorIjN6thrust23THRUST_200600_302600_NS5tupleIffNS6_9null_typeES8_S8_S8_S8_S8_S8_S8_EEEEZZNS1_29radix_sort_onesweep_iterationIS3_Lb0ENS6_6detail15normal_iteratorINS6_10device_ptrIjEEEESG_NSD_INSE_IS9_EEEESI_jNS0_19identity_decomposerENS1_16block_id_wrapperIjLb0EEEEE10hipError_tT1_PNSt15iterator_traitsISN_E10value_typeET2_T3_PNSO_IST_E10value_typeET4_T5_PSY_SZ_PNS1_23onesweep_lookback_stateEbbT6_jjT7_P12ihipStream_tbENKUlT_T0_SN_SS_E_clIPjSG_PS9_SI_EEDaS16_S17_SN_SS_EUlS16_E_NS1_11comp_targetILNS1_3genE5ELNS1_11target_archE942ELNS1_3gpuE9ELNS1_3repE0EEENS1_47radix_sort_onesweep_sort_config_static_selectorELNS0_4arch9wavefront6targetE0EEEvSN_.num_named_barrier, 0
	.set _ZN7rocprim17ROCPRIM_400000_NS6detail17trampoline_kernelINS0_14default_configENS1_35radix_sort_onesweep_config_selectorIjN6thrust23THRUST_200600_302600_NS5tupleIffNS6_9null_typeES8_S8_S8_S8_S8_S8_S8_EEEEZZNS1_29radix_sort_onesweep_iterationIS3_Lb0ENS6_6detail15normal_iteratorINS6_10device_ptrIjEEEESG_NSD_INSE_IS9_EEEESI_jNS0_19identity_decomposerENS1_16block_id_wrapperIjLb0EEEEE10hipError_tT1_PNSt15iterator_traitsISN_E10value_typeET2_T3_PNSO_IST_E10value_typeET4_T5_PSY_SZ_PNS1_23onesweep_lookback_stateEbbT6_jjT7_P12ihipStream_tbENKUlT_T0_SN_SS_E_clIPjSG_PS9_SI_EEDaS16_S17_SN_SS_EUlS16_E_NS1_11comp_targetILNS1_3genE5ELNS1_11target_archE942ELNS1_3gpuE9ELNS1_3repE0EEENS1_47radix_sort_onesweep_sort_config_static_selectorELNS0_4arch9wavefront6targetE0EEEvSN_.private_seg_size, 0
	.set _ZN7rocprim17ROCPRIM_400000_NS6detail17trampoline_kernelINS0_14default_configENS1_35radix_sort_onesweep_config_selectorIjN6thrust23THRUST_200600_302600_NS5tupleIffNS6_9null_typeES8_S8_S8_S8_S8_S8_S8_EEEEZZNS1_29radix_sort_onesweep_iterationIS3_Lb0ENS6_6detail15normal_iteratorINS6_10device_ptrIjEEEESG_NSD_INSE_IS9_EEEESI_jNS0_19identity_decomposerENS1_16block_id_wrapperIjLb0EEEEE10hipError_tT1_PNSt15iterator_traitsISN_E10value_typeET2_T3_PNSO_IST_E10value_typeET4_T5_PSY_SZ_PNS1_23onesweep_lookback_stateEbbT6_jjT7_P12ihipStream_tbENKUlT_T0_SN_SS_E_clIPjSG_PS9_SI_EEDaS16_S17_SN_SS_EUlS16_E_NS1_11comp_targetILNS1_3genE5ELNS1_11target_archE942ELNS1_3gpuE9ELNS1_3repE0EEENS1_47radix_sort_onesweep_sort_config_static_selectorELNS0_4arch9wavefront6targetE0EEEvSN_.uses_vcc, 0
	.set _ZN7rocprim17ROCPRIM_400000_NS6detail17trampoline_kernelINS0_14default_configENS1_35radix_sort_onesweep_config_selectorIjN6thrust23THRUST_200600_302600_NS5tupleIffNS6_9null_typeES8_S8_S8_S8_S8_S8_S8_EEEEZZNS1_29radix_sort_onesweep_iterationIS3_Lb0ENS6_6detail15normal_iteratorINS6_10device_ptrIjEEEESG_NSD_INSE_IS9_EEEESI_jNS0_19identity_decomposerENS1_16block_id_wrapperIjLb0EEEEE10hipError_tT1_PNSt15iterator_traitsISN_E10value_typeET2_T3_PNSO_IST_E10value_typeET4_T5_PSY_SZ_PNS1_23onesweep_lookback_stateEbbT6_jjT7_P12ihipStream_tbENKUlT_T0_SN_SS_E_clIPjSG_PS9_SI_EEDaS16_S17_SN_SS_EUlS16_E_NS1_11comp_targetILNS1_3genE5ELNS1_11target_archE942ELNS1_3gpuE9ELNS1_3repE0EEENS1_47radix_sort_onesweep_sort_config_static_selectorELNS0_4arch9wavefront6targetE0EEEvSN_.uses_flat_scratch, 0
	.set _ZN7rocprim17ROCPRIM_400000_NS6detail17trampoline_kernelINS0_14default_configENS1_35radix_sort_onesweep_config_selectorIjN6thrust23THRUST_200600_302600_NS5tupleIffNS6_9null_typeES8_S8_S8_S8_S8_S8_S8_EEEEZZNS1_29radix_sort_onesweep_iterationIS3_Lb0ENS6_6detail15normal_iteratorINS6_10device_ptrIjEEEESG_NSD_INSE_IS9_EEEESI_jNS0_19identity_decomposerENS1_16block_id_wrapperIjLb0EEEEE10hipError_tT1_PNSt15iterator_traitsISN_E10value_typeET2_T3_PNSO_IST_E10value_typeET4_T5_PSY_SZ_PNS1_23onesweep_lookback_stateEbbT6_jjT7_P12ihipStream_tbENKUlT_T0_SN_SS_E_clIPjSG_PS9_SI_EEDaS16_S17_SN_SS_EUlS16_E_NS1_11comp_targetILNS1_3genE5ELNS1_11target_archE942ELNS1_3gpuE9ELNS1_3repE0EEENS1_47radix_sort_onesweep_sort_config_static_selectorELNS0_4arch9wavefront6targetE0EEEvSN_.has_dyn_sized_stack, 0
	.set _ZN7rocprim17ROCPRIM_400000_NS6detail17trampoline_kernelINS0_14default_configENS1_35radix_sort_onesweep_config_selectorIjN6thrust23THRUST_200600_302600_NS5tupleIffNS6_9null_typeES8_S8_S8_S8_S8_S8_S8_EEEEZZNS1_29radix_sort_onesweep_iterationIS3_Lb0ENS6_6detail15normal_iteratorINS6_10device_ptrIjEEEESG_NSD_INSE_IS9_EEEESI_jNS0_19identity_decomposerENS1_16block_id_wrapperIjLb0EEEEE10hipError_tT1_PNSt15iterator_traitsISN_E10value_typeET2_T3_PNSO_IST_E10value_typeET4_T5_PSY_SZ_PNS1_23onesweep_lookback_stateEbbT6_jjT7_P12ihipStream_tbENKUlT_T0_SN_SS_E_clIPjSG_PS9_SI_EEDaS16_S17_SN_SS_EUlS16_E_NS1_11comp_targetILNS1_3genE5ELNS1_11target_archE942ELNS1_3gpuE9ELNS1_3repE0EEENS1_47radix_sort_onesweep_sort_config_static_selectorELNS0_4arch9wavefront6targetE0EEEvSN_.has_recursion, 0
	.set _ZN7rocprim17ROCPRIM_400000_NS6detail17trampoline_kernelINS0_14default_configENS1_35radix_sort_onesweep_config_selectorIjN6thrust23THRUST_200600_302600_NS5tupleIffNS6_9null_typeES8_S8_S8_S8_S8_S8_S8_EEEEZZNS1_29radix_sort_onesweep_iterationIS3_Lb0ENS6_6detail15normal_iteratorINS6_10device_ptrIjEEEESG_NSD_INSE_IS9_EEEESI_jNS0_19identity_decomposerENS1_16block_id_wrapperIjLb0EEEEE10hipError_tT1_PNSt15iterator_traitsISN_E10value_typeET2_T3_PNSO_IST_E10value_typeET4_T5_PSY_SZ_PNS1_23onesweep_lookback_stateEbbT6_jjT7_P12ihipStream_tbENKUlT_T0_SN_SS_E_clIPjSG_PS9_SI_EEDaS16_S17_SN_SS_EUlS16_E_NS1_11comp_targetILNS1_3genE5ELNS1_11target_archE942ELNS1_3gpuE9ELNS1_3repE0EEENS1_47radix_sort_onesweep_sort_config_static_selectorELNS0_4arch9wavefront6targetE0EEEvSN_.has_indirect_call, 0
	.section	.AMDGPU.csdata,"",@progbits
; Kernel info:
; codeLenInByte = 0
; TotalNumSgprs: 0
; NumVgprs: 0
; ScratchSize: 0
; MemoryBound: 0
; FloatMode: 240
; IeeeMode: 1
; LDSByteSize: 0 bytes/workgroup (compile time only)
; SGPRBlocks: 0
; VGPRBlocks: 0
; NumSGPRsForWavesPerEU: 1
; NumVGPRsForWavesPerEU: 1
; Occupancy: 16
; WaveLimiterHint : 0
; COMPUTE_PGM_RSRC2:SCRATCH_EN: 0
; COMPUTE_PGM_RSRC2:USER_SGPR: 6
; COMPUTE_PGM_RSRC2:TRAP_HANDLER: 0
; COMPUTE_PGM_RSRC2:TGID_X_EN: 1
; COMPUTE_PGM_RSRC2:TGID_Y_EN: 0
; COMPUTE_PGM_RSRC2:TGID_Z_EN: 0
; COMPUTE_PGM_RSRC2:TIDIG_COMP_CNT: 0
	.section	.text._ZN7rocprim17ROCPRIM_400000_NS6detail17trampoline_kernelINS0_14default_configENS1_35radix_sort_onesweep_config_selectorIjN6thrust23THRUST_200600_302600_NS5tupleIffNS6_9null_typeES8_S8_S8_S8_S8_S8_S8_EEEEZZNS1_29radix_sort_onesweep_iterationIS3_Lb0ENS6_6detail15normal_iteratorINS6_10device_ptrIjEEEESG_NSD_INSE_IS9_EEEESI_jNS0_19identity_decomposerENS1_16block_id_wrapperIjLb0EEEEE10hipError_tT1_PNSt15iterator_traitsISN_E10value_typeET2_T3_PNSO_IST_E10value_typeET4_T5_PSY_SZ_PNS1_23onesweep_lookback_stateEbbT6_jjT7_P12ihipStream_tbENKUlT_T0_SN_SS_E_clIPjSG_PS9_SI_EEDaS16_S17_SN_SS_EUlS16_E_NS1_11comp_targetILNS1_3genE2ELNS1_11target_archE906ELNS1_3gpuE6ELNS1_3repE0EEENS1_47radix_sort_onesweep_sort_config_static_selectorELNS0_4arch9wavefront6targetE0EEEvSN_,"axG",@progbits,_ZN7rocprim17ROCPRIM_400000_NS6detail17trampoline_kernelINS0_14default_configENS1_35radix_sort_onesweep_config_selectorIjN6thrust23THRUST_200600_302600_NS5tupleIffNS6_9null_typeES8_S8_S8_S8_S8_S8_S8_EEEEZZNS1_29radix_sort_onesweep_iterationIS3_Lb0ENS6_6detail15normal_iteratorINS6_10device_ptrIjEEEESG_NSD_INSE_IS9_EEEESI_jNS0_19identity_decomposerENS1_16block_id_wrapperIjLb0EEEEE10hipError_tT1_PNSt15iterator_traitsISN_E10value_typeET2_T3_PNSO_IST_E10value_typeET4_T5_PSY_SZ_PNS1_23onesweep_lookback_stateEbbT6_jjT7_P12ihipStream_tbENKUlT_T0_SN_SS_E_clIPjSG_PS9_SI_EEDaS16_S17_SN_SS_EUlS16_E_NS1_11comp_targetILNS1_3genE2ELNS1_11target_archE906ELNS1_3gpuE6ELNS1_3repE0EEENS1_47radix_sort_onesweep_sort_config_static_selectorELNS0_4arch9wavefront6targetE0EEEvSN_,comdat
	.protected	_ZN7rocprim17ROCPRIM_400000_NS6detail17trampoline_kernelINS0_14default_configENS1_35radix_sort_onesweep_config_selectorIjN6thrust23THRUST_200600_302600_NS5tupleIffNS6_9null_typeES8_S8_S8_S8_S8_S8_S8_EEEEZZNS1_29radix_sort_onesweep_iterationIS3_Lb0ENS6_6detail15normal_iteratorINS6_10device_ptrIjEEEESG_NSD_INSE_IS9_EEEESI_jNS0_19identity_decomposerENS1_16block_id_wrapperIjLb0EEEEE10hipError_tT1_PNSt15iterator_traitsISN_E10value_typeET2_T3_PNSO_IST_E10value_typeET4_T5_PSY_SZ_PNS1_23onesweep_lookback_stateEbbT6_jjT7_P12ihipStream_tbENKUlT_T0_SN_SS_E_clIPjSG_PS9_SI_EEDaS16_S17_SN_SS_EUlS16_E_NS1_11comp_targetILNS1_3genE2ELNS1_11target_archE906ELNS1_3gpuE6ELNS1_3repE0EEENS1_47radix_sort_onesweep_sort_config_static_selectorELNS0_4arch9wavefront6targetE0EEEvSN_ ; -- Begin function _ZN7rocprim17ROCPRIM_400000_NS6detail17trampoline_kernelINS0_14default_configENS1_35radix_sort_onesweep_config_selectorIjN6thrust23THRUST_200600_302600_NS5tupleIffNS6_9null_typeES8_S8_S8_S8_S8_S8_S8_EEEEZZNS1_29radix_sort_onesweep_iterationIS3_Lb0ENS6_6detail15normal_iteratorINS6_10device_ptrIjEEEESG_NSD_INSE_IS9_EEEESI_jNS0_19identity_decomposerENS1_16block_id_wrapperIjLb0EEEEE10hipError_tT1_PNSt15iterator_traitsISN_E10value_typeET2_T3_PNSO_IST_E10value_typeET4_T5_PSY_SZ_PNS1_23onesweep_lookback_stateEbbT6_jjT7_P12ihipStream_tbENKUlT_T0_SN_SS_E_clIPjSG_PS9_SI_EEDaS16_S17_SN_SS_EUlS16_E_NS1_11comp_targetILNS1_3genE2ELNS1_11target_archE906ELNS1_3gpuE6ELNS1_3repE0EEENS1_47radix_sort_onesweep_sort_config_static_selectorELNS0_4arch9wavefront6targetE0EEEvSN_
	.globl	_ZN7rocprim17ROCPRIM_400000_NS6detail17trampoline_kernelINS0_14default_configENS1_35radix_sort_onesweep_config_selectorIjN6thrust23THRUST_200600_302600_NS5tupleIffNS6_9null_typeES8_S8_S8_S8_S8_S8_S8_EEEEZZNS1_29radix_sort_onesweep_iterationIS3_Lb0ENS6_6detail15normal_iteratorINS6_10device_ptrIjEEEESG_NSD_INSE_IS9_EEEESI_jNS0_19identity_decomposerENS1_16block_id_wrapperIjLb0EEEEE10hipError_tT1_PNSt15iterator_traitsISN_E10value_typeET2_T3_PNSO_IST_E10value_typeET4_T5_PSY_SZ_PNS1_23onesweep_lookback_stateEbbT6_jjT7_P12ihipStream_tbENKUlT_T0_SN_SS_E_clIPjSG_PS9_SI_EEDaS16_S17_SN_SS_EUlS16_E_NS1_11comp_targetILNS1_3genE2ELNS1_11target_archE906ELNS1_3gpuE6ELNS1_3repE0EEENS1_47radix_sort_onesweep_sort_config_static_selectorELNS0_4arch9wavefront6targetE0EEEvSN_
	.p2align	8
	.type	_ZN7rocprim17ROCPRIM_400000_NS6detail17trampoline_kernelINS0_14default_configENS1_35radix_sort_onesweep_config_selectorIjN6thrust23THRUST_200600_302600_NS5tupleIffNS6_9null_typeES8_S8_S8_S8_S8_S8_S8_EEEEZZNS1_29radix_sort_onesweep_iterationIS3_Lb0ENS6_6detail15normal_iteratorINS6_10device_ptrIjEEEESG_NSD_INSE_IS9_EEEESI_jNS0_19identity_decomposerENS1_16block_id_wrapperIjLb0EEEEE10hipError_tT1_PNSt15iterator_traitsISN_E10value_typeET2_T3_PNSO_IST_E10value_typeET4_T5_PSY_SZ_PNS1_23onesweep_lookback_stateEbbT6_jjT7_P12ihipStream_tbENKUlT_T0_SN_SS_E_clIPjSG_PS9_SI_EEDaS16_S17_SN_SS_EUlS16_E_NS1_11comp_targetILNS1_3genE2ELNS1_11target_archE906ELNS1_3gpuE6ELNS1_3repE0EEENS1_47radix_sort_onesweep_sort_config_static_selectorELNS0_4arch9wavefront6targetE0EEEvSN_,@function
_ZN7rocprim17ROCPRIM_400000_NS6detail17trampoline_kernelINS0_14default_configENS1_35radix_sort_onesweep_config_selectorIjN6thrust23THRUST_200600_302600_NS5tupleIffNS6_9null_typeES8_S8_S8_S8_S8_S8_S8_EEEEZZNS1_29radix_sort_onesweep_iterationIS3_Lb0ENS6_6detail15normal_iteratorINS6_10device_ptrIjEEEESG_NSD_INSE_IS9_EEEESI_jNS0_19identity_decomposerENS1_16block_id_wrapperIjLb0EEEEE10hipError_tT1_PNSt15iterator_traitsISN_E10value_typeET2_T3_PNSO_IST_E10value_typeET4_T5_PSY_SZ_PNS1_23onesweep_lookback_stateEbbT6_jjT7_P12ihipStream_tbENKUlT_T0_SN_SS_E_clIPjSG_PS9_SI_EEDaS16_S17_SN_SS_EUlS16_E_NS1_11comp_targetILNS1_3genE2ELNS1_11target_archE906ELNS1_3gpuE6ELNS1_3repE0EEENS1_47radix_sort_onesweep_sort_config_static_selectorELNS0_4arch9wavefront6targetE0EEEvSN_: ; @_ZN7rocprim17ROCPRIM_400000_NS6detail17trampoline_kernelINS0_14default_configENS1_35radix_sort_onesweep_config_selectorIjN6thrust23THRUST_200600_302600_NS5tupleIffNS6_9null_typeES8_S8_S8_S8_S8_S8_S8_EEEEZZNS1_29radix_sort_onesweep_iterationIS3_Lb0ENS6_6detail15normal_iteratorINS6_10device_ptrIjEEEESG_NSD_INSE_IS9_EEEESI_jNS0_19identity_decomposerENS1_16block_id_wrapperIjLb0EEEEE10hipError_tT1_PNSt15iterator_traitsISN_E10value_typeET2_T3_PNSO_IST_E10value_typeET4_T5_PSY_SZ_PNS1_23onesweep_lookback_stateEbbT6_jjT7_P12ihipStream_tbENKUlT_T0_SN_SS_E_clIPjSG_PS9_SI_EEDaS16_S17_SN_SS_EUlS16_E_NS1_11comp_targetILNS1_3genE2ELNS1_11target_archE906ELNS1_3gpuE6ELNS1_3repE0EEENS1_47radix_sort_onesweep_sort_config_static_selectorELNS0_4arch9wavefront6targetE0EEEvSN_
; %bb.0:
	.section	.rodata,"a",@progbits
	.p2align	6, 0x0
	.amdhsa_kernel _ZN7rocprim17ROCPRIM_400000_NS6detail17trampoline_kernelINS0_14default_configENS1_35radix_sort_onesweep_config_selectorIjN6thrust23THRUST_200600_302600_NS5tupleIffNS6_9null_typeES8_S8_S8_S8_S8_S8_S8_EEEEZZNS1_29radix_sort_onesweep_iterationIS3_Lb0ENS6_6detail15normal_iteratorINS6_10device_ptrIjEEEESG_NSD_INSE_IS9_EEEESI_jNS0_19identity_decomposerENS1_16block_id_wrapperIjLb0EEEEE10hipError_tT1_PNSt15iterator_traitsISN_E10value_typeET2_T3_PNSO_IST_E10value_typeET4_T5_PSY_SZ_PNS1_23onesweep_lookback_stateEbbT6_jjT7_P12ihipStream_tbENKUlT_T0_SN_SS_E_clIPjSG_PS9_SI_EEDaS16_S17_SN_SS_EUlS16_E_NS1_11comp_targetILNS1_3genE2ELNS1_11target_archE906ELNS1_3gpuE6ELNS1_3repE0EEENS1_47radix_sort_onesweep_sort_config_static_selectorELNS0_4arch9wavefront6targetE0EEEvSN_
		.amdhsa_group_segment_fixed_size 0
		.amdhsa_private_segment_fixed_size 0
		.amdhsa_kernarg_size 88
		.amdhsa_user_sgpr_count 6
		.amdhsa_user_sgpr_private_segment_buffer 1
		.amdhsa_user_sgpr_dispatch_ptr 0
		.amdhsa_user_sgpr_queue_ptr 0
		.amdhsa_user_sgpr_kernarg_segment_ptr 1
		.amdhsa_user_sgpr_dispatch_id 0
		.amdhsa_user_sgpr_flat_scratch_init 0
		.amdhsa_user_sgpr_private_segment_size 0
		.amdhsa_wavefront_size32 1
		.amdhsa_uses_dynamic_stack 0
		.amdhsa_system_sgpr_private_segment_wavefront_offset 0
		.amdhsa_system_sgpr_workgroup_id_x 1
		.amdhsa_system_sgpr_workgroup_id_y 0
		.amdhsa_system_sgpr_workgroup_id_z 0
		.amdhsa_system_sgpr_workgroup_info 0
		.amdhsa_system_vgpr_workitem_id 0
		.amdhsa_next_free_vgpr 1
		.amdhsa_next_free_sgpr 1
		.amdhsa_reserve_vcc 0
		.amdhsa_reserve_flat_scratch 0
		.amdhsa_float_round_mode_32 0
		.amdhsa_float_round_mode_16_64 0
		.amdhsa_float_denorm_mode_32 3
		.amdhsa_float_denorm_mode_16_64 3
		.amdhsa_dx10_clamp 1
		.amdhsa_ieee_mode 1
		.amdhsa_fp16_overflow 0
		.amdhsa_workgroup_processor_mode 1
		.amdhsa_memory_ordered 1
		.amdhsa_forward_progress 1
		.amdhsa_shared_vgpr_count 0
		.amdhsa_exception_fp_ieee_invalid_op 0
		.amdhsa_exception_fp_denorm_src 0
		.amdhsa_exception_fp_ieee_div_zero 0
		.amdhsa_exception_fp_ieee_overflow 0
		.amdhsa_exception_fp_ieee_underflow 0
		.amdhsa_exception_fp_ieee_inexact 0
		.amdhsa_exception_int_div_zero 0
	.end_amdhsa_kernel
	.section	.text._ZN7rocprim17ROCPRIM_400000_NS6detail17trampoline_kernelINS0_14default_configENS1_35radix_sort_onesweep_config_selectorIjN6thrust23THRUST_200600_302600_NS5tupleIffNS6_9null_typeES8_S8_S8_S8_S8_S8_S8_EEEEZZNS1_29radix_sort_onesweep_iterationIS3_Lb0ENS6_6detail15normal_iteratorINS6_10device_ptrIjEEEESG_NSD_INSE_IS9_EEEESI_jNS0_19identity_decomposerENS1_16block_id_wrapperIjLb0EEEEE10hipError_tT1_PNSt15iterator_traitsISN_E10value_typeET2_T3_PNSO_IST_E10value_typeET4_T5_PSY_SZ_PNS1_23onesweep_lookback_stateEbbT6_jjT7_P12ihipStream_tbENKUlT_T0_SN_SS_E_clIPjSG_PS9_SI_EEDaS16_S17_SN_SS_EUlS16_E_NS1_11comp_targetILNS1_3genE2ELNS1_11target_archE906ELNS1_3gpuE6ELNS1_3repE0EEENS1_47radix_sort_onesweep_sort_config_static_selectorELNS0_4arch9wavefront6targetE0EEEvSN_,"axG",@progbits,_ZN7rocprim17ROCPRIM_400000_NS6detail17trampoline_kernelINS0_14default_configENS1_35radix_sort_onesweep_config_selectorIjN6thrust23THRUST_200600_302600_NS5tupleIffNS6_9null_typeES8_S8_S8_S8_S8_S8_S8_EEEEZZNS1_29radix_sort_onesweep_iterationIS3_Lb0ENS6_6detail15normal_iteratorINS6_10device_ptrIjEEEESG_NSD_INSE_IS9_EEEESI_jNS0_19identity_decomposerENS1_16block_id_wrapperIjLb0EEEEE10hipError_tT1_PNSt15iterator_traitsISN_E10value_typeET2_T3_PNSO_IST_E10value_typeET4_T5_PSY_SZ_PNS1_23onesweep_lookback_stateEbbT6_jjT7_P12ihipStream_tbENKUlT_T0_SN_SS_E_clIPjSG_PS9_SI_EEDaS16_S17_SN_SS_EUlS16_E_NS1_11comp_targetILNS1_3genE2ELNS1_11target_archE906ELNS1_3gpuE6ELNS1_3repE0EEENS1_47radix_sort_onesweep_sort_config_static_selectorELNS0_4arch9wavefront6targetE0EEEvSN_,comdat
.Lfunc_end223:
	.size	_ZN7rocprim17ROCPRIM_400000_NS6detail17trampoline_kernelINS0_14default_configENS1_35radix_sort_onesweep_config_selectorIjN6thrust23THRUST_200600_302600_NS5tupleIffNS6_9null_typeES8_S8_S8_S8_S8_S8_S8_EEEEZZNS1_29radix_sort_onesweep_iterationIS3_Lb0ENS6_6detail15normal_iteratorINS6_10device_ptrIjEEEESG_NSD_INSE_IS9_EEEESI_jNS0_19identity_decomposerENS1_16block_id_wrapperIjLb0EEEEE10hipError_tT1_PNSt15iterator_traitsISN_E10value_typeET2_T3_PNSO_IST_E10value_typeET4_T5_PSY_SZ_PNS1_23onesweep_lookback_stateEbbT6_jjT7_P12ihipStream_tbENKUlT_T0_SN_SS_E_clIPjSG_PS9_SI_EEDaS16_S17_SN_SS_EUlS16_E_NS1_11comp_targetILNS1_3genE2ELNS1_11target_archE906ELNS1_3gpuE6ELNS1_3repE0EEENS1_47radix_sort_onesweep_sort_config_static_selectorELNS0_4arch9wavefront6targetE0EEEvSN_, .Lfunc_end223-_ZN7rocprim17ROCPRIM_400000_NS6detail17trampoline_kernelINS0_14default_configENS1_35radix_sort_onesweep_config_selectorIjN6thrust23THRUST_200600_302600_NS5tupleIffNS6_9null_typeES8_S8_S8_S8_S8_S8_S8_EEEEZZNS1_29radix_sort_onesweep_iterationIS3_Lb0ENS6_6detail15normal_iteratorINS6_10device_ptrIjEEEESG_NSD_INSE_IS9_EEEESI_jNS0_19identity_decomposerENS1_16block_id_wrapperIjLb0EEEEE10hipError_tT1_PNSt15iterator_traitsISN_E10value_typeET2_T3_PNSO_IST_E10value_typeET4_T5_PSY_SZ_PNS1_23onesweep_lookback_stateEbbT6_jjT7_P12ihipStream_tbENKUlT_T0_SN_SS_E_clIPjSG_PS9_SI_EEDaS16_S17_SN_SS_EUlS16_E_NS1_11comp_targetILNS1_3genE2ELNS1_11target_archE906ELNS1_3gpuE6ELNS1_3repE0EEENS1_47radix_sort_onesweep_sort_config_static_selectorELNS0_4arch9wavefront6targetE0EEEvSN_
                                        ; -- End function
	.set _ZN7rocprim17ROCPRIM_400000_NS6detail17trampoline_kernelINS0_14default_configENS1_35radix_sort_onesweep_config_selectorIjN6thrust23THRUST_200600_302600_NS5tupleIffNS6_9null_typeES8_S8_S8_S8_S8_S8_S8_EEEEZZNS1_29radix_sort_onesweep_iterationIS3_Lb0ENS6_6detail15normal_iteratorINS6_10device_ptrIjEEEESG_NSD_INSE_IS9_EEEESI_jNS0_19identity_decomposerENS1_16block_id_wrapperIjLb0EEEEE10hipError_tT1_PNSt15iterator_traitsISN_E10value_typeET2_T3_PNSO_IST_E10value_typeET4_T5_PSY_SZ_PNS1_23onesweep_lookback_stateEbbT6_jjT7_P12ihipStream_tbENKUlT_T0_SN_SS_E_clIPjSG_PS9_SI_EEDaS16_S17_SN_SS_EUlS16_E_NS1_11comp_targetILNS1_3genE2ELNS1_11target_archE906ELNS1_3gpuE6ELNS1_3repE0EEENS1_47radix_sort_onesweep_sort_config_static_selectorELNS0_4arch9wavefront6targetE0EEEvSN_.num_vgpr, 0
	.set _ZN7rocprim17ROCPRIM_400000_NS6detail17trampoline_kernelINS0_14default_configENS1_35radix_sort_onesweep_config_selectorIjN6thrust23THRUST_200600_302600_NS5tupleIffNS6_9null_typeES8_S8_S8_S8_S8_S8_S8_EEEEZZNS1_29radix_sort_onesweep_iterationIS3_Lb0ENS6_6detail15normal_iteratorINS6_10device_ptrIjEEEESG_NSD_INSE_IS9_EEEESI_jNS0_19identity_decomposerENS1_16block_id_wrapperIjLb0EEEEE10hipError_tT1_PNSt15iterator_traitsISN_E10value_typeET2_T3_PNSO_IST_E10value_typeET4_T5_PSY_SZ_PNS1_23onesweep_lookback_stateEbbT6_jjT7_P12ihipStream_tbENKUlT_T0_SN_SS_E_clIPjSG_PS9_SI_EEDaS16_S17_SN_SS_EUlS16_E_NS1_11comp_targetILNS1_3genE2ELNS1_11target_archE906ELNS1_3gpuE6ELNS1_3repE0EEENS1_47radix_sort_onesweep_sort_config_static_selectorELNS0_4arch9wavefront6targetE0EEEvSN_.num_agpr, 0
	.set _ZN7rocprim17ROCPRIM_400000_NS6detail17trampoline_kernelINS0_14default_configENS1_35radix_sort_onesweep_config_selectorIjN6thrust23THRUST_200600_302600_NS5tupleIffNS6_9null_typeES8_S8_S8_S8_S8_S8_S8_EEEEZZNS1_29radix_sort_onesweep_iterationIS3_Lb0ENS6_6detail15normal_iteratorINS6_10device_ptrIjEEEESG_NSD_INSE_IS9_EEEESI_jNS0_19identity_decomposerENS1_16block_id_wrapperIjLb0EEEEE10hipError_tT1_PNSt15iterator_traitsISN_E10value_typeET2_T3_PNSO_IST_E10value_typeET4_T5_PSY_SZ_PNS1_23onesweep_lookback_stateEbbT6_jjT7_P12ihipStream_tbENKUlT_T0_SN_SS_E_clIPjSG_PS9_SI_EEDaS16_S17_SN_SS_EUlS16_E_NS1_11comp_targetILNS1_3genE2ELNS1_11target_archE906ELNS1_3gpuE6ELNS1_3repE0EEENS1_47radix_sort_onesweep_sort_config_static_selectorELNS0_4arch9wavefront6targetE0EEEvSN_.numbered_sgpr, 0
	.set _ZN7rocprim17ROCPRIM_400000_NS6detail17trampoline_kernelINS0_14default_configENS1_35radix_sort_onesweep_config_selectorIjN6thrust23THRUST_200600_302600_NS5tupleIffNS6_9null_typeES8_S8_S8_S8_S8_S8_S8_EEEEZZNS1_29radix_sort_onesweep_iterationIS3_Lb0ENS6_6detail15normal_iteratorINS6_10device_ptrIjEEEESG_NSD_INSE_IS9_EEEESI_jNS0_19identity_decomposerENS1_16block_id_wrapperIjLb0EEEEE10hipError_tT1_PNSt15iterator_traitsISN_E10value_typeET2_T3_PNSO_IST_E10value_typeET4_T5_PSY_SZ_PNS1_23onesweep_lookback_stateEbbT6_jjT7_P12ihipStream_tbENKUlT_T0_SN_SS_E_clIPjSG_PS9_SI_EEDaS16_S17_SN_SS_EUlS16_E_NS1_11comp_targetILNS1_3genE2ELNS1_11target_archE906ELNS1_3gpuE6ELNS1_3repE0EEENS1_47radix_sort_onesweep_sort_config_static_selectorELNS0_4arch9wavefront6targetE0EEEvSN_.num_named_barrier, 0
	.set _ZN7rocprim17ROCPRIM_400000_NS6detail17trampoline_kernelINS0_14default_configENS1_35radix_sort_onesweep_config_selectorIjN6thrust23THRUST_200600_302600_NS5tupleIffNS6_9null_typeES8_S8_S8_S8_S8_S8_S8_EEEEZZNS1_29radix_sort_onesweep_iterationIS3_Lb0ENS6_6detail15normal_iteratorINS6_10device_ptrIjEEEESG_NSD_INSE_IS9_EEEESI_jNS0_19identity_decomposerENS1_16block_id_wrapperIjLb0EEEEE10hipError_tT1_PNSt15iterator_traitsISN_E10value_typeET2_T3_PNSO_IST_E10value_typeET4_T5_PSY_SZ_PNS1_23onesweep_lookback_stateEbbT6_jjT7_P12ihipStream_tbENKUlT_T0_SN_SS_E_clIPjSG_PS9_SI_EEDaS16_S17_SN_SS_EUlS16_E_NS1_11comp_targetILNS1_3genE2ELNS1_11target_archE906ELNS1_3gpuE6ELNS1_3repE0EEENS1_47radix_sort_onesweep_sort_config_static_selectorELNS0_4arch9wavefront6targetE0EEEvSN_.private_seg_size, 0
	.set _ZN7rocprim17ROCPRIM_400000_NS6detail17trampoline_kernelINS0_14default_configENS1_35radix_sort_onesweep_config_selectorIjN6thrust23THRUST_200600_302600_NS5tupleIffNS6_9null_typeES8_S8_S8_S8_S8_S8_S8_EEEEZZNS1_29radix_sort_onesweep_iterationIS3_Lb0ENS6_6detail15normal_iteratorINS6_10device_ptrIjEEEESG_NSD_INSE_IS9_EEEESI_jNS0_19identity_decomposerENS1_16block_id_wrapperIjLb0EEEEE10hipError_tT1_PNSt15iterator_traitsISN_E10value_typeET2_T3_PNSO_IST_E10value_typeET4_T5_PSY_SZ_PNS1_23onesweep_lookback_stateEbbT6_jjT7_P12ihipStream_tbENKUlT_T0_SN_SS_E_clIPjSG_PS9_SI_EEDaS16_S17_SN_SS_EUlS16_E_NS1_11comp_targetILNS1_3genE2ELNS1_11target_archE906ELNS1_3gpuE6ELNS1_3repE0EEENS1_47radix_sort_onesweep_sort_config_static_selectorELNS0_4arch9wavefront6targetE0EEEvSN_.uses_vcc, 0
	.set _ZN7rocprim17ROCPRIM_400000_NS6detail17trampoline_kernelINS0_14default_configENS1_35radix_sort_onesweep_config_selectorIjN6thrust23THRUST_200600_302600_NS5tupleIffNS6_9null_typeES8_S8_S8_S8_S8_S8_S8_EEEEZZNS1_29radix_sort_onesweep_iterationIS3_Lb0ENS6_6detail15normal_iteratorINS6_10device_ptrIjEEEESG_NSD_INSE_IS9_EEEESI_jNS0_19identity_decomposerENS1_16block_id_wrapperIjLb0EEEEE10hipError_tT1_PNSt15iterator_traitsISN_E10value_typeET2_T3_PNSO_IST_E10value_typeET4_T5_PSY_SZ_PNS1_23onesweep_lookback_stateEbbT6_jjT7_P12ihipStream_tbENKUlT_T0_SN_SS_E_clIPjSG_PS9_SI_EEDaS16_S17_SN_SS_EUlS16_E_NS1_11comp_targetILNS1_3genE2ELNS1_11target_archE906ELNS1_3gpuE6ELNS1_3repE0EEENS1_47radix_sort_onesweep_sort_config_static_selectorELNS0_4arch9wavefront6targetE0EEEvSN_.uses_flat_scratch, 0
	.set _ZN7rocprim17ROCPRIM_400000_NS6detail17trampoline_kernelINS0_14default_configENS1_35radix_sort_onesweep_config_selectorIjN6thrust23THRUST_200600_302600_NS5tupleIffNS6_9null_typeES8_S8_S8_S8_S8_S8_S8_EEEEZZNS1_29radix_sort_onesweep_iterationIS3_Lb0ENS6_6detail15normal_iteratorINS6_10device_ptrIjEEEESG_NSD_INSE_IS9_EEEESI_jNS0_19identity_decomposerENS1_16block_id_wrapperIjLb0EEEEE10hipError_tT1_PNSt15iterator_traitsISN_E10value_typeET2_T3_PNSO_IST_E10value_typeET4_T5_PSY_SZ_PNS1_23onesweep_lookback_stateEbbT6_jjT7_P12ihipStream_tbENKUlT_T0_SN_SS_E_clIPjSG_PS9_SI_EEDaS16_S17_SN_SS_EUlS16_E_NS1_11comp_targetILNS1_3genE2ELNS1_11target_archE906ELNS1_3gpuE6ELNS1_3repE0EEENS1_47radix_sort_onesweep_sort_config_static_selectorELNS0_4arch9wavefront6targetE0EEEvSN_.has_dyn_sized_stack, 0
	.set _ZN7rocprim17ROCPRIM_400000_NS6detail17trampoline_kernelINS0_14default_configENS1_35radix_sort_onesweep_config_selectorIjN6thrust23THRUST_200600_302600_NS5tupleIffNS6_9null_typeES8_S8_S8_S8_S8_S8_S8_EEEEZZNS1_29radix_sort_onesweep_iterationIS3_Lb0ENS6_6detail15normal_iteratorINS6_10device_ptrIjEEEESG_NSD_INSE_IS9_EEEESI_jNS0_19identity_decomposerENS1_16block_id_wrapperIjLb0EEEEE10hipError_tT1_PNSt15iterator_traitsISN_E10value_typeET2_T3_PNSO_IST_E10value_typeET4_T5_PSY_SZ_PNS1_23onesweep_lookback_stateEbbT6_jjT7_P12ihipStream_tbENKUlT_T0_SN_SS_E_clIPjSG_PS9_SI_EEDaS16_S17_SN_SS_EUlS16_E_NS1_11comp_targetILNS1_3genE2ELNS1_11target_archE906ELNS1_3gpuE6ELNS1_3repE0EEENS1_47radix_sort_onesweep_sort_config_static_selectorELNS0_4arch9wavefront6targetE0EEEvSN_.has_recursion, 0
	.set _ZN7rocprim17ROCPRIM_400000_NS6detail17trampoline_kernelINS0_14default_configENS1_35radix_sort_onesweep_config_selectorIjN6thrust23THRUST_200600_302600_NS5tupleIffNS6_9null_typeES8_S8_S8_S8_S8_S8_S8_EEEEZZNS1_29radix_sort_onesweep_iterationIS3_Lb0ENS6_6detail15normal_iteratorINS6_10device_ptrIjEEEESG_NSD_INSE_IS9_EEEESI_jNS0_19identity_decomposerENS1_16block_id_wrapperIjLb0EEEEE10hipError_tT1_PNSt15iterator_traitsISN_E10value_typeET2_T3_PNSO_IST_E10value_typeET4_T5_PSY_SZ_PNS1_23onesweep_lookback_stateEbbT6_jjT7_P12ihipStream_tbENKUlT_T0_SN_SS_E_clIPjSG_PS9_SI_EEDaS16_S17_SN_SS_EUlS16_E_NS1_11comp_targetILNS1_3genE2ELNS1_11target_archE906ELNS1_3gpuE6ELNS1_3repE0EEENS1_47radix_sort_onesweep_sort_config_static_selectorELNS0_4arch9wavefront6targetE0EEEvSN_.has_indirect_call, 0
	.section	.AMDGPU.csdata,"",@progbits
; Kernel info:
; codeLenInByte = 0
; TotalNumSgprs: 0
; NumVgprs: 0
; ScratchSize: 0
; MemoryBound: 0
; FloatMode: 240
; IeeeMode: 1
; LDSByteSize: 0 bytes/workgroup (compile time only)
; SGPRBlocks: 0
; VGPRBlocks: 0
; NumSGPRsForWavesPerEU: 1
; NumVGPRsForWavesPerEU: 1
; Occupancy: 16
; WaveLimiterHint : 0
; COMPUTE_PGM_RSRC2:SCRATCH_EN: 0
; COMPUTE_PGM_RSRC2:USER_SGPR: 6
; COMPUTE_PGM_RSRC2:TRAP_HANDLER: 0
; COMPUTE_PGM_RSRC2:TGID_X_EN: 1
; COMPUTE_PGM_RSRC2:TGID_Y_EN: 0
; COMPUTE_PGM_RSRC2:TGID_Z_EN: 0
; COMPUTE_PGM_RSRC2:TIDIG_COMP_CNT: 0
	.section	.text._ZN7rocprim17ROCPRIM_400000_NS6detail17trampoline_kernelINS0_14default_configENS1_35radix_sort_onesweep_config_selectorIjN6thrust23THRUST_200600_302600_NS5tupleIffNS6_9null_typeES8_S8_S8_S8_S8_S8_S8_EEEEZZNS1_29radix_sort_onesweep_iterationIS3_Lb0ENS6_6detail15normal_iteratorINS6_10device_ptrIjEEEESG_NSD_INSE_IS9_EEEESI_jNS0_19identity_decomposerENS1_16block_id_wrapperIjLb0EEEEE10hipError_tT1_PNSt15iterator_traitsISN_E10value_typeET2_T3_PNSO_IST_E10value_typeET4_T5_PSY_SZ_PNS1_23onesweep_lookback_stateEbbT6_jjT7_P12ihipStream_tbENKUlT_T0_SN_SS_E_clIPjSG_PS9_SI_EEDaS16_S17_SN_SS_EUlS16_E_NS1_11comp_targetILNS1_3genE4ELNS1_11target_archE910ELNS1_3gpuE8ELNS1_3repE0EEENS1_47radix_sort_onesweep_sort_config_static_selectorELNS0_4arch9wavefront6targetE0EEEvSN_,"axG",@progbits,_ZN7rocprim17ROCPRIM_400000_NS6detail17trampoline_kernelINS0_14default_configENS1_35radix_sort_onesweep_config_selectorIjN6thrust23THRUST_200600_302600_NS5tupleIffNS6_9null_typeES8_S8_S8_S8_S8_S8_S8_EEEEZZNS1_29radix_sort_onesweep_iterationIS3_Lb0ENS6_6detail15normal_iteratorINS6_10device_ptrIjEEEESG_NSD_INSE_IS9_EEEESI_jNS0_19identity_decomposerENS1_16block_id_wrapperIjLb0EEEEE10hipError_tT1_PNSt15iterator_traitsISN_E10value_typeET2_T3_PNSO_IST_E10value_typeET4_T5_PSY_SZ_PNS1_23onesweep_lookback_stateEbbT6_jjT7_P12ihipStream_tbENKUlT_T0_SN_SS_E_clIPjSG_PS9_SI_EEDaS16_S17_SN_SS_EUlS16_E_NS1_11comp_targetILNS1_3genE4ELNS1_11target_archE910ELNS1_3gpuE8ELNS1_3repE0EEENS1_47radix_sort_onesweep_sort_config_static_selectorELNS0_4arch9wavefront6targetE0EEEvSN_,comdat
	.protected	_ZN7rocprim17ROCPRIM_400000_NS6detail17trampoline_kernelINS0_14default_configENS1_35radix_sort_onesweep_config_selectorIjN6thrust23THRUST_200600_302600_NS5tupleIffNS6_9null_typeES8_S8_S8_S8_S8_S8_S8_EEEEZZNS1_29radix_sort_onesweep_iterationIS3_Lb0ENS6_6detail15normal_iteratorINS6_10device_ptrIjEEEESG_NSD_INSE_IS9_EEEESI_jNS0_19identity_decomposerENS1_16block_id_wrapperIjLb0EEEEE10hipError_tT1_PNSt15iterator_traitsISN_E10value_typeET2_T3_PNSO_IST_E10value_typeET4_T5_PSY_SZ_PNS1_23onesweep_lookback_stateEbbT6_jjT7_P12ihipStream_tbENKUlT_T0_SN_SS_E_clIPjSG_PS9_SI_EEDaS16_S17_SN_SS_EUlS16_E_NS1_11comp_targetILNS1_3genE4ELNS1_11target_archE910ELNS1_3gpuE8ELNS1_3repE0EEENS1_47radix_sort_onesweep_sort_config_static_selectorELNS0_4arch9wavefront6targetE0EEEvSN_ ; -- Begin function _ZN7rocprim17ROCPRIM_400000_NS6detail17trampoline_kernelINS0_14default_configENS1_35radix_sort_onesweep_config_selectorIjN6thrust23THRUST_200600_302600_NS5tupleIffNS6_9null_typeES8_S8_S8_S8_S8_S8_S8_EEEEZZNS1_29radix_sort_onesweep_iterationIS3_Lb0ENS6_6detail15normal_iteratorINS6_10device_ptrIjEEEESG_NSD_INSE_IS9_EEEESI_jNS0_19identity_decomposerENS1_16block_id_wrapperIjLb0EEEEE10hipError_tT1_PNSt15iterator_traitsISN_E10value_typeET2_T3_PNSO_IST_E10value_typeET4_T5_PSY_SZ_PNS1_23onesweep_lookback_stateEbbT6_jjT7_P12ihipStream_tbENKUlT_T0_SN_SS_E_clIPjSG_PS9_SI_EEDaS16_S17_SN_SS_EUlS16_E_NS1_11comp_targetILNS1_3genE4ELNS1_11target_archE910ELNS1_3gpuE8ELNS1_3repE0EEENS1_47radix_sort_onesweep_sort_config_static_selectorELNS0_4arch9wavefront6targetE0EEEvSN_
	.globl	_ZN7rocprim17ROCPRIM_400000_NS6detail17trampoline_kernelINS0_14default_configENS1_35radix_sort_onesweep_config_selectorIjN6thrust23THRUST_200600_302600_NS5tupleIffNS6_9null_typeES8_S8_S8_S8_S8_S8_S8_EEEEZZNS1_29radix_sort_onesweep_iterationIS3_Lb0ENS6_6detail15normal_iteratorINS6_10device_ptrIjEEEESG_NSD_INSE_IS9_EEEESI_jNS0_19identity_decomposerENS1_16block_id_wrapperIjLb0EEEEE10hipError_tT1_PNSt15iterator_traitsISN_E10value_typeET2_T3_PNSO_IST_E10value_typeET4_T5_PSY_SZ_PNS1_23onesweep_lookback_stateEbbT6_jjT7_P12ihipStream_tbENKUlT_T0_SN_SS_E_clIPjSG_PS9_SI_EEDaS16_S17_SN_SS_EUlS16_E_NS1_11comp_targetILNS1_3genE4ELNS1_11target_archE910ELNS1_3gpuE8ELNS1_3repE0EEENS1_47radix_sort_onesweep_sort_config_static_selectorELNS0_4arch9wavefront6targetE0EEEvSN_
	.p2align	8
	.type	_ZN7rocprim17ROCPRIM_400000_NS6detail17trampoline_kernelINS0_14default_configENS1_35radix_sort_onesweep_config_selectorIjN6thrust23THRUST_200600_302600_NS5tupleIffNS6_9null_typeES8_S8_S8_S8_S8_S8_S8_EEEEZZNS1_29radix_sort_onesweep_iterationIS3_Lb0ENS6_6detail15normal_iteratorINS6_10device_ptrIjEEEESG_NSD_INSE_IS9_EEEESI_jNS0_19identity_decomposerENS1_16block_id_wrapperIjLb0EEEEE10hipError_tT1_PNSt15iterator_traitsISN_E10value_typeET2_T3_PNSO_IST_E10value_typeET4_T5_PSY_SZ_PNS1_23onesweep_lookback_stateEbbT6_jjT7_P12ihipStream_tbENKUlT_T0_SN_SS_E_clIPjSG_PS9_SI_EEDaS16_S17_SN_SS_EUlS16_E_NS1_11comp_targetILNS1_3genE4ELNS1_11target_archE910ELNS1_3gpuE8ELNS1_3repE0EEENS1_47radix_sort_onesweep_sort_config_static_selectorELNS0_4arch9wavefront6targetE0EEEvSN_,@function
_ZN7rocprim17ROCPRIM_400000_NS6detail17trampoline_kernelINS0_14default_configENS1_35radix_sort_onesweep_config_selectorIjN6thrust23THRUST_200600_302600_NS5tupleIffNS6_9null_typeES8_S8_S8_S8_S8_S8_S8_EEEEZZNS1_29radix_sort_onesweep_iterationIS3_Lb0ENS6_6detail15normal_iteratorINS6_10device_ptrIjEEEESG_NSD_INSE_IS9_EEEESI_jNS0_19identity_decomposerENS1_16block_id_wrapperIjLb0EEEEE10hipError_tT1_PNSt15iterator_traitsISN_E10value_typeET2_T3_PNSO_IST_E10value_typeET4_T5_PSY_SZ_PNS1_23onesweep_lookback_stateEbbT6_jjT7_P12ihipStream_tbENKUlT_T0_SN_SS_E_clIPjSG_PS9_SI_EEDaS16_S17_SN_SS_EUlS16_E_NS1_11comp_targetILNS1_3genE4ELNS1_11target_archE910ELNS1_3gpuE8ELNS1_3repE0EEENS1_47radix_sort_onesweep_sort_config_static_selectorELNS0_4arch9wavefront6targetE0EEEvSN_: ; @_ZN7rocprim17ROCPRIM_400000_NS6detail17trampoline_kernelINS0_14default_configENS1_35radix_sort_onesweep_config_selectorIjN6thrust23THRUST_200600_302600_NS5tupleIffNS6_9null_typeES8_S8_S8_S8_S8_S8_S8_EEEEZZNS1_29radix_sort_onesweep_iterationIS3_Lb0ENS6_6detail15normal_iteratorINS6_10device_ptrIjEEEESG_NSD_INSE_IS9_EEEESI_jNS0_19identity_decomposerENS1_16block_id_wrapperIjLb0EEEEE10hipError_tT1_PNSt15iterator_traitsISN_E10value_typeET2_T3_PNSO_IST_E10value_typeET4_T5_PSY_SZ_PNS1_23onesweep_lookback_stateEbbT6_jjT7_P12ihipStream_tbENKUlT_T0_SN_SS_E_clIPjSG_PS9_SI_EEDaS16_S17_SN_SS_EUlS16_E_NS1_11comp_targetILNS1_3genE4ELNS1_11target_archE910ELNS1_3gpuE8ELNS1_3repE0EEENS1_47radix_sort_onesweep_sort_config_static_selectorELNS0_4arch9wavefront6targetE0EEEvSN_
; %bb.0:
	.section	.rodata,"a",@progbits
	.p2align	6, 0x0
	.amdhsa_kernel _ZN7rocprim17ROCPRIM_400000_NS6detail17trampoline_kernelINS0_14default_configENS1_35radix_sort_onesweep_config_selectorIjN6thrust23THRUST_200600_302600_NS5tupleIffNS6_9null_typeES8_S8_S8_S8_S8_S8_S8_EEEEZZNS1_29radix_sort_onesweep_iterationIS3_Lb0ENS6_6detail15normal_iteratorINS6_10device_ptrIjEEEESG_NSD_INSE_IS9_EEEESI_jNS0_19identity_decomposerENS1_16block_id_wrapperIjLb0EEEEE10hipError_tT1_PNSt15iterator_traitsISN_E10value_typeET2_T3_PNSO_IST_E10value_typeET4_T5_PSY_SZ_PNS1_23onesweep_lookback_stateEbbT6_jjT7_P12ihipStream_tbENKUlT_T0_SN_SS_E_clIPjSG_PS9_SI_EEDaS16_S17_SN_SS_EUlS16_E_NS1_11comp_targetILNS1_3genE4ELNS1_11target_archE910ELNS1_3gpuE8ELNS1_3repE0EEENS1_47radix_sort_onesweep_sort_config_static_selectorELNS0_4arch9wavefront6targetE0EEEvSN_
		.amdhsa_group_segment_fixed_size 0
		.amdhsa_private_segment_fixed_size 0
		.amdhsa_kernarg_size 88
		.amdhsa_user_sgpr_count 6
		.amdhsa_user_sgpr_private_segment_buffer 1
		.amdhsa_user_sgpr_dispatch_ptr 0
		.amdhsa_user_sgpr_queue_ptr 0
		.amdhsa_user_sgpr_kernarg_segment_ptr 1
		.amdhsa_user_sgpr_dispatch_id 0
		.amdhsa_user_sgpr_flat_scratch_init 0
		.amdhsa_user_sgpr_private_segment_size 0
		.amdhsa_wavefront_size32 1
		.amdhsa_uses_dynamic_stack 0
		.amdhsa_system_sgpr_private_segment_wavefront_offset 0
		.amdhsa_system_sgpr_workgroup_id_x 1
		.amdhsa_system_sgpr_workgroup_id_y 0
		.amdhsa_system_sgpr_workgroup_id_z 0
		.amdhsa_system_sgpr_workgroup_info 0
		.amdhsa_system_vgpr_workitem_id 0
		.amdhsa_next_free_vgpr 1
		.amdhsa_next_free_sgpr 1
		.amdhsa_reserve_vcc 0
		.amdhsa_reserve_flat_scratch 0
		.amdhsa_float_round_mode_32 0
		.amdhsa_float_round_mode_16_64 0
		.amdhsa_float_denorm_mode_32 3
		.amdhsa_float_denorm_mode_16_64 3
		.amdhsa_dx10_clamp 1
		.amdhsa_ieee_mode 1
		.amdhsa_fp16_overflow 0
		.amdhsa_workgroup_processor_mode 1
		.amdhsa_memory_ordered 1
		.amdhsa_forward_progress 1
		.amdhsa_shared_vgpr_count 0
		.amdhsa_exception_fp_ieee_invalid_op 0
		.amdhsa_exception_fp_denorm_src 0
		.amdhsa_exception_fp_ieee_div_zero 0
		.amdhsa_exception_fp_ieee_overflow 0
		.amdhsa_exception_fp_ieee_underflow 0
		.amdhsa_exception_fp_ieee_inexact 0
		.amdhsa_exception_int_div_zero 0
	.end_amdhsa_kernel
	.section	.text._ZN7rocprim17ROCPRIM_400000_NS6detail17trampoline_kernelINS0_14default_configENS1_35radix_sort_onesweep_config_selectorIjN6thrust23THRUST_200600_302600_NS5tupleIffNS6_9null_typeES8_S8_S8_S8_S8_S8_S8_EEEEZZNS1_29radix_sort_onesweep_iterationIS3_Lb0ENS6_6detail15normal_iteratorINS6_10device_ptrIjEEEESG_NSD_INSE_IS9_EEEESI_jNS0_19identity_decomposerENS1_16block_id_wrapperIjLb0EEEEE10hipError_tT1_PNSt15iterator_traitsISN_E10value_typeET2_T3_PNSO_IST_E10value_typeET4_T5_PSY_SZ_PNS1_23onesweep_lookback_stateEbbT6_jjT7_P12ihipStream_tbENKUlT_T0_SN_SS_E_clIPjSG_PS9_SI_EEDaS16_S17_SN_SS_EUlS16_E_NS1_11comp_targetILNS1_3genE4ELNS1_11target_archE910ELNS1_3gpuE8ELNS1_3repE0EEENS1_47radix_sort_onesweep_sort_config_static_selectorELNS0_4arch9wavefront6targetE0EEEvSN_,"axG",@progbits,_ZN7rocprim17ROCPRIM_400000_NS6detail17trampoline_kernelINS0_14default_configENS1_35radix_sort_onesweep_config_selectorIjN6thrust23THRUST_200600_302600_NS5tupleIffNS6_9null_typeES8_S8_S8_S8_S8_S8_S8_EEEEZZNS1_29radix_sort_onesweep_iterationIS3_Lb0ENS6_6detail15normal_iteratorINS6_10device_ptrIjEEEESG_NSD_INSE_IS9_EEEESI_jNS0_19identity_decomposerENS1_16block_id_wrapperIjLb0EEEEE10hipError_tT1_PNSt15iterator_traitsISN_E10value_typeET2_T3_PNSO_IST_E10value_typeET4_T5_PSY_SZ_PNS1_23onesweep_lookback_stateEbbT6_jjT7_P12ihipStream_tbENKUlT_T0_SN_SS_E_clIPjSG_PS9_SI_EEDaS16_S17_SN_SS_EUlS16_E_NS1_11comp_targetILNS1_3genE4ELNS1_11target_archE910ELNS1_3gpuE8ELNS1_3repE0EEENS1_47radix_sort_onesweep_sort_config_static_selectorELNS0_4arch9wavefront6targetE0EEEvSN_,comdat
.Lfunc_end224:
	.size	_ZN7rocprim17ROCPRIM_400000_NS6detail17trampoline_kernelINS0_14default_configENS1_35radix_sort_onesweep_config_selectorIjN6thrust23THRUST_200600_302600_NS5tupleIffNS6_9null_typeES8_S8_S8_S8_S8_S8_S8_EEEEZZNS1_29radix_sort_onesweep_iterationIS3_Lb0ENS6_6detail15normal_iteratorINS6_10device_ptrIjEEEESG_NSD_INSE_IS9_EEEESI_jNS0_19identity_decomposerENS1_16block_id_wrapperIjLb0EEEEE10hipError_tT1_PNSt15iterator_traitsISN_E10value_typeET2_T3_PNSO_IST_E10value_typeET4_T5_PSY_SZ_PNS1_23onesweep_lookback_stateEbbT6_jjT7_P12ihipStream_tbENKUlT_T0_SN_SS_E_clIPjSG_PS9_SI_EEDaS16_S17_SN_SS_EUlS16_E_NS1_11comp_targetILNS1_3genE4ELNS1_11target_archE910ELNS1_3gpuE8ELNS1_3repE0EEENS1_47radix_sort_onesweep_sort_config_static_selectorELNS0_4arch9wavefront6targetE0EEEvSN_, .Lfunc_end224-_ZN7rocprim17ROCPRIM_400000_NS6detail17trampoline_kernelINS0_14default_configENS1_35radix_sort_onesweep_config_selectorIjN6thrust23THRUST_200600_302600_NS5tupleIffNS6_9null_typeES8_S8_S8_S8_S8_S8_S8_EEEEZZNS1_29radix_sort_onesweep_iterationIS3_Lb0ENS6_6detail15normal_iteratorINS6_10device_ptrIjEEEESG_NSD_INSE_IS9_EEEESI_jNS0_19identity_decomposerENS1_16block_id_wrapperIjLb0EEEEE10hipError_tT1_PNSt15iterator_traitsISN_E10value_typeET2_T3_PNSO_IST_E10value_typeET4_T5_PSY_SZ_PNS1_23onesweep_lookback_stateEbbT6_jjT7_P12ihipStream_tbENKUlT_T0_SN_SS_E_clIPjSG_PS9_SI_EEDaS16_S17_SN_SS_EUlS16_E_NS1_11comp_targetILNS1_3genE4ELNS1_11target_archE910ELNS1_3gpuE8ELNS1_3repE0EEENS1_47radix_sort_onesweep_sort_config_static_selectorELNS0_4arch9wavefront6targetE0EEEvSN_
                                        ; -- End function
	.set _ZN7rocprim17ROCPRIM_400000_NS6detail17trampoline_kernelINS0_14default_configENS1_35radix_sort_onesweep_config_selectorIjN6thrust23THRUST_200600_302600_NS5tupleIffNS6_9null_typeES8_S8_S8_S8_S8_S8_S8_EEEEZZNS1_29radix_sort_onesweep_iterationIS3_Lb0ENS6_6detail15normal_iteratorINS6_10device_ptrIjEEEESG_NSD_INSE_IS9_EEEESI_jNS0_19identity_decomposerENS1_16block_id_wrapperIjLb0EEEEE10hipError_tT1_PNSt15iterator_traitsISN_E10value_typeET2_T3_PNSO_IST_E10value_typeET4_T5_PSY_SZ_PNS1_23onesweep_lookback_stateEbbT6_jjT7_P12ihipStream_tbENKUlT_T0_SN_SS_E_clIPjSG_PS9_SI_EEDaS16_S17_SN_SS_EUlS16_E_NS1_11comp_targetILNS1_3genE4ELNS1_11target_archE910ELNS1_3gpuE8ELNS1_3repE0EEENS1_47radix_sort_onesweep_sort_config_static_selectorELNS0_4arch9wavefront6targetE0EEEvSN_.num_vgpr, 0
	.set _ZN7rocprim17ROCPRIM_400000_NS6detail17trampoline_kernelINS0_14default_configENS1_35radix_sort_onesweep_config_selectorIjN6thrust23THRUST_200600_302600_NS5tupleIffNS6_9null_typeES8_S8_S8_S8_S8_S8_S8_EEEEZZNS1_29radix_sort_onesweep_iterationIS3_Lb0ENS6_6detail15normal_iteratorINS6_10device_ptrIjEEEESG_NSD_INSE_IS9_EEEESI_jNS0_19identity_decomposerENS1_16block_id_wrapperIjLb0EEEEE10hipError_tT1_PNSt15iterator_traitsISN_E10value_typeET2_T3_PNSO_IST_E10value_typeET4_T5_PSY_SZ_PNS1_23onesweep_lookback_stateEbbT6_jjT7_P12ihipStream_tbENKUlT_T0_SN_SS_E_clIPjSG_PS9_SI_EEDaS16_S17_SN_SS_EUlS16_E_NS1_11comp_targetILNS1_3genE4ELNS1_11target_archE910ELNS1_3gpuE8ELNS1_3repE0EEENS1_47radix_sort_onesweep_sort_config_static_selectorELNS0_4arch9wavefront6targetE0EEEvSN_.num_agpr, 0
	.set _ZN7rocprim17ROCPRIM_400000_NS6detail17trampoline_kernelINS0_14default_configENS1_35radix_sort_onesweep_config_selectorIjN6thrust23THRUST_200600_302600_NS5tupleIffNS6_9null_typeES8_S8_S8_S8_S8_S8_S8_EEEEZZNS1_29radix_sort_onesweep_iterationIS3_Lb0ENS6_6detail15normal_iteratorINS6_10device_ptrIjEEEESG_NSD_INSE_IS9_EEEESI_jNS0_19identity_decomposerENS1_16block_id_wrapperIjLb0EEEEE10hipError_tT1_PNSt15iterator_traitsISN_E10value_typeET2_T3_PNSO_IST_E10value_typeET4_T5_PSY_SZ_PNS1_23onesweep_lookback_stateEbbT6_jjT7_P12ihipStream_tbENKUlT_T0_SN_SS_E_clIPjSG_PS9_SI_EEDaS16_S17_SN_SS_EUlS16_E_NS1_11comp_targetILNS1_3genE4ELNS1_11target_archE910ELNS1_3gpuE8ELNS1_3repE0EEENS1_47radix_sort_onesweep_sort_config_static_selectorELNS0_4arch9wavefront6targetE0EEEvSN_.numbered_sgpr, 0
	.set _ZN7rocprim17ROCPRIM_400000_NS6detail17trampoline_kernelINS0_14default_configENS1_35radix_sort_onesweep_config_selectorIjN6thrust23THRUST_200600_302600_NS5tupleIffNS6_9null_typeES8_S8_S8_S8_S8_S8_S8_EEEEZZNS1_29radix_sort_onesweep_iterationIS3_Lb0ENS6_6detail15normal_iteratorINS6_10device_ptrIjEEEESG_NSD_INSE_IS9_EEEESI_jNS0_19identity_decomposerENS1_16block_id_wrapperIjLb0EEEEE10hipError_tT1_PNSt15iterator_traitsISN_E10value_typeET2_T3_PNSO_IST_E10value_typeET4_T5_PSY_SZ_PNS1_23onesweep_lookback_stateEbbT6_jjT7_P12ihipStream_tbENKUlT_T0_SN_SS_E_clIPjSG_PS9_SI_EEDaS16_S17_SN_SS_EUlS16_E_NS1_11comp_targetILNS1_3genE4ELNS1_11target_archE910ELNS1_3gpuE8ELNS1_3repE0EEENS1_47radix_sort_onesweep_sort_config_static_selectorELNS0_4arch9wavefront6targetE0EEEvSN_.num_named_barrier, 0
	.set _ZN7rocprim17ROCPRIM_400000_NS6detail17trampoline_kernelINS0_14default_configENS1_35radix_sort_onesweep_config_selectorIjN6thrust23THRUST_200600_302600_NS5tupleIffNS6_9null_typeES8_S8_S8_S8_S8_S8_S8_EEEEZZNS1_29radix_sort_onesweep_iterationIS3_Lb0ENS6_6detail15normal_iteratorINS6_10device_ptrIjEEEESG_NSD_INSE_IS9_EEEESI_jNS0_19identity_decomposerENS1_16block_id_wrapperIjLb0EEEEE10hipError_tT1_PNSt15iterator_traitsISN_E10value_typeET2_T3_PNSO_IST_E10value_typeET4_T5_PSY_SZ_PNS1_23onesweep_lookback_stateEbbT6_jjT7_P12ihipStream_tbENKUlT_T0_SN_SS_E_clIPjSG_PS9_SI_EEDaS16_S17_SN_SS_EUlS16_E_NS1_11comp_targetILNS1_3genE4ELNS1_11target_archE910ELNS1_3gpuE8ELNS1_3repE0EEENS1_47radix_sort_onesweep_sort_config_static_selectorELNS0_4arch9wavefront6targetE0EEEvSN_.private_seg_size, 0
	.set _ZN7rocprim17ROCPRIM_400000_NS6detail17trampoline_kernelINS0_14default_configENS1_35radix_sort_onesweep_config_selectorIjN6thrust23THRUST_200600_302600_NS5tupleIffNS6_9null_typeES8_S8_S8_S8_S8_S8_S8_EEEEZZNS1_29radix_sort_onesweep_iterationIS3_Lb0ENS6_6detail15normal_iteratorINS6_10device_ptrIjEEEESG_NSD_INSE_IS9_EEEESI_jNS0_19identity_decomposerENS1_16block_id_wrapperIjLb0EEEEE10hipError_tT1_PNSt15iterator_traitsISN_E10value_typeET2_T3_PNSO_IST_E10value_typeET4_T5_PSY_SZ_PNS1_23onesweep_lookback_stateEbbT6_jjT7_P12ihipStream_tbENKUlT_T0_SN_SS_E_clIPjSG_PS9_SI_EEDaS16_S17_SN_SS_EUlS16_E_NS1_11comp_targetILNS1_3genE4ELNS1_11target_archE910ELNS1_3gpuE8ELNS1_3repE0EEENS1_47radix_sort_onesweep_sort_config_static_selectorELNS0_4arch9wavefront6targetE0EEEvSN_.uses_vcc, 0
	.set _ZN7rocprim17ROCPRIM_400000_NS6detail17trampoline_kernelINS0_14default_configENS1_35radix_sort_onesweep_config_selectorIjN6thrust23THRUST_200600_302600_NS5tupleIffNS6_9null_typeES8_S8_S8_S8_S8_S8_S8_EEEEZZNS1_29radix_sort_onesweep_iterationIS3_Lb0ENS6_6detail15normal_iteratorINS6_10device_ptrIjEEEESG_NSD_INSE_IS9_EEEESI_jNS0_19identity_decomposerENS1_16block_id_wrapperIjLb0EEEEE10hipError_tT1_PNSt15iterator_traitsISN_E10value_typeET2_T3_PNSO_IST_E10value_typeET4_T5_PSY_SZ_PNS1_23onesweep_lookback_stateEbbT6_jjT7_P12ihipStream_tbENKUlT_T0_SN_SS_E_clIPjSG_PS9_SI_EEDaS16_S17_SN_SS_EUlS16_E_NS1_11comp_targetILNS1_3genE4ELNS1_11target_archE910ELNS1_3gpuE8ELNS1_3repE0EEENS1_47radix_sort_onesweep_sort_config_static_selectorELNS0_4arch9wavefront6targetE0EEEvSN_.uses_flat_scratch, 0
	.set _ZN7rocprim17ROCPRIM_400000_NS6detail17trampoline_kernelINS0_14default_configENS1_35radix_sort_onesweep_config_selectorIjN6thrust23THRUST_200600_302600_NS5tupleIffNS6_9null_typeES8_S8_S8_S8_S8_S8_S8_EEEEZZNS1_29radix_sort_onesweep_iterationIS3_Lb0ENS6_6detail15normal_iteratorINS6_10device_ptrIjEEEESG_NSD_INSE_IS9_EEEESI_jNS0_19identity_decomposerENS1_16block_id_wrapperIjLb0EEEEE10hipError_tT1_PNSt15iterator_traitsISN_E10value_typeET2_T3_PNSO_IST_E10value_typeET4_T5_PSY_SZ_PNS1_23onesweep_lookback_stateEbbT6_jjT7_P12ihipStream_tbENKUlT_T0_SN_SS_E_clIPjSG_PS9_SI_EEDaS16_S17_SN_SS_EUlS16_E_NS1_11comp_targetILNS1_3genE4ELNS1_11target_archE910ELNS1_3gpuE8ELNS1_3repE0EEENS1_47radix_sort_onesweep_sort_config_static_selectorELNS0_4arch9wavefront6targetE0EEEvSN_.has_dyn_sized_stack, 0
	.set _ZN7rocprim17ROCPRIM_400000_NS6detail17trampoline_kernelINS0_14default_configENS1_35radix_sort_onesweep_config_selectorIjN6thrust23THRUST_200600_302600_NS5tupleIffNS6_9null_typeES8_S8_S8_S8_S8_S8_S8_EEEEZZNS1_29radix_sort_onesweep_iterationIS3_Lb0ENS6_6detail15normal_iteratorINS6_10device_ptrIjEEEESG_NSD_INSE_IS9_EEEESI_jNS0_19identity_decomposerENS1_16block_id_wrapperIjLb0EEEEE10hipError_tT1_PNSt15iterator_traitsISN_E10value_typeET2_T3_PNSO_IST_E10value_typeET4_T5_PSY_SZ_PNS1_23onesweep_lookback_stateEbbT6_jjT7_P12ihipStream_tbENKUlT_T0_SN_SS_E_clIPjSG_PS9_SI_EEDaS16_S17_SN_SS_EUlS16_E_NS1_11comp_targetILNS1_3genE4ELNS1_11target_archE910ELNS1_3gpuE8ELNS1_3repE0EEENS1_47radix_sort_onesweep_sort_config_static_selectorELNS0_4arch9wavefront6targetE0EEEvSN_.has_recursion, 0
	.set _ZN7rocprim17ROCPRIM_400000_NS6detail17trampoline_kernelINS0_14default_configENS1_35radix_sort_onesweep_config_selectorIjN6thrust23THRUST_200600_302600_NS5tupleIffNS6_9null_typeES8_S8_S8_S8_S8_S8_S8_EEEEZZNS1_29radix_sort_onesweep_iterationIS3_Lb0ENS6_6detail15normal_iteratorINS6_10device_ptrIjEEEESG_NSD_INSE_IS9_EEEESI_jNS0_19identity_decomposerENS1_16block_id_wrapperIjLb0EEEEE10hipError_tT1_PNSt15iterator_traitsISN_E10value_typeET2_T3_PNSO_IST_E10value_typeET4_T5_PSY_SZ_PNS1_23onesweep_lookback_stateEbbT6_jjT7_P12ihipStream_tbENKUlT_T0_SN_SS_E_clIPjSG_PS9_SI_EEDaS16_S17_SN_SS_EUlS16_E_NS1_11comp_targetILNS1_3genE4ELNS1_11target_archE910ELNS1_3gpuE8ELNS1_3repE0EEENS1_47radix_sort_onesweep_sort_config_static_selectorELNS0_4arch9wavefront6targetE0EEEvSN_.has_indirect_call, 0
	.section	.AMDGPU.csdata,"",@progbits
; Kernel info:
; codeLenInByte = 0
; TotalNumSgprs: 0
; NumVgprs: 0
; ScratchSize: 0
; MemoryBound: 0
; FloatMode: 240
; IeeeMode: 1
; LDSByteSize: 0 bytes/workgroup (compile time only)
; SGPRBlocks: 0
; VGPRBlocks: 0
; NumSGPRsForWavesPerEU: 1
; NumVGPRsForWavesPerEU: 1
; Occupancy: 16
; WaveLimiterHint : 0
; COMPUTE_PGM_RSRC2:SCRATCH_EN: 0
; COMPUTE_PGM_RSRC2:USER_SGPR: 6
; COMPUTE_PGM_RSRC2:TRAP_HANDLER: 0
; COMPUTE_PGM_RSRC2:TGID_X_EN: 1
; COMPUTE_PGM_RSRC2:TGID_Y_EN: 0
; COMPUTE_PGM_RSRC2:TGID_Z_EN: 0
; COMPUTE_PGM_RSRC2:TIDIG_COMP_CNT: 0
	.section	.text._ZN7rocprim17ROCPRIM_400000_NS6detail17trampoline_kernelINS0_14default_configENS1_35radix_sort_onesweep_config_selectorIjN6thrust23THRUST_200600_302600_NS5tupleIffNS6_9null_typeES8_S8_S8_S8_S8_S8_S8_EEEEZZNS1_29radix_sort_onesweep_iterationIS3_Lb0ENS6_6detail15normal_iteratorINS6_10device_ptrIjEEEESG_NSD_INSE_IS9_EEEESI_jNS0_19identity_decomposerENS1_16block_id_wrapperIjLb0EEEEE10hipError_tT1_PNSt15iterator_traitsISN_E10value_typeET2_T3_PNSO_IST_E10value_typeET4_T5_PSY_SZ_PNS1_23onesweep_lookback_stateEbbT6_jjT7_P12ihipStream_tbENKUlT_T0_SN_SS_E_clIPjSG_PS9_SI_EEDaS16_S17_SN_SS_EUlS16_E_NS1_11comp_targetILNS1_3genE3ELNS1_11target_archE908ELNS1_3gpuE7ELNS1_3repE0EEENS1_47radix_sort_onesweep_sort_config_static_selectorELNS0_4arch9wavefront6targetE0EEEvSN_,"axG",@progbits,_ZN7rocprim17ROCPRIM_400000_NS6detail17trampoline_kernelINS0_14default_configENS1_35radix_sort_onesweep_config_selectorIjN6thrust23THRUST_200600_302600_NS5tupleIffNS6_9null_typeES8_S8_S8_S8_S8_S8_S8_EEEEZZNS1_29radix_sort_onesweep_iterationIS3_Lb0ENS6_6detail15normal_iteratorINS6_10device_ptrIjEEEESG_NSD_INSE_IS9_EEEESI_jNS0_19identity_decomposerENS1_16block_id_wrapperIjLb0EEEEE10hipError_tT1_PNSt15iterator_traitsISN_E10value_typeET2_T3_PNSO_IST_E10value_typeET4_T5_PSY_SZ_PNS1_23onesweep_lookback_stateEbbT6_jjT7_P12ihipStream_tbENKUlT_T0_SN_SS_E_clIPjSG_PS9_SI_EEDaS16_S17_SN_SS_EUlS16_E_NS1_11comp_targetILNS1_3genE3ELNS1_11target_archE908ELNS1_3gpuE7ELNS1_3repE0EEENS1_47radix_sort_onesweep_sort_config_static_selectorELNS0_4arch9wavefront6targetE0EEEvSN_,comdat
	.protected	_ZN7rocprim17ROCPRIM_400000_NS6detail17trampoline_kernelINS0_14default_configENS1_35radix_sort_onesweep_config_selectorIjN6thrust23THRUST_200600_302600_NS5tupleIffNS6_9null_typeES8_S8_S8_S8_S8_S8_S8_EEEEZZNS1_29radix_sort_onesweep_iterationIS3_Lb0ENS6_6detail15normal_iteratorINS6_10device_ptrIjEEEESG_NSD_INSE_IS9_EEEESI_jNS0_19identity_decomposerENS1_16block_id_wrapperIjLb0EEEEE10hipError_tT1_PNSt15iterator_traitsISN_E10value_typeET2_T3_PNSO_IST_E10value_typeET4_T5_PSY_SZ_PNS1_23onesweep_lookback_stateEbbT6_jjT7_P12ihipStream_tbENKUlT_T0_SN_SS_E_clIPjSG_PS9_SI_EEDaS16_S17_SN_SS_EUlS16_E_NS1_11comp_targetILNS1_3genE3ELNS1_11target_archE908ELNS1_3gpuE7ELNS1_3repE0EEENS1_47radix_sort_onesweep_sort_config_static_selectorELNS0_4arch9wavefront6targetE0EEEvSN_ ; -- Begin function _ZN7rocprim17ROCPRIM_400000_NS6detail17trampoline_kernelINS0_14default_configENS1_35radix_sort_onesweep_config_selectorIjN6thrust23THRUST_200600_302600_NS5tupleIffNS6_9null_typeES8_S8_S8_S8_S8_S8_S8_EEEEZZNS1_29radix_sort_onesweep_iterationIS3_Lb0ENS6_6detail15normal_iteratorINS6_10device_ptrIjEEEESG_NSD_INSE_IS9_EEEESI_jNS0_19identity_decomposerENS1_16block_id_wrapperIjLb0EEEEE10hipError_tT1_PNSt15iterator_traitsISN_E10value_typeET2_T3_PNSO_IST_E10value_typeET4_T5_PSY_SZ_PNS1_23onesweep_lookback_stateEbbT6_jjT7_P12ihipStream_tbENKUlT_T0_SN_SS_E_clIPjSG_PS9_SI_EEDaS16_S17_SN_SS_EUlS16_E_NS1_11comp_targetILNS1_3genE3ELNS1_11target_archE908ELNS1_3gpuE7ELNS1_3repE0EEENS1_47radix_sort_onesweep_sort_config_static_selectorELNS0_4arch9wavefront6targetE0EEEvSN_
	.globl	_ZN7rocprim17ROCPRIM_400000_NS6detail17trampoline_kernelINS0_14default_configENS1_35radix_sort_onesweep_config_selectorIjN6thrust23THRUST_200600_302600_NS5tupleIffNS6_9null_typeES8_S8_S8_S8_S8_S8_S8_EEEEZZNS1_29radix_sort_onesweep_iterationIS3_Lb0ENS6_6detail15normal_iteratorINS6_10device_ptrIjEEEESG_NSD_INSE_IS9_EEEESI_jNS0_19identity_decomposerENS1_16block_id_wrapperIjLb0EEEEE10hipError_tT1_PNSt15iterator_traitsISN_E10value_typeET2_T3_PNSO_IST_E10value_typeET4_T5_PSY_SZ_PNS1_23onesweep_lookback_stateEbbT6_jjT7_P12ihipStream_tbENKUlT_T0_SN_SS_E_clIPjSG_PS9_SI_EEDaS16_S17_SN_SS_EUlS16_E_NS1_11comp_targetILNS1_3genE3ELNS1_11target_archE908ELNS1_3gpuE7ELNS1_3repE0EEENS1_47radix_sort_onesweep_sort_config_static_selectorELNS0_4arch9wavefront6targetE0EEEvSN_
	.p2align	8
	.type	_ZN7rocprim17ROCPRIM_400000_NS6detail17trampoline_kernelINS0_14default_configENS1_35radix_sort_onesweep_config_selectorIjN6thrust23THRUST_200600_302600_NS5tupleIffNS6_9null_typeES8_S8_S8_S8_S8_S8_S8_EEEEZZNS1_29radix_sort_onesweep_iterationIS3_Lb0ENS6_6detail15normal_iteratorINS6_10device_ptrIjEEEESG_NSD_INSE_IS9_EEEESI_jNS0_19identity_decomposerENS1_16block_id_wrapperIjLb0EEEEE10hipError_tT1_PNSt15iterator_traitsISN_E10value_typeET2_T3_PNSO_IST_E10value_typeET4_T5_PSY_SZ_PNS1_23onesweep_lookback_stateEbbT6_jjT7_P12ihipStream_tbENKUlT_T0_SN_SS_E_clIPjSG_PS9_SI_EEDaS16_S17_SN_SS_EUlS16_E_NS1_11comp_targetILNS1_3genE3ELNS1_11target_archE908ELNS1_3gpuE7ELNS1_3repE0EEENS1_47radix_sort_onesweep_sort_config_static_selectorELNS0_4arch9wavefront6targetE0EEEvSN_,@function
_ZN7rocprim17ROCPRIM_400000_NS6detail17trampoline_kernelINS0_14default_configENS1_35radix_sort_onesweep_config_selectorIjN6thrust23THRUST_200600_302600_NS5tupleIffNS6_9null_typeES8_S8_S8_S8_S8_S8_S8_EEEEZZNS1_29radix_sort_onesweep_iterationIS3_Lb0ENS6_6detail15normal_iteratorINS6_10device_ptrIjEEEESG_NSD_INSE_IS9_EEEESI_jNS0_19identity_decomposerENS1_16block_id_wrapperIjLb0EEEEE10hipError_tT1_PNSt15iterator_traitsISN_E10value_typeET2_T3_PNSO_IST_E10value_typeET4_T5_PSY_SZ_PNS1_23onesweep_lookback_stateEbbT6_jjT7_P12ihipStream_tbENKUlT_T0_SN_SS_E_clIPjSG_PS9_SI_EEDaS16_S17_SN_SS_EUlS16_E_NS1_11comp_targetILNS1_3genE3ELNS1_11target_archE908ELNS1_3gpuE7ELNS1_3repE0EEENS1_47radix_sort_onesweep_sort_config_static_selectorELNS0_4arch9wavefront6targetE0EEEvSN_: ; @_ZN7rocprim17ROCPRIM_400000_NS6detail17trampoline_kernelINS0_14default_configENS1_35radix_sort_onesweep_config_selectorIjN6thrust23THRUST_200600_302600_NS5tupleIffNS6_9null_typeES8_S8_S8_S8_S8_S8_S8_EEEEZZNS1_29radix_sort_onesweep_iterationIS3_Lb0ENS6_6detail15normal_iteratorINS6_10device_ptrIjEEEESG_NSD_INSE_IS9_EEEESI_jNS0_19identity_decomposerENS1_16block_id_wrapperIjLb0EEEEE10hipError_tT1_PNSt15iterator_traitsISN_E10value_typeET2_T3_PNSO_IST_E10value_typeET4_T5_PSY_SZ_PNS1_23onesweep_lookback_stateEbbT6_jjT7_P12ihipStream_tbENKUlT_T0_SN_SS_E_clIPjSG_PS9_SI_EEDaS16_S17_SN_SS_EUlS16_E_NS1_11comp_targetILNS1_3genE3ELNS1_11target_archE908ELNS1_3gpuE7ELNS1_3repE0EEENS1_47radix_sort_onesweep_sort_config_static_selectorELNS0_4arch9wavefront6targetE0EEEvSN_
; %bb.0:
	.section	.rodata,"a",@progbits
	.p2align	6, 0x0
	.amdhsa_kernel _ZN7rocprim17ROCPRIM_400000_NS6detail17trampoline_kernelINS0_14default_configENS1_35radix_sort_onesweep_config_selectorIjN6thrust23THRUST_200600_302600_NS5tupleIffNS6_9null_typeES8_S8_S8_S8_S8_S8_S8_EEEEZZNS1_29radix_sort_onesweep_iterationIS3_Lb0ENS6_6detail15normal_iteratorINS6_10device_ptrIjEEEESG_NSD_INSE_IS9_EEEESI_jNS0_19identity_decomposerENS1_16block_id_wrapperIjLb0EEEEE10hipError_tT1_PNSt15iterator_traitsISN_E10value_typeET2_T3_PNSO_IST_E10value_typeET4_T5_PSY_SZ_PNS1_23onesweep_lookback_stateEbbT6_jjT7_P12ihipStream_tbENKUlT_T0_SN_SS_E_clIPjSG_PS9_SI_EEDaS16_S17_SN_SS_EUlS16_E_NS1_11comp_targetILNS1_3genE3ELNS1_11target_archE908ELNS1_3gpuE7ELNS1_3repE0EEENS1_47radix_sort_onesweep_sort_config_static_selectorELNS0_4arch9wavefront6targetE0EEEvSN_
		.amdhsa_group_segment_fixed_size 0
		.amdhsa_private_segment_fixed_size 0
		.amdhsa_kernarg_size 88
		.amdhsa_user_sgpr_count 6
		.amdhsa_user_sgpr_private_segment_buffer 1
		.amdhsa_user_sgpr_dispatch_ptr 0
		.amdhsa_user_sgpr_queue_ptr 0
		.amdhsa_user_sgpr_kernarg_segment_ptr 1
		.amdhsa_user_sgpr_dispatch_id 0
		.amdhsa_user_sgpr_flat_scratch_init 0
		.amdhsa_user_sgpr_private_segment_size 0
		.amdhsa_wavefront_size32 1
		.amdhsa_uses_dynamic_stack 0
		.amdhsa_system_sgpr_private_segment_wavefront_offset 0
		.amdhsa_system_sgpr_workgroup_id_x 1
		.amdhsa_system_sgpr_workgroup_id_y 0
		.amdhsa_system_sgpr_workgroup_id_z 0
		.amdhsa_system_sgpr_workgroup_info 0
		.amdhsa_system_vgpr_workitem_id 0
		.amdhsa_next_free_vgpr 1
		.amdhsa_next_free_sgpr 1
		.amdhsa_reserve_vcc 0
		.amdhsa_reserve_flat_scratch 0
		.amdhsa_float_round_mode_32 0
		.amdhsa_float_round_mode_16_64 0
		.amdhsa_float_denorm_mode_32 3
		.amdhsa_float_denorm_mode_16_64 3
		.amdhsa_dx10_clamp 1
		.amdhsa_ieee_mode 1
		.amdhsa_fp16_overflow 0
		.amdhsa_workgroup_processor_mode 1
		.amdhsa_memory_ordered 1
		.amdhsa_forward_progress 1
		.amdhsa_shared_vgpr_count 0
		.amdhsa_exception_fp_ieee_invalid_op 0
		.amdhsa_exception_fp_denorm_src 0
		.amdhsa_exception_fp_ieee_div_zero 0
		.amdhsa_exception_fp_ieee_overflow 0
		.amdhsa_exception_fp_ieee_underflow 0
		.amdhsa_exception_fp_ieee_inexact 0
		.amdhsa_exception_int_div_zero 0
	.end_amdhsa_kernel
	.section	.text._ZN7rocprim17ROCPRIM_400000_NS6detail17trampoline_kernelINS0_14default_configENS1_35radix_sort_onesweep_config_selectorIjN6thrust23THRUST_200600_302600_NS5tupleIffNS6_9null_typeES8_S8_S8_S8_S8_S8_S8_EEEEZZNS1_29radix_sort_onesweep_iterationIS3_Lb0ENS6_6detail15normal_iteratorINS6_10device_ptrIjEEEESG_NSD_INSE_IS9_EEEESI_jNS0_19identity_decomposerENS1_16block_id_wrapperIjLb0EEEEE10hipError_tT1_PNSt15iterator_traitsISN_E10value_typeET2_T3_PNSO_IST_E10value_typeET4_T5_PSY_SZ_PNS1_23onesweep_lookback_stateEbbT6_jjT7_P12ihipStream_tbENKUlT_T0_SN_SS_E_clIPjSG_PS9_SI_EEDaS16_S17_SN_SS_EUlS16_E_NS1_11comp_targetILNS1_3genE3ELNS1_11target_archE908ELNS1_3gpuE7ELNS1_3repE0EEENS1_47radix_sort_onesweep_sort_config_static_selectorELNS0_4arch9wavefront6targetE0EEEvSN_,"axG",@progbits,_ZN7rocprim17ROCPRIM_400000_NS6detail17trampoline_kernelINS0_14default_configENS1_35radix_sort_onesweep_config_selectorIjN6thrust23THRUST_200600_302600_NS5tupleIffNS6_9null_typeES8_S8_S8_S8_S8_S8_S8_EEEEZZNS1_29radix_sort_onesweep_iterationIS3_Lb0ENS6_6detail15normal_iteratorINS6_10device_ptrIjEEEESG_NSD_INSE_IS9_EEEESI_jNS0_19identity_decomposerENS1_16block_id_wrapperIjLb0EEEEE10hipError_tT1_PNSt15iterator_traitsISN_E10value_typeET2_T3_PNSO_IST_E10value_typeET4_T5_PSY_SZ_PNS1_23onesweep_lookback_stateEbbT6_jjT7_P12ihipStream_tbENKUlT_T0_SN_SS_E_clIPjSG_PS9_SI_EEDaS16_S17_SN_SS_EUlS16_E_NS1_11comp_targetILNS1_3genE3ELNS1_11target_archE908ELNS1_3gpuE7ELNS1_3repE0EEENS1_47radix_sort_onesweep_sort_config_static_selectorELNS0_4arch9wavefront6targetE0EEEvSN_,comdat
.Lfunc_end225:
	.size	_ZN7rocprim17ROCPRIM_400000_NS6detail17trampoline_kernelINS0_14default_configENS1_35radix_sort_onesweep_config_selectorIjN6thrust23THRUST_200600_302600_NS5tupleIffNS6_9null_typeES8_S8_S8_S8_S8_S8_S8_EEEEZZNS1_29radix_sort_onesweep_iterationIS3_Lb0ENS6_6detail15normal_iteratorINS6_10device_ptrIjEEEESG_NSD_INSE_IS9_EEEESI_jNS0_19identity_decomposerENS1_16block_id_wrapperIjLb0EEEEE10hipError_tT1_PNSt15iterator_traitsISN_E10value_typeET2_T3_PNSO_IST_E10value_typeET4_T5_PSY_SZ_PNS1_23onesweep_lookback_stateEbbT6_jjT7_P12ihipStream_tbENKUlT_T0_SN_SS_E_clIPjSG_PS9_SI_EEDaS16_S17_SN_SS_EUlS16_E_NS1_11comp_targetILNS1_3genE3ELNS1_11target_archE908ELNS1_3gpuE7ELNS1_3repE0EEENS1_47radix_sort_onesweep_sort_config_static_selectorELNS0_4arch9wavefront6targetE0EEEvSN_, .Lfunc_end225-_ZN7rocprim17ROCPRIM_400000_NS6detail17trampoline_kernelINS0_14default_configENS1_35radix_sort_onesweep_config_selectorIjN6thrust23THRUST_200600_302600_NS5tupleIffNS6_9null_typeES8_S8_S8_S8_S8_S8_S8_EEEEZZNS1_29radix_sort_onesweep_iterationIS3_Lb0ENS6_6detail15normal_iteratorINS6_10device_ptrIjEEEESG_NSD_INSE_IS9_EEEESI_jNS0_19identity_decomposerENS1_16block_id_wrapperIjLb0EEEEE10hipError_tT1_PNSt15iterator_traitsISN_E10value_typeET2_T3_PNSO_IST_E10value_typeET4_T5_PSY_SZ_PNS1_23onesweep_lookback_stateEbbT6_jjT7_P12ihipStream_tbENKUlT_T0_SN_SS_E_clIPjSG_PS9_SI_EEDaS16_S17_SN_SS_EUlS16_E_NS1_11comp_targetILNS1_3genE3ELNS1_11target_archE908ELNS1_3gpuE7ELNS1_3repE0EEENS1_47radix_sort_onesweep_sort_config_static_selectorELNS0_4arch9wavefront6targetE0EEEvSN_
                                        ; -- End function
	.set _ZN7rocprim17ROCPRIM_400000_NS6detail17trampoline_kernelINS0_14default_configENS1_35radix_sort_onesweep_config_selectorIjN6thrust23THRUST_200600_302600_NS5tupleIffNS6_9null_typeES8_S8_S8_S8_S8_S8_S8_EEEEZZNS1_29radix_sort_onesweep_iterationIS3_Lb0ENS6_6detail15normal_iteratorINS6_10device_ptrIjEEEESG_NSD_INSE_IS9_EEEESI_jNS0_19identity_decomposerENS1_16block_id_wrapperIjLb0EEEEE10hipError_tT1_PNSt15iterator_traitsISN_E10value_typeET2_T3_PNSO_IST_E10value_typeET4_T5_PSY_SZ_PNS1_23onesweep_lookback_stateEbbT6_jjT7_P12ihipStream_tbENKUlT_T0_SN_SS_E_clIPjSG_PS9_SI_EEDaS16_S17_SN_SS_EUlS16_E_NS1_11comp_targetILNS1_3genE3ELNS1_11target_archE908ELNS1_3gpuE7ELNS1_3repE0EEENS1_47radix_sort_onesweep_sort_config_static_selectorELNS0_4arch9wavefront6targetE0EEEvSN_.num_vgpr, 0
	.set _ZN7rocprim17ROCPRIM_400000_NS6detail17trampoline_kernelINS0_14default_configENS1_35radix_sort_onesweep_config_selectorIjN6thrust23THRUST_200600_302600_NS5tupleIffNS6_9null_typeES8_S8_S8_S8_S8_S8_S8_EEEEZZNS1_29radix_sort_onesweep_iterationIS3_Lb0ENS6_6detail15normal_iteratorINS6_10device_ptrIjEEEESG_NSD_INSE_IS9_EEEESI_jNS0_19identity_decomposerENS1_16block_id_wrapperIjLb0EEEEE10hipError_tT1_PNSt15iterator_traitsISN_E10value_typeET2_T3_PNSO_IST_E10value_typeET4_T5_PSY_SZ_PNS1_23onesweep_lookback_stateEbbT6_jjT7_P12ihipStream_tbENKUlT_T0_SN_SS_E_clIPjSG_PS9_SI_EEDaS16_S17_SN_SS_EUlS16_E_NS1_11comp_targetILNS1_3genE3ELNS1_11target_archE908ELNS1_3gpuE7ELNS1_3repE0EEENS1_47radix_sort_onesweep_sort_config_static_selectorELNS0_4arch9wavefront6targetE0EEEvSN_.num_agpr, 0
	.set _ZN7rocprim17ROCPRIM_400000_NS6detail17trampoline_kernelINS0_14default_configENS1_35radix_sort_onesweep_config_selectorIjN6thrust23THRUST_200600_302600_NS5tupleIffNS6_9null_typeES8_S8_S8_S8_S8_S8_S8_EEEEZZNS1_29radix_sort_onesweep_iterationIS3_Lb0ENS6_6detail15normal_iteratorINS6_10device_ptrIjEEEESG_NSD_INSE_IS9_EEEESI_jNS0_19identity_decomposerENS1_16block_id_wrapperIjLb0EEEEE10hipError_tT1_PNSt15iterator_traitsISN_E10value_typeET2_T3_PNSO_IST_E10value_typeET4_T5_PSY_SZ_PNS1_23onesweep_lookback_stateEbbT6_jjT7_P12ihipStream_tbENKUlT_T0_SN_SS_E_clIPjSG_PS9_SI_EEDaS16_S17_SN_SS_EUlS16_E_NS1_11comp_targetILNS1_3genE3ELNS1_11target_archE908ELNS1_3gpuE7ELNS1_3repE0EEENS1_47radix_sort_onesweep_sort_config_static_selectorELNS0_4arch9wavefront6targetE0EEEvSN_.numbered_sgpr, 0
	.set _ZN7rocprim17ROCPRIM_400000_NS6detail17trampoline_kernelINS0_14default_configENS1_35radix_sort_onesweep_config_selectorIjN6thrust23THRUST_200600_302600_NS5tupleIffNS6_9null_typeES8_S8_S8_S8_S8_S8_S8_EEEEZZNS1_29radix_sort_onesweep_iterationIS3_Lb0ENS6_6detail15normal_iteratorINS6_10device_ptrIjEEEESG_NSD_INSE_IS9_EEEESI_jNS0_19identity_decomposerENS1_16block_id_wrapperIjLb0EEEEE10hipError_tT1_PNSt15iterator_traitsISN_E10value_typeET2_T3_PNSO_IST_E10value_typeET4_T5_PSY_SZ_PNS1_23onesweep_lookback_stateEbbT6_jjT7_P12ihipStream_tbENKUlT_T0_SN_SS_E_clIPjSG_PS9_SI_EEDaS16_S17_SN_SS_EUlS16_E_NS1_11comp_targetILNS1_3genE3ELNS1_11target_archE908ELNS1_3gpuE7ELNS1_3repE0EEENS1_47radix_sort_onesweep_sort_config_static_selectorELNS0_4arch9wavefront6targetE0EEEvSN_.num_named_barrier, 0
	.set _ZN7rocprim17ROCPRIM_400000_NS6detail17trampoline_kernelINS0_14default_configENS1_35radix_sort_onesweep_config_selectorIjN6thrust23THRUST_200600_302600_NS5tupleIffNS6_9null_typeES8_S8_S8_S8_S8_S8_S8_EEEEZZNS1_29radix_sort_onesweep_iterationIS3_Lb0ENS6_6detail15normal_iteratorINS6_10device_ptrIjEEEESG_NSD_INSE_IS9_EEEESI_jNS0_19identity_decomposerENS1_16block_id_wrapperIjLb0EEEEE10hipError_tT1_PNSt15iterator_traitsISN_E10value_typeET2_T3_PNSO_IST_E10value_typeET4_T5_PSY_SZ_PNS1_23onesweep_lookback_stateEbbT6_jjT7_P12ihipStream_tbENKUlT_T0_SN_SS_E_clIPjSG_PS9_SI_EEDaS16_S17_SN_SS_EUlS16_E_NS1_11comp_targetILNS1_3genE3ELNS1_11target_archE908ELNS1_3gpuE7ELNS1_3repE0EEENS1_47radix_sort_onesweep_sort_config_static_selectorELNS0_4arch9wavefront6targetE0EEEvSN_.private_seg_size, 0
	.set _ZN7rocprim17ROCPRIM_400000_NS6detail17trampoline_kernelINS0_14default_configENS1_35radix_sort_onesweep_config_selectorIjN6thrust23THRUST_200600_302600_NS5tupleIffNS6_9null_typeES8_S8_S8_S8_S8_S8_S8_EEEEZZNS1_29radix_sort_onesweep_iterationIS3_Lb0ENS6_6detail15normal_iteratorINS6_10device_ptrIjEEEESG_NSD_INSE_IS9_EEEESI_jNS0_19identity_decomposerENS1_16block_id_wrapperIjLb0EEEEE10hipError_tT1_PNSt15iterator_traitsISN_E10value_typeET2_T3_PNSO_IST_E10value_typeET4_T5_PSY_SZ_PNS1_23onesweep_lookback_stateEbbT6_jjT7_P12ihipStream_tbENKUlT_T0_SN_SS_E_clIPjSG_PS9_SI_EEDaS16_S17_SN_SS_EUlS16_E_NS1_11comp_targetILNS1_3genE3ELNS1_11target_archE908ELNS1_3gpuE7ELNS1_3repE0EEENS1_47radix_sort_onesweep_sort_config_static_selectorELNS0_4arch9wavefront6targetE0EEEvSN_.uses_vcc, 0
	.set _ZN7rocprim17ROCPRIM_400000_NS6detail17trampoline_kernelINS0_14default_configENS1_35radix_sort_onesweep_config_selectorIjN6thrust23THRUST_200600_302600_NS5tupleIffNS6_9null_typeES8_S8_S8_S8_S8_S8_S8_EEEEZZNS1_29radix_sort_onesweep_iterationIS3_Lb0ENS6_6detail15normal_iteratorINS6_10device_ptrIjEEEESG_NSD_INSE_IS9_EEEESI_jNS0_19identity_decomposerENS1_16block_id_wrapperIjLb0EEEEE10hipError_tT1_PNSt15iterator_traitsISN_E10value_typeET2_T3_PNSO_IST_E10value_typeET4_T5_PSY_SZ_PNS1_23onesweep_lookback_stateEbbT6_jjT7_P12ihipStream_tbENKUlT_T0_SN_SS_E_clIPjSG_PS9_SI_EEDaS16_S17_SN_SS_EUlS16_E_NS1_11comp_targetILNS1_3genE3ELNS1_11target_archE908ELNS1_3gpuE7ELNS1_3repE0EEENS1_47radix_sort_onesweep_sort_config_static_selectorELNS0_4arch9wavefront6targetE0EEEvSN_.uses_flat_scratch, 0
	.set _ZN7rocprim17ROCPRIM_400000_NS6detail17trampoline_kernelINS0_14default_configENS1_35radix_sort_onesweep_config_selectorIjN6thrust23THRUST_200600_302600_NS5tupleIffNS6_9null_typeES8_S8_S8_S8_S8_S8_S8_EEEEZZNS1_29radix_sort_onesweep_iterationIS3_Lb0ENS6_6detail15normal_iteratorINS6_10device_ptrIjEEEESG_NSD_INSE_IS9_EEEESI_jNS0_19identity_decomposerENS1_16block_id_wrapperIjLb0EEEEE10hipError_tT1_PNSt15iterator_traitsISN_E10value_typeET2_T3_PNSO_IST_E10value_typeET4_T5_PSY_SZ_PNS1_23onesweep_lookback_stateEbbT6_jjT7_P12ihipStream_tbENKUlT_T0_SN_SS_E_clIPjSG_PS9_SI_EEDaS16_S17_SN_SS_EUlS16_E_NS1_11comp_targetILNS1_3genE3ELNS1_11target_archE908ELNS1_3gpuE7ELNS1_3repE0EEENS1_47radix_sort_onesweep_sort_config_static_selectorELNS0_4arch9wavefront6targetE0EEEvSN_.has_dyn_sized_stack, 0
	.set _ZN7rocprim17ROCPRIM_400000_NS6detail17trampoline_kernelINS0_14default_configENS1_35radix_sort_onesweep_config_selectorIjN6thrust23THRUST_200600_302600_NS5tupleIffNS6_9null_typeES8_S8_S8_S8_S8_S8_S8_EEEEZZNS1_29radix_sort_onesweep_iterationIS3_Lb0ENS6_6detail15normal_iteratorINS6_10device_ptrIjEEEESG_NSD_INSE_IS9_EEEESI_jNS0_19identity_decomposerENS1_16block_id_wrapperIjLb0EEEEE10hipError_tT1_PNSt15iterator_traitsISN_E10value_typeET2_T3_PNSO_IST_E10value_typeET4_T5_PSY_SZ_PNS1_23onesweep_lookback_stateEbbT6_jjT7_P12ihipStream_tbENKUlT_T0_SN_SS_E_clIPjSG_PS9_SI_EEDaS16_S17_SN_SS_EUlS16_E_NS1_11comp_targetILNS1_3genE3ELNS1_11target_archE908ELNS1_3gpuE7ELNS1_3repE0EEENS1_47radix_sort_onesweep_sort_config_static_selectorELNS0_4arch9wavefront6targetE0EEEvSN_.has_recursion, 0
	.set _ZN7rocprim17ROCPRIM_400000_NS6detail17trampoline_kernelINS0_14default_configENS1_35radix_sort_onesweep_config_selectorIjN6thrust23THRUST_200600_302600_NS5tupleIffNS6_9null_typeES8_S8_S8_S8_S8_S8_S8_EEEEZZNS1_29radix_sort_onesweep_iterationIS3_Lb0ENS6_6detail15normal_iteratorINS6_10device_ptrIjEEEESG_NSD_INSE_IS9_EEEESI_jNS0_19identity_decomposerENS1_16block_id_wrapperIjLb0EEEEE10hipError_tT1_PNSt15iterator_traitsISN_E10value_typeET2_T3_PNSO_IST_E10value_typeET4_T5_PSY_SZ_PNS1_23onesweep_lookback_stateEbbT6_jjT7_P12ihipStream_tbENKUlT_T0_SN_SS_E_clIPjSG_PS9_SI_EEDaS16_S17_SN_SS_EUlS16_E_NS1_11comp_targetILNS1_3genE3ELNS1_11target_archE908ELNS1_3gpuE7ELNS1_3repE0EEENS1_47radix_sort_onesweep_sort_config_static_selectorELNS0_4arch9wavefront6targetE0EEEvSN_.has_indirect_call, 0
	.section	.AMDGPU.csdata,"",@progbits
; Kernel info:
; codeLenInByte = 0
; TotalNumSgprs: 0
; NumVgprs: 0
; ScratchSize: 0
; MemoryBound: 0
; FloatMode: 240
; IeeeMode: 1
; LDSByteSize: 0 bytes/workgroup (compile time only)
; SGPRBlocks: 0
; VGPRBlocks: 0
; NumSGPRsForWavesPerEU: 1
; NumVGPRsForWavesPerEU: 1
; Occupancy: 16
; WaveLimiterHint : 0
; COMPUTE_PGM_RSRC2:SCRATCH_EN: 0
; COMPUTE_PGM_RSRC2:USER_SGPR: 6
; COMPUTE_PGM_RSRC2:TRAP_HANDLER: 0
; COMPUTE_PGM_RSRC2:TGID_X_EN: 1
; COMPUTE_PGM_RSRC2:TGID_Y_EN: 0
; COMPUTE_PGM_RSRC2:TGID_Z_EN: 0
; COMPUTE_PGM_RSRC2:TIDIG_COMP_CNT: 0
	.section	.text._ZN7rocprim17ROCPRIM_400000_NS6detail17trampoline_kernelINS0_14default_configENS1_35radix_sort_onesweep_config_selectorIjN6thrust23THRUST_200600_302600_NS5tupleIffNS6_9null_typeES8_S8_S8_S8_S8_S8_S8_EEEEZZNS1_29radix_sort_onesweep_iterationIS3_Lb0ENS6_6detail15normal_iteratorINS6_10device_ptrIjEEEESG_NSD_INSE_IS9_EEEESI_jNS0_19identity_decomposerENS1_16block_id_wrapperIjLb0EEEEE10hipError_tT1_PNSt15iterator_traitsISN_E10value_typeET2_T3_PNSO_IST_E10value_typeET4_T5_PSY_SZ_PNS1_23onesweep_lookback_stateEbbT6_jjT7_P12ihipStream_tbENKUlT_T0_SN_SS_E_clIPjSG_PS9_SI_EEDaS16_S17_SN_SS_EUlS16_E_NS1_11comp_targetILNS1_3genE10ELNS1_11target_archE1201ELNS1_3gpuE5ELNS1_3repE0EEENS1_47radix_sort_onesweep_sort_config_static_selectorELNS0_4arch9wavefront6targetE0EEEvSN_,"axG",@progbits,_ZN7rocprim17ROCPRIM_400000_NS6detail17trampoline_kernelINS0_14default_configENS1_35radix_sort_onesweep_config_selectorIjN6thrust23THRUST_200600_302600_NS5tupleIffNS6_9null_typeES8_S8_S8_S8_S8_S8_S8_EEEEZZNS1_29radix_sort_onesweep_iterationIS3_Lb0ENS6_6detail15normal_iteratorINS6_10device_ptrIjEEEESG_NSD_INSE_IS9_EEEESI_jNS0_19identity_decomposerENS1_16block_id_wrapperIjLb0EEEEE10hipError_tT1_PNSt15iterator_traitsISN_E10value_typeET2_T3_PNSO_IST_E10value_typeET4_T5_PSY_SZ_PNS1_23onesweep_lookback_stateEbbT6_jjT7_P12ihipStream_tbENKUlT_T0_SN_SS_E_clIPjSG_PS9_SI_EEDaS16_S17_SN_SS_EUlS16_E_NS1_11comp_targetILNS1_3genE10ELNS1_11target_archE1201ELNS1_3gpuE5ELNS1_3repE0EEENS1_47radix_sort_onesweep_sort_config_static_selectorELNS0_4arch9wavefront6targetE0EEEvSN_,comdat
	.protected	_ZN7rocprim17ROCPRIM_400000_NS6detail17trampoline_kernelINS0_14default_configENS1_35radix_sort_onesweep_config_selectorIjN6thrust23THRUST_200600_302600_NS5tupleIffNS6_9null_typeES8_S8_S8_S8_S8_S8_S8_EEEEZZNS1_29radix_sort_onesweep_iterationIS3_Lb0ENS6_6detail15normal_iteratorINS6_10device_ptrIjEEEESG_NSD_INSE_IS9_EEEESI_jNS0_19identity_decomposerENS1_16block_id_wrapperIjLb0EEEEE10hipError_tT1_PNSt15iterator_traitsISN_E10value_typeET2_T3_PNSO_IST_E10value_typeET4_T5_PSY_SZ_PNS1_23onesweep_lookback_stateEbbT6_jjT7_P12ihipStream_tbENKUlT_T0_SN_SS_E_clIPjSG_PS9_SI_EEDaS16_S17_SN_SS_EUlS16_E_NS1_11comp_targetILNS1_3genE10ELNS1_11target_archE1201ELNS1_3gpuE5ELNS1_3repE0EEENS1_47radix_sort_onesweep_sort_config_static_selectorELNS0_4arch9wavefront6targetE0EEEvSN_ ; -- Begin function _ZN7rocprim17ROCPRIM_400000_NS6detail17trampoline_kernelINS0_14default_configENS1_35radix_sort_onesweep_config_selectorIjN6thrust23THRUST_200600_302600_NS5tupleIffNS6_9null_typeES8_S8_S8_S8_S8_S8_S8_EEEEZZNS1_29radix_sort_onesweep_iterationIS3_Lb0ENS6_6detail15normal_iteratorINS6_10device_ptrIjEEEESG_NSD_INSE_IS9_EEEESI_jNS0_19identity_decomposerENS1_16block_id_wrapperIjLb0EEEEE10hipError_tT1_PNSt15iterator_traitsISN_E10value_typeET2_T3_PNSO_IST_E10value_typeET4_T5_PSY_SZ_PNS1_23onesweep_lookback_stateEbbT6_jjT7_P12ihipStream_tbENKUlT_T0_SN_SS_E_clIPjSG_PS9_SI_EEDaS16_S17_SN_SS_EUlS16_E_NS1_11comp_targetILNS1_3genE10ELNS1_11target_archE1201ELNS1_3gpuE5ELNS1_3repE0EEENS1_47radix_sort_onesweep_sort_config_static_selectorELNS0_4arch9wavefront6targetE0EEEvSN_
	.globl	_ZN7rocprim17ROCPRIM_400000_NS6detail17trampoline_kernelINS0_14default_configENS1_35radix_sort_onesweep_config_selectorIjN6thrust23THRUST_200600_302600_NS5tupleIffNS6_9null_typeES8_S8_S8_S8_S8_S8_S8_EEEEZZNS1_29radix_sort_onesweep_iterationIS3_Lb0ENS6_6detail15normal_iteratorINS6_10device_ptrIjEEEESG_NSD_INSE_IS9_EEEESI_jNS0_19identity_decomposerENS1_16block_id_wrapperIjLb0EEEEE10hipError_tT1_PNSt15iterator_traitsISN_E10value_typeET2_T3_PNSO_IST_E10value_typeET4_T5_PSY_SZ_PNS1_23onesweep_lookback_stateEbbT6_jjT7_P12ihipStream_tbENKUlT_T0_SN_SS_E_clIPjSG_PS9_SI_EEDaS16_S17_SN_SS_EUlS16_E_NS1_11comp_targetILNS1_3genE10ELNS1_11target_archE1201ELNS1_3gpuE5ELNS1_3repE0EEENS1_47radix_sort_onesweep_sort_config_static_selectorELNS0_4arch9wavefront6targetE0EEEvSN_
	.p2align	8
	.type	_ZN7rocprim17ROCPRIM_400000_NS6detail17trampoline_kernelINS0_14default_configENS1_35radix_sort_onesweep_config_selectorIjN6thrust23THRUST_200600_302600_NS5tupleIffNS6_9null_typeES8_S8_S8_S8_S8_S8_S8_EEEEZZNS1_29radix_sort_onesweep_iterationIS3_Lb0ENS6_6detail15normal_iteratorINS6_10device_ptrIjEEEESG_NSD_INSE_IS9_EEEESI_jNS0_19identity_decomposerENS1_16block_id_wrapperIjLb0EEEEE10hipError_tT1_PNSt15iterator_traitsISN_E10value_typeET2_T3_PNSO_IST_E10value_typeET4_T5_PSY_SZ_PNS1_23onesweep_lookback_stateEbbT6_jjT7_P12ihipStream_tbENKUlT_T0_SN_SS_E_clIPjSG_PS9_SI_EEDaS16_S17_SN_SS_EUlS16_E_NS1_11comp_targetILNS1_3genE10ELNS1_11target_archE1201ELNS1_3gpuE5ELNS1_3repE0EEENS1_47radix_sort_onesweep_sort_config_static_selectorELNS0_4arch9wavefront6targetE0EEEvSN_,@function
_ZN7rocprim17ROCPRIM_400000_NS6detail17trampoline_kernelINS0_14default_configENS1_35radix_sort_onesweep_config_selectorIjN6thrust23THRUST_200600_302600_NS5tupleIffNS6_9null_typeES8_S8_S8_S8_S8_S8_S8_EEEEZZNS1_29radix_sort_onesweep_iterationIS3_Lb0ENS6_6detail15normal_iteratorINS6_10device_ptrIjEEEESG_NSD_INSE_IS9_EEEESI_jNS0_19identity_decomposerENS1_16block_id_wrapperIjLb0EEEEE10hipError_tT1_PNSt15iterator_traitsISN_E10value_typeET2_T3_PNSO_IST_E10value_typeET4_T5_PSY_SZ_PNS1_23onesweep_lookback_stateEbbT6_jjT7_P12ihipStream_tbENKUlT_T0_SN_SS_E_clIPjSG_PS9_SI_EEDaS16_S17_SN_SS_EUlS16_E_NS1_11comp_targetILNS1_3genE10ELNS1_11target_archE1201ELNS1_3gpuE5ELNS1_3repE0EEENS1_47radix_sort_onesweep_sort_config_static_selectorELNS0_4arch9wavefront6targetE0EEEvSN_: ; @_ZN7rocprim17ROCPRIM_400000_NS6detail17trampoline_kernelINS0_14default_configENS1_35radix_sort_onesweep_config_selectorIjN6thrust23THRUST_200600_302600_NS5tupleIffNS6_9null_typeES8_S8_S8_S8_S8_S8_S8_EEEEZZNS1_29radix_sort_onesweep_iterationIS3_Lb0ENS6_6detail15normal_iteratorINS6_10device_ptrIjEEEESG_NSD_INSE_IS9_EEEESI_jNS0_19identity_decomposerENS1_16block_id_wrapperIjLb0EEEEE10hipError_tT1_PNSt15iterator_traitsISN_E10value_typeET2_T3_PNSO_IST_E10value_typeET4_T5_PSY_SZ_PNS1_23onesweep_lookback_stateEbbT6_jjT7_P12ihipStream_tbENKUlT_T0_SN_SS_E_clIPjSG_PS9_SI_EEDaS16_S17_SN_SS_EUlS16_E_NS1_11comp_targetILNS1_3genE10ELNS1_11target_archE1201ELNS1_3gpuE5ELNS1_3repE0EEENS1_47radix_sort_onesweep_sort_config_static_selectorELNS0_4arch9wavefront6targetE0EEEvSN_
; %bb.0:
	.section	.rodata,"a",@progbits
	.p2align	6, 0x0
	.amdhsa_kernel _ZN7rocprim17ROCPRIM_400000_NS6detail17trampoline_kernelINS0_14default_configENS1_35radix_sort_onesweep_config_selectorIjN6thrust23THRUST_200600_302600_NS5tupleIffNS6_9null_typeES8_S8_S8_S8_S8_S8_S8_EEEEZZNS1_29radix_sort_onesweep_iterationIS3_Lb0ENS6_6detail15normal_iteratorINS6_10device_ptrIjEEEESG_NSD_INSE_IS9_EEEESI_jNS0_19identity_decomposerENS1_16block_id_wrapperIjLb0EEEEE10hipError_tT1_PNSt15iterator_traitsISN_E10value_typeET2_T3_PNSO_IST_E10value_typeET4_T5_PSY_SZ_PNS1_23onesweep_lookback_stateEbbT6_jjT7_P12ihipStream_tbENKUlT_T0_SN_SS_E_clIPjSG_PS9_SI_EEDaS16_S17_SN_SS_EUlS16_E_NS1_11comp_targetILNS1_3genE10ELNS1_11target_archE1201ELNS1_3gpuE5ELNS1_3repE0EEENS1_47radix_sort_onesweep_sort_config_static_selectorELNS0_4arch9wavefront6targetE0EEEvSN_
		.amdhsa_group_segment_fixed_size 0
		.amdhsa_private_segment_fixed_size 0
		.amdhsa_kernarg_size 88
		.amdhsa_user_sgpr_count 6
		.amdhsa_user_sgpr_private_segment_buffer 1
		.amdhsa_user_sgpr_dispatch_ptr 0
		.amdhsa_user_sgpr_queue_ptr 0
		.amdhsa_user_sgpr_kernarg_segment_ptr 1
		.amdhsa_user_sgpr_dispatch_id 0
		.amdhsa_user_sgpr_flat_scratch_init 0
		.amdhsa_user_sgpr_private_segment_size 0
		.amdhsa_wavefront_size32 1
		.amdhsa_uses_dynamic_stack 0
		.amdhsa_system_sgpr_private_segment_wavefront_offset 0
		.amdhsa_system_sgpr_workgroup_id_x 1
		.amdhsa_system_sgpr_workgroup_id_y 0
		.amdhsa_system_sgpr_workgroup_id_z 0
		.amdhsa_system_sgpr_workgroup_info 0
		.amdhsa_system_vgpr_workitem_id 0
		.amdhsa_next_free_vgpr 1
		.amdhsa_next_free_sgpr 1
		.amdhsa_reserve_vcc 0
		.amdhsa_reserve_flat_scratch 0
		.amdhsa_float_round_mode_32 0
		.amdhsa_float_round_mode_16_64 0
		.amdhsa_float_denorm_mode_32 3
		.amdhsa_float_denorm_mode_16_64 3
		.amdhsa_dx10_clamp 1
		.amdhsa_ieee_mode 1
		.amdhsa_fp16_overflow 0
		.amdhsa_workgroup_processor_mode 1
		.amdhsa_memory_ordered 1
		.amdhsa_forward_progress 1
		.amdhsa_shared_vgpr_count 0
		.amdhsa_exception_fp_ieee_invalid_op 0
		.amdhsa_exception_fp_denorm_src 0
		.amdhsa_exception_fp_ieee_div_zero 0
		.amdhsa_exception_fp_ieee_overflow 0
		.amdhsa_exception_fp_ieee_underflow 0
		.amdhsa_exception_fp_ieee_inexact 0
		.amdhsa_exception_int_div_zero 0
	.end_amdhsa_kernel
	.section	.text._ZN7rocprim17ROCPRIM_400000_NS6detail17trampoline_kernelINS0_14default_configENS1_35radix_sort_onesweep_config_selectorIjN6thrust23THRUST_200600_302600_NS5tupleIffNS6_9null_typeES8_S8_S8_S8_S8_S8_S8_EEEEZZNS1_29radix_sort_onesweep_iterationIS3_Lb0ENS6_6detail15normal_iteratorINS6_10device_ptrIjEEEESG_NSD_INSE_IS9_EEEESI_jNS0_19identity_decomposerENS1_16block_id_wrapperIjLb0EEEEE10hipError_tT1_PNSt15iterator_traitsISN_E10value_typeET2_T3_PNSO_IST_E10value_typeET4_T5_PSY_SZ_PNS1_23onesweep_lookback_stateEbbT6_jjT7_P12ihipStream_tbENKUlT_T0_SN_SS_E_clIPjSG_PS9_SI_EEDaS16_S17_SN_SS_EUlS16_E_NS1_11comp_targetILNS1_3genE10ELNS1_11target_archE1201ELNS1_3gpuE5ELNS1_3repE0EEENS1_47radix_sort_onesweep_sort_config_static_selectorELNS0_4arch9wavefront6targetE0EEEvSN_,"axG",@progbits,_ZN7rocprim17ROCPRIM_400000_NS6detail17trampoline_kernelINS0_14default_configENS1_35radix_sort_onesweep_config_selectorIjN6thrust23THRUST_200600_302600_NS5tupleIffNS6_9null_typeES8_S8_S8_S8_S8_S8_S8_EEEEZZNS1_29radix_sort_onesweep_iterationIS3_Lb0ENS6_6detail15normal_iteratorINS6_10device_ptrIjEEEESG_NSD_INSE_IS9_EEEESI_jNS0_19identity_decomposerENS1_16block_id_wrapperIjLb0EEEEE10hipError_tT1_PNSt15iterator_traitsISN_E10value_typeET2_T3_PNSO_IST_E10value_typeET4_T5_PSY_SZ_PNS1_23onesweep_lookback_stateEbbT6_jjT7_P12ihipStream_tbENKUlT_T0_SN_SS_E_clIPjSG_PS9_SI_EEDaS16_S17_SN_SS_EUlS16_E_NS1_11comp_targetILNS1_3genE10ELNS1_11target_archE1201ELNS1_3gpuE5ELNS1_3repE0EEENS1_47radix_sort_onesweep_sort_config_static_selectorELNS0_4arch9wavefront6targetE0EEEvSN_,comdat
.Lfunc_end226:
	.size	_ZN7rocprim17ROCPRIM_400000_NS6detail17trampoline_kernelINS0_14default_configENS1_35radix_sort_onesweep_config_selectorIjN6thrust23THRUST_200600_302600_NS5tupleIffNS6_9null_typeES8_S8_S8_S8_S8_S8_S8_EEEEZZNS1_29radix_sort_onesweep_iterationIS3_Lb0ENS6_6detail15normal_iteratorINS6_10device_ptrIjEEEESG_NSD_INSE_IS9_EEEESI_jNS0_19identity_decomposerENS1_16block_id_wrapperIjLb0EEEEE10hipError_tT1_PNSt15iterator_traitsISN_E10value_typeET2_T3_PNSO_IST_E10value_typeET4_T5_PSY_SZ_PNS1_23onesweep_lookback_stateEbbT6_jjT7_P12ihipStream_tbENKUlT_T0_SN_SS_E_clIPjSG_PS9_SI_EEDaS16_S17_SN_SS_EUlS16_E_NS1_11comp_targetILNS1_3genE10ELNS1_11target_archE1201ELNS1_3gpuE5ELNS1_3repE0EEENS1_47radix_sort_onesweep_sort_config_static_selectorELNS0_4arch9wavefront6targetE0EEEvSN_, .Lfunc_end226-_ZN7rocprim17ROCPRIM_400000_NS6detail17trampoline_kernelINS0_14default_configENS1_35radix_sort_onesweep_config_selectorIjN6thrust23THRUST_200600_302600_NS5tupleIffNS6_9null_typeES8_S8_S8_S8_S8_S8_S8_EEEEZZNS1_29radix_sort_onesweep_iterationIS3_Lb0ENS6_6detail15normal_iteratorINS6_10device_ptrIjEEEESG_NSD_INSE_IS9_EEEESI_jNS0_19identity_decomposerENS1_16block_id_wrapperIjLb0EEEEE10hipError_tT1_PNSt15iterator_traitsISN_E10value_typeET2_T3_PNSO_IST_E10value_typeET4_T5_PSY_SZ_PNS1_23onesweep_lookback_stateEbbT6_jjT7_P12ihipStream_tbENKUlT_T0_SN_SS_E_clIPjSG_PS9_SI_EEDaS16_S17_SN_SS_EUlS16_E_NS1_11comp_targetILNS1_3genE10ELNS1_11target_archE1201ELNS1_3gpuE5ELNS1_3repE0EEENS1_47radix_sort_onesweep_sort_config_static_selectorELNS0_4arch9wavefront6targetE0EEEvSN_
                                        ; -- End function
	.set _ZN7rocprim17ROCPRIM_400000_NS6detail17trampoline_kernelINS0_14default_configENS1_35radix_sort_onesweep_config_selectorIjN6thrust23THRUST_200600_302600_NS5tupleIffNS6_9null_typeES8_S8_S8_S8_S8_S8_S8_EEEEZZNS1_29radix_sort_onesweep_iterationIS3_Lb0ENS6_6detail15normal_iteratorINS6_10device_ptrIjEEEESG_NSD_INSE_IS9_EEEESI_jNS0_19identity_decomposerENS1_16block_id_wrapperIjLb0EEEEE10hipError_tT1_PNSt15iterator_traitsISN_E10value_typeET2_T3_PNSO_IST_E10value_typeET4_T5_PSY_SZ_PNS1_23onesweep_lookback_stateEbbT6_jjT7_P12ihipStream_tbENKUlT_T0_SN_SS_E_clIPjSG_PS9_SI_EEDaS16_S17_SN_SS_EUlS16_E_NS1_11comp_targetILNS1_3genE10ELNS1_11target_archE1201ELNS1_3gpuE5ELNS1_3repE0EEENS1_47radix_sort_onesweep_sort_config_static_selectorELNS0_4arch9wavefront6targetE0EEEvSN_.num_vgpr, 0
	.set _ZN7rocprim17ROCPRIM_400000_NS6detail17trampoline_kernelINS0_14default_configENS1_35radix_sort_onesweep_config_selectorIjN6thrust23THRUST_200600_302600_NS5tupleIffNS6_9null_typeES8_S8_S8_S8_S8_S8_S8_EEEEZZNS1_29radix_sort_onesweep_iterationIS3_Lb0ENS6_6detail15normal_iteratorINS6_10device_ptrIjEEEESG_NSD_INSE_IS9_EEEESI_jNS0_19identity_decomposerENS1_16block_id_wrapperIjLb0EEEEE10hipError_tT1_PNSt15iterator_traitsISN_E10value_typeET2_T3_PNSO_IST_E10value_typeET4_T5_PSY_SZ_PNS1_23onesweep_lookback_stateEbbT6_jjT7_P12ihipStream_tbENKUlT_T0_SN_SS_E_clIPjSG_PS9_SI_EEDaS16_S17_SN_SS_EUlS16_E_NS1_11comp_targetILNS1_3genE10ELNS1_11target_archE1201ELNS1_3gpuE5ELNS1_3repE0EEENS1_47radix_sort_onesweep_sort_config_static_selectorELNS0_4arch9wavefront6targetE0EEEvSN_.num_agpr, 0
	.set _ZN7rocprim17ROCPRIM_400000_NS6detail17trampoline_kernelINS0_14default_configENS1_35radix_sort_onesweep_config_selectorIjN6thrust23THRUST_200600_302600_NS5tupleIffNS6_9null_typeES8_S8_S8_S8_S8_S8_S8_EEEEZZNS1_29radix_sort_onesweep_iterationIS3_Lb0ENS6_6detail15normal_iteratorINS6_10device_ptrIjEEEESG_NSD_INSE_IS9_EEEESI_jNS0_19identity_decomposerENS1_16block_id_wrapperIjLb0EEEEE10hipError_tT1_PNSt15iterator_traitsISN_E10value_typeET2_T3_PNSO_IST_E10value_typeET4_T5_PSY_SZ_PNS1_23onesweep_lookback_stateEbbT6_jjT7_P12ihipStream_tbENKUlT_T0_SN_SS_E_clIPjSG_PS9_SI_EEDaS16_S17_SN_SS_EUlS16_E_NS1_11comp_targetILNS1_3genE10ELNS1_11target_archE1201ELNS1_3gpuE5ELNS1_3repE0EEENS1_47radix_sort_onesweep_sort_config_static_selectorELNS0_4arch9wavefront6targetE0EEEvSN_.numbered_sgpr, 0
	.set _ZN7rocprim17ROCPRIM_400000_NS6detail17trampoline_kernelINS0_14default_configENS1_35radix_sort_onesweep_config_selectorIjN6thrust23THRUST_200600_302600_NS5tupleIffNS6_9null_typeES8_S8_S8_S8_S8_S8_S8_EEEEZZNS1_29radix_sort_onesweep_iterationIS3_Lb0ENS6_6detail15normal_iteratorINS6_10device_ptrIjEEEESG_NSD_INSE_IS9_EEEESI_jNS0_19identity_decomposerENS1_16block_id_wrapperIjLb0EEEEE10hipError_tT1_PNSt15iterator_traitsISN_E10value_typeET2_T3_PNSO_IST_E10value_typeET4_T5_PSY_SZ_PNS1_23onesweep_lookback_stateEbbT6_jjT7_P12ihipStream_tbENKUlT_T0_SN_SS_E_clIPjSG_PS9_SI_EEDaS16_S17_SN_SS_EUlS16_E_NS1_11comp_targetILNS1_3genE10ELNS1_11target_archE1201ELNS1_3gpuE5ELNS1_3repE0EEENS1_47radix_sort_onesweep_sort_config_static_selectorELNS0_4arch9wavefront6targetE0EEEvSN_.num_named_barrier, 0
	.set _ZN7rocprim17ROCPRIM_400000_NS6detail17trampoline_kernelINS0_14default_configENS1_35radix_sort_onesweep_config_selectorIjN6thrust23THRUST_200600_302600_NS5tupleIffNS6_9null_typeES8_S8_S8_S8_S8_S8_S8_EEEEZZNS1_29radix_sort_onesweep_iterationIS3_Lb0ENS6_6detail15normal_iteratorINS6_10device_ptrIjEEEESG_NSD_INSE_IS9_EEEESI_jNS0_19identity_decomposerENS1_16block_id_wrapperIjLb0EEEEE10hipError_tT1_PNSt15iterator_traitsISN_E10value_typeET2_T3_PNSO_IST_E10value_typeET4_T5_PSY_SZ_PNS1_23onesweep_lookback_stateEbbT6_jjT7_P12ihipStream_tbENKUlT_T0_SN_SS_E_clIPjSG_PS9_SI_EEDaS16_S17_SN_SS_EUlS16_E_NS1_11comp_targetILNS1_3genE10ELNS1_11target_archE1201ELNS1_3gpuE5ELNS1_3repE0EEENS1_47radix_sort_onesweep_sort_config_static_selectorELNS0_4arch9wavefront6targetE0EEEvSN_.private_seg_size, 0
	.set _ZN7rocprim17ROCPRIM_400000_NS6detail17trampoline_kernelINS0_14default_configENS1_35radix_sort_onesweep_config_selectorIjN6thrust23THRUST_200600_302600_NS5tupleIffNS6_9null_typeES8_S8_S8_S8_S8_S8_S8_EEEEZZNS1_29radix_sort_onesweep_iterationIS3_Lb0ENS6_6detail15normal_iteratorINS6_10device_ptrIjEEEESG_NSD_INSE_IS9_EEEESI_jNS0_19identity_decomposerENS1_16block_id_wrapperIjLb0EEEEE10hipError_tT1_PNSt15iterator_traitsISN_E10value_typeET2_T3_PNSO_IST_E10value_typeET4_T5_PSY_SZ_PNS1_23onesweep_lookback_stateEbbT6_jjT7_P12ihipStream_tbENKUlT_T0_SN_SS_E_clIPjSG_PS9_SI_EEDaS16_S17_SN_SS_EUlS16_E_NS1_11comp_targetILNS1_3genE10ELNS1_11target_archE1201ELNS1_3gpuE5ELNS1_3repE0EEENS1_47radix_sort_onesweep_sort_config_static_selectorELNS0_4arch9wavefront6targetE0EEEvSN_.uses_vcc, 0
	.set _ZN7rocprim17ROCPRIM_400000_NS6detail17trampoline_kernelINS0_14default_configENS1_35radix_sort_onesweep_config_selectorIjN6thrust23THRUST_200600_302600_NS5tupleIffNS6_9null_typeES8_S8_S8_S8_S8_S8_S8_EEEEZZNS1_29radix_sort_onesweep_iterationIS3_Lb0ENS6_6detail15normal_iteratorINS6_10device_ptrIjEEEESG_NSD_INSE_IS9_EEEESI_jNS0_19identity_decomposerENS1_16block_id_wrapperIjLb0EEEEE10hipError_tT1_PNSt15iterator_traitsISN_E10value_typeET2_T3_PNSO_IST_E10value_typeET4_T5_PSY_SZ_PNS1_23onesweep_lookback_stateEbbT6_jjT7_P12ihipStream_tbENKUlT_T0_SN_SS_E_clIPjSG_PS9_SI_EEDaS16_S17_SN_SS_EUlS16_E_NS1_11comp_targetILNS1_3genE10ELNS1_11target_archE1201ELNS1_3gpuE5ELNS1_3repE0EEENS1_47radix_sort_onesweep_sort_config_static_selectorELNS0_4arch9wavefront6targetE0EEEvSN_.uses_flat_scratch, 0
	.set _ZN7rocprim17ROCPRIM_400000_NS6detail17trampoline_kernelINS0_14default_configENS1_35radix_sort_onesweep_config_selectorIjN6thrust23THRUST_200600_302600_NS5tupleIffNS6_9null_typeES8_S8_S8_S8_S8_S8_S8_EEEEZZNS1_29radix_sort_onesweep_iterationIS3_Lb0ENS6_6detail15normal_iteratorINS6_10device_ptrIjEEEESG_NSD_INSE_IS9_EEEESI_jNS0_19identity_decomposerENS1_16block_id_wrapperIjLb0EEEEE10hipError_tT1_PNSt15iterator_traitsISN_E10value_typeET2_T3_PNSO_IST_E10value_typeET4_T5_PSY_SZ_PNS1_23onesweep_lookback_stateEbbT6_jjT7_P12ihipStream_tbENKUlT_T0_SN_SS_E_clIPjSG_PS9_SI_EEDaS16_S17_SN_SS_EUlS16_E_NS1_11comp_targetILNS1_3genE10ELNS1_11target_archE1201ELNS1_3gpuE5ELNS1_3repE0EEENS1_47radix_sort_onesweep_sort_config_static_selectorELNS0_4arch9wavefront6targetE0EEEvSN_.has_dyn_sized_stack, 0
	.set _ZN7rocprim17ROCPRIM_400000_NS6detail17trampoline_kernelINS0_14default_configENS1_35radix_sort_onesweep_config_selectorIjN6thrust23THRUST_200600_302600_NS5tupleIffNS6_9null_typeES8_S8_S8_S8_S8_S8_S8_EEEEZZNS1_29radix_sort_onesweep_iterationIS3_Lb0ENS6_6detail15normal_iteratorINS6_10device_ptrIjEEEESG_NSD_INSE_IS9_EEEESI_jNS0_19identity_decomposerENS1_16block_id_wrapperIjLb0EEEEE10hipError_tT1_PNSt15iterator_traitsISN_E10value_typeET2_T3_PNSO_IST_E10value_typeET4_T5_PSY_SZ_PNS1_23onesweep_lookback_stateEbbT6_jjT7_P12ihipStream_tbENKUlT_T0_SN_SS_E_clIPjSG_PS9_SI_EEDaS16_S17_SN_SS_EUlS16_E_NS1_11comp_targetILNS1_3genE10ELNS1_11target_archE1201ELNS1_3gpuE5ELNS1_3repE0EEENS1_47radix_sort_onesweep_sort_config_static_selectorELNS0_4arch9wavefront6targetE0EEEvSN_.has_recursion, 0
	.set _ZN7rocprim17ROCPRIM_400000_NS6detail17trampoline_kernelINS0_14default_configENS1_35radix_sort_onesweep_config_selectorIjN6thrust23THRUST_200600_302600_NS5tupleIffNS6_9null_typeES8_S8_S8_S8_S8_S8_S8_EEEEZZNS1_29radix_sort_onesweep_iterationIS3_Lb0ENS6_6detail15normal_iteratorINS6_10device_ptrIjEEEESG_NSD_INSE_IS9_EEEESI_jNS0_19identity_decomposerENS1_16block_id_wrapperIjLb0EEEEE10hipError_tT1_PNSt15iterator_traitsISN_E10value_typeET2_T3_PNSO_IST_E10value_typeET4_T5_PSY_SZ_PNS1_23onesweep_lookback_stateEbbT6_jjT7_P12ihipStream_tbENKUlT_T0_SN_SS_E_clIPjSG_PS9_SI_EEDaS16_S17_SN_SS_EUlS16_E_NS1_11comp_targetILNS1_3genE10ELNS1_11target_archE1201ELNS1_3gpuE5ELNS1_3repE0EEENS1_47radix_sort_onesweep_sort_config_static_selectorELNS0_4arch9wavefront6targetE0EEEvSN_.has_indirect_call, 0
	.section	.AMDGPU.csdata,"",@progbits
; Kernel info:
; codeLenInByte = 0
; TotalNumSgprs: 0
; NumVgprs: 0
; ScratchSize: 0
; MemoryBound: 0
; FloatMode: 240
; IeeeMode: 1
; LDSByteSize: 0 bytes/workgroup (compile time only)
; SGPRBlocks: 0
; VGPRBlocks: 0
; NumSGPRsForWavesPerEU: 1
; NumVGPRsForWavesPerEU: 1
; Occupancy: 16
; WaveLimiterHint : 0
; COMPUTE_PGM_RSRC2:SCRATCH_EN: 0
; COMPUTE_PGM_RSRC2:USER_SGPR: 6
; COMPUTE_PGM_RSRC2:TRAP_HANDLER: 0
; COMPUTE_PGM_RSRC2:TGID_X_EN: 1
; COMPUTE_PGM_RSRC2:TGID_Y_EN: 0
; COMPUTE_PGM_RSRC2:TGID_Z_EN: 0
; COMPUTE_PGM_RSRC2:TIDIG_COMP_CNT: 0
	.section	.text._ZN7rocprim17ROCPRIM_400000_NS6detail17trampoline_kernelINS0_14default_configENS1_35radix_sort_onesweep_config_selectorIjN6thrust23THRUST_200600_302600_NS5tupleIffNS6_9null_typeES8_S8_S8_S8_S8_S8_S8_EEEEZZNS1_29radix_sort_onesweep_iterationIS3_Lb0ENS6_6detail15normal_iteratorINS6_10device_ptrIjEEEESG_NSD_INSE_IS9_EEEESI_jNS0_19identity_decomposerENS1_16block_id_wrapperIjLb0EEEEE10hipError_tT1_PNSt15iterator_traitsISN_E10value_typeET2_T3_PNSO_IST_E10value_typeET4_T5_PSY_SZ_PNS1_23onesweep_lookback_stateEbbT6_jjT7_P12ihipStream_tbENKUlT_T0_SN_SS_E_clIPjSG_PS9_SI_EEDaS16_S17_SN_SS_EUlS16_E_NS1_11comp_targetILNS1_3genE9ELNS1_11target_archE1100ELNS1_3gpuE3ELNS1_3repE0EEENS1_47radix_sort_onesweep_sort_config_static_selectorELNS0_4arch9wavefront6targetE0EEEvSN_,"axG",@progbits,_ZN7rocprim17ROCPRIM_400000_NS6detail17trampoline_kernelINS0_14default_configENS1_35radix_sort_onesweep_config_selectorIjN6thrust23THRUST_200600_302600_NS5tupleIffNS6_9null_typeES8_S8_S8_S8_S8_S8_S8_EEEEZZNS1_29radix_sort_onesweep_iterationIS3_Lb0ENS6_6detail15normal_iteratorINS6_10device_ptrIjEEEESG_NSD_INSE_IS9_EEEESI_jNS0_19identity_decomposerENS1_16block_id_wrapperIjLb0EEEEE10hipError_tT1_PNSt15iterator_traitsISN_E10value_typeET2_T3_PNSO_IST_E10value_typeET4_T5_PSY_SZ_PNS1_23onesweep_lookback_stateEbbT6_jjT7_P12ihipStream_tbENKUlT_T0_SN_SS_E_clIPjSG_PS9_SI_EEDaS16_S17_SN_SS_EUlS16_E_NS1_11comp_targetILNS1_3genE9ELNS1_11target_archE1100ELNS1_3gpuE3ELNS1_3repE0EEENS1_47radix_sort_onesweep_sort_config_static_selectorELNS0_4arch9wavefront6targetE0EEEvSN_,comdat
	.protected	_ZN7rocprim17ROCPRIM_400000_NS6detail17trampoline_kernelINS0_14default_configENS1_35radix_sort_onesweep_config_selectorIjN6thrust23THRUST_200600_302600_NS5tupleIffNS6_9null_typeES8_S8_S8_S8_S8_S8_S8_EEEEZZNS1_29radix_sort_onesweep_iterationIS3_Lb0ENS6_6detail15normal_iteratorINS6_10device_ptrIjEEEESG_NSD_INSE_IS9_EEEESI_jNS0_19identity_decomposerENS1_16block_id_wrapperIjLb0EEEEE10hipError_tT1_PNSt15iterator_traitsISN_E10value_typeET2_T3_PNSO_IST_E10value_typeET4_T5_PSY_SZ_PNS1_23onesweep_lookback_stateEbbT6_jjT7_P12ihipStream_tbENKUlT_T0_SN_SS_E_clIPjSG_PS9_SI_EEDaS16_S17_SN_SS_EUlS16_E_NS1_11comp_targetILNS1_3genE9ELNS1_11target_archE1100ELNS1_3gpuE3ELNS1_3repE0EEENS1_47radix_sort_onesweep_sort_config_static_selectorELNS0_4arch9wavefront6targetE0EEEvSN_ ; -- Begin function _ZN7rocprim17ROCPRIM_400000_NS6detail17trampoline_kernelINS0_14default_configENS1_35radix_sort_onesweep_config_selectorIjN6thrust23THRUST_200600_302600_NS5tupleIffNS6_9null_typeES8_S8_S8_S8_S8_S8_S8_EEEEZZNS1_29radix_sort_onesweep_iterationIS3_Lb0ENS6_6detail15normal_iteratorINS6_10device_ptrIjEEEESG_NSD_INSE_IS9_EEEESI_jNS0_19identity_decomposerENS1_16block_id_wrapperIjLb0EEEEE10hipError_tT1_PNSt15iterator_traitsISN_E10value_typeET2_T3_PNSO_IST_E10value_typeET4_T5_PSY_SZ_PNS1_23onesweep_lookback_stateEbbT6_jjT7_P12ihipStream_tbENKUlT_T0_SN_SS_E_clIPjSG_PS9_SI_EEDaS16_S17_SN_SS_EUlS16_E_NS1_11comp_targetILNS1_3genE9ELNS1_11target_archE1100ELNS1_3gpuE3ELNS1_3repE0EEENS1_47radix_sort_onesweep_sort_config_static_selectorELNS0_4arch9wavefront6targetE0EEEvSN_
	.globl	_ZN7rocprim17ROCPRIM_400000_NS6detail17trampoline_kernelINS0_14default_configENS1_35radix_sort_onesweep_config_selectorIjN6thrust23THRUST_200600_302600_NS5tupleIffNS6_9null_typeES8_S8_S8_S8_S8_S8_S8_EEEEZZNS1_29radix_sort_onesweep_iterationIS3_Lb0ENS6_6detail15normal_iteratorINS6_10device_ptrIjEEEESG_NSD_INSE_IS9_EEEESI_jNS0_19identity_decomposerENS1_16block_id_wrapperIjLb0EEEEE10hipError_tT1_PNSt15iterator_traitsISN_E10value_typeET2_T3_PNSO_IST_E10value_typeET4_T5_PSY_SZ_PNS1_23onesweep_lookback_stateEbbT6_jjT7_P12ihipStream_tbENKUlT_T0_SN_SS_E_clIPjSG_PS9_SI_EEDaS16_S17_SN_SS_EUlS16_E_NS1_11comp_targetILNS1_3genE9ELNS1_11target_archE1100ELNS1_3gpuE3ELNS1_3repE0EEENS1_47radix_sort_onesweep_sort_config_static_selectorELNS0_4arch9wavefront6targetE0EEEvSN_
	.p2align	8
	.type	_ZN7rocprim17ROCPRIM_400000_NS6detail17trampoline_kernelINS0_14default_configENS1_35radix_sort_onesweep_config_selectorIjN6thrust23THRUST_200600_302600_NS5tupleIffNS6_9null_typeES8_S8_S8_S8_S8_S8_S8_EEEEZZNS1_29radix_sort_onesweep_iterationIS3_Lb0ENS6_6detail15normal_iteratorINS6_10device_ptrIjEEEESG_NSD_INSE_IS9_EEEESI_jNS0_19identity_decomposerENS1_16block_id_wrapperIjLb0EEEEE10hipError_tT1_PNSt15iterator_traitsISN_E10value_typeET2_T3_PNSO_IST_E10value_typeET4_T5_PSY_SZ_PNS1_23onesweep_lookback_stateEbbT6_jjT7_P12ihipStream_tbENKUlT_T0_SN_SS_E_clIPjSG_PS9_SI_EEDaS16_S17_SN_SS_EUlS16_E_NS1_11comp_targetILNS1_3genE9ELNS1_11target_archE1100ELNS1_3gpuE3ELNS1_3repE0EEENS1_47radix_sort_onesweep_sort_config_static_selectorELNS0_4arch9wavefront6targetE0EEEvSN_,@function
_ZN7rocprim17ROCPRIM_400000_NS6detail17trampoline_kernelINS0_14default_configENS1_35radix_sort_onesweep_config_selectorIjN6thrust23THRUST_200600_302600_NS5tupleIffNS6_9null_typeES8_S8_S8_S8_S8_S8_S8_EEEEZZNS1_29radix_sort_onesweep_iterationIS3_Lb0ENS6_6detail15normal_iteratorINS6_10device_ptrIjEEEESG_NSD_INSE_IS9_EEEESI_jNS0_19identity_decomposerENS1_16block_id_wrapperIjLb0EEEEE10hipError_tT1_PNSt15iterator_traitsISN_E10value_typeET2_T3_PNSO_IST_E10value_typeET4_T5_PSY_SZ_PNS1_23onesweep_lookback_stateEbbT6_jjT7_P12ihipStream_tbENKUlT_T0_SN_SS_E_clIPjSG_PS9_SI_EEDaS16_S17_SN_SS_EUlS16_E_NS1_11comp_targetILNS1_3genE9ELNS1_11target_archE1100ELNS1_3gpuE3ELNS1_3repE0EEENS1_47radix_sort_onesweep_sort_config_static_selectorELNS0_4arch9wavefront6targetE0EEEvSN_: ; @_ZN7rocprim17ROCPRIM_400000_NS6detail17trampoline_kernelINS0_14default_configENS1_35radix_sort_onesweep_config_selectorIjN6thrust23THRUST_200600_302600_NS5tupleIffNS6_9null_typeES8_S8_S8_S8_S8_S8_S8_EEEEZZNS1_29radix_sort_onesweep_iterationIS3_Lb0ENS6_6detail15normal_iteratorINS6_10device_ptrIjEEEESG_NSD_INSE_IS9_EEEESI_jNS0_19identity_decomposerENS1_16block_id_wrapperIjLb0EEEEE10hipError_tT1_PNSt15iterator_traitsISN_E10value_typeET2_T3_PNSO_IST_E10value_typeET4_T5_PSY_SZ_PNS1_23onesweep_lookback_stateEbbT6_jjT7_P12ihipStream_tbENKUlT_T0_SN_SS_E_clIPjSG_PS9_SI_EEDaS16_S17_SN_SS_EUlS16_E_NS1_11comp_targetILNS1_3genE9ELNS1_11target_archE1100ELNS1_3gpuE3ELNS1_3repE0EEENS1_47radix_sort_onesweep_sort_config_static_selectorELNS0_4arch9wavefront6targetE0EEEvSN_
; %bb.0:
	.section	.rodata,"a",@progbits
	.p2align	6, 0x0
	.amdhsa_kernel _ZN7rocprim17ROCPRIM_400000_NS6detail17trampoline_kernelINS0_14default_configENS1_35radix_sort_onesweep_config_selectorIjN6thrust23THRUST_200600_302600_NS5tupleIffNS6_9null_typeES8_S8_S8_S8_S8_S8_S8_EEEEZZNS1_29radix_sort_onesweep_iterationIS3_Lb0ENS6_6detail15normal_iteratorINS6_10device_ptrIjEEEESG_NSD_INSE_IS9_EEEESI_jNS0_19identity_decomposerENS1_16block_id_wrapperIjLb0EEEEE10hipError_tT1_PNSt15iterator_traitsISN_E10value_typeET2_T3_PNSO_IST_E10value_typeET4_T5_PSY_SZ_PNS1_23onesweep_lookback_stateEbbT6_jjT7_P12ihipStream_tbENKUlT_T0_SN_SS_E_clIPjSG_PS9_SI_EEDaS16_S17_SN_SS_EUlS16_E_NS1_11comp_targetILNS1_3genE9ELNS1_11target_archE1100ELNS1_3gpuE3ELNS1_3repE0EEENS1_47radix_sort_onesweep_sort_config_static_selectorELNS0_4arch9wavefront6targetE0EEEvSN_
		.amdhsa_group_segment_fixed_size 0
		.amdhsa_private_segment_fixed_size 0
		.amdhsa_kernarg_size 88
		.amdhsa_user_sgpr_count 6
		.amdhsa_user_sgpr_private_segment_buffer 1
		.amdhsa_user_sgpr_dispatch_ptr 0
		.amdhsa_user_sgpr_queue_ptr 0
		.amdhsa_user_sgpr_kernarg_segment_ptr 1
		.amdhsa_user_sgpr_dispatch_id 0
		.amdhsa_user_sgpr_flat_scratch_init 0
		.amdhsa_user_sgpr_private_segment_size 0
		.amdhsa_wavefront_size32 1
		.amdhsa_uses_dynamic_stack 0
		.amdhsa_system_sgpr_private_segment_wavefront_offset 0
		.amdhsa_system_sgpr_workgroup_id_x 1
		.amdhsa_system_sgpr_workgroup_id_y 0
		.amdhsa_system_sgpr_workgroup_id_z 0
		.amdhsa_system_sgpr_workgroup_info 0
		.amdhsa_system_vgpr_workitem_id 0
		.amdhsa_next_free_vgpr 1
		.amdhsa_next_free_sgpr 1
		.amdhsa_reserve_vcc 0
		.amdhsa_reserve_flat_scratch 0
		.amdhsa_float_round_mode_32 0
		.amdhsa_float_round_mode_16_64 0
		.amdhsa_float_denorm_mode_32 3
		.amdhsa_float_denorm_mode_16_64 3
		.amdhsa_dx10_clamp 1
		.amdhsa_ieee_mode 1
		.amdhsa_fp16_overflow 0
		.amdhsa_workgroup_processor_mode 1
		.amdhsa_memory_ordered 1
		.amdhsa_forward_progress 1
		.amdhsa_shared_vgpr_count 0
		.amdhsa_exception_fp_ieee_invalid_op 0
		.amdhsa_exception_fp_denorm_src 0
		.amdhsa_exception_fp_ieee_div_zero 0
		.amdhsa_exception_fp_ieee_overflow 0
		.amdhsa_exception_fp_ieee_underflow 0
		.amdhsa_exception_fp_ieee_inexact 0
		.amdhsa_exception_int_div_zero 0
	.end_amdhsa_kernel
	.section	.text._ZN7rocprim17ROCPRIM_400000_NS6detail17trampoline_kernelINS0_14default_configENS1_35radix_sort_onesweep_config_selectorIjN6thrust23THRUST_200600_302600_NS5tupleIffNS6_9null_typeES8_S8_S8_S8_S8_S8_S8_EEEEZZNS1_29radix_sort_onesweep_iterationIS3_Lb0ENS6_6detail15normal_iteratorINS6_10device_ptrIjEEEESG_NSD_INSE_IS9_EEEESI_jNS0_19identity_decomposerENS1_16block_id_wrapperIjLb0EEEEE10hipError_tT1_PNSt15iterator_traitsISN_E10value_typeET2_T3_PNSO_IST_E10value_typeET4_T5_PSY_SZ_PNS1_23onesweep_lookback_stateEbbT6_jjT7_P12ihipStream_tbENKUlT_T0_SN_SS_E_clIPjSG_PS9_SI_EEDaS16_S17_SN_SS_EUlS16_E_NS1_11comp_targetILNS1_3genE9ELNS1_11target_archE1100ELNS1_3gpuE3ELNS1_3repE0EEENS1_47radix_sort_onesweep_sort_config_static_selectorELNS0_4arch9wavefront6targetE0EEEvSN_,"axG",@progbits,_ZN7rocprim17ROCPRIM_400000_NS6detail17trampoline_kernelINS0_14default_configENS1_35radix_sort_onesweep_config_selectorIjN6thrust23THRUST_200600_302600_NS5tupleIffNS6_9null_typeES8_S8_S8_S8_S8_S8_S8_EEEEZZNS1_29radix_sort_onesweep_iterationIS3_Lb0ENS6_6detail15normal_iteratorINS6_10device_ptrIjEEEESG_NSD_INSE_IS9_EEEESI_jNS0_19identity_decomposerENS1_16block_id_wrapperIjLb0EEEEE10hipError_tT1_PNSt15iterator_traitsISN_E10value_typeET2_T3_PNSO_IST_E10value_typeET4_T5_PSY_SZ_PNS1_23onesweep_lookback_stateEbbT6_jjT7_P12ihipStream_tbENKUlT_T0_SN_SS_E_clIPjSG_PS9_SI_EEDaS16_S17_SN_SS_EUlS16_E_NS1_11comp_targetILNS1_3genE9ELNS1_11target_archE1100ELNS1_3gpuE3ELNS1_3repE0EEENS1_47radix_sort_onesweep_sort_config_static_selectorELNS0_4arch9wavefront6targetE0EEEvSN_,comdat
.Lfunc_end227:
	.size	_ZN7rocprim17ROCPRIM_400000_NS6detail17trampoline_kernelINS0_14default_configENS1_35radix_sort_onesweep_config_selectorIjN6thrust23THRUST_200600_302600_NS5tupleIffNS6_9null_typeES8_S8_S8_S8_S8_S8_S8_EEEEZZNS1_29radix_sort_onesweep_iterationIS3_Lb0ENS6_6detail15normal_iteratorINS6_10device_ptrIjEEEESG_NSD_INSE_IS9_EEEESI_jNS0_19identity_decomposerENS1_16block_id_wrapperIjLb0EEEEE10hipError_tT1_PNSt15iterator_traitsISN_E10value_typeET2_T3_PNSO_IST_E10value_typeET4_T5_PSY_SZ_PNS1_23onesweep_lookback_stateEbbT6_jjT7_P12ihipStream_tbENKUlT_T0_SN_SS_E_clIPjSG_PS9_SI_EEDaS16_S17_SN_SS_EUlS16_E_NS1_11comp_targetILNS1_3genE9ELNS1_11target_archE1100ELNS1_3gpuE3ELNS1_3repE0EEENS1_47radix_sort_onesweep_sort_config_static_selectorELNS0_4arch9wavefront6targetE0EEEvSN_, .Lfunc_end227-_ZN7rocprim17ROCPRIM_400000_NS6detail17trampoline_kernelINS0_14default_configENS1_35radix_sort_onesweep_config_selectorIjN6thrust23THRUST_200600_302600_NS5tupleIffNS6_9null_typeES8_S8_S8_S8_S8_S8_S8_EEEEZZNS1_29radix_sort_onesweep_iterationIS3_Lb0ENS6_6detail15normal_iteratorINS6_10device_ptrIjEEEESG_NSD_INSE_IS9_EEEESI_jNS0_19identity_decomposerENS1_16block_id_wrapperIjLb0EEEEE10hipError_tT1_PNSt15iterator_traitsISN_E10value_typeET2_T3_PNSO_IST_E10value_typeET4_T5_PSY_SZ_PNS1_23onesweep_lookback_stateEbbT6_jjT7_P12ihipStream_tbENKUlT_T0_SN_SS_E_clIPjSG_PS9_SI_EEDaS16_S17_SN_SS_EUlS16_E_NS1_11comp_targetILNS1_3genE9ELNS1_11target_archE1100ELNS1_3gpuE3ELNS1_3repE0EEENS1_47radix_sort_onesweep_sort_config_static_selectorELNS0_4arch9wavefront6targetE0EEEvSN_
                                        ; -- End function
	.set _ZN7rocprim17ROCPRIM_400000_NS6detail17trampoline_kernelINS0_14default_configENS1_35radix_sort_onesweep_config_selectorIjN6thrust23THRUST_200600_302600_NS5tupleIffNS6_9null_typeES8_S8_S8_S8_S8_S8_S8_EEEEZZNS1_29radix_sort_onesweep_iterationIS3_Lb0ENS6_6detail15normal_iteratorINS6_10device_ptrIjEEEESG_NSD_INSE_IS9_EEEESI_jNS0_19identity_decomposerENS1_16block_id_wrapperIjLb0EEEEE10hipError_tT1_PNSt15iterator_traitsISN_E10value_typeET2_T3_PNSO_IST_E10value_typeET4_T5_PSY_SZ_PNS1_23onesweep_lookback_stateEbbT6_jjT7_P12ihipStream_tbENKUlT_T0_SN_SS_E_clIPjSG_PS9_SI_EEDaS16_S17_SN_SS_EUlS16_E_NS1_11comp_targetILNS1_3genE9ELNS1_11target_archE1100ELNS1_3gpuE3ELNS1_3repE0EEENS1_47radix_sort_onesweep_sort_config_static_selectorELNS0_4arch9wavefront6targetE0EEEvSN_.num_vgpr, 0
	.set _ZN7rocprim17ROCPRIM_400000_NS6detail17trampoline_kernelINS0_14default_configENS1_35radix_sort_onesweep_config_selectorIjN6thrust23THRUST_200600_302600_NS5tupleIffNS6_9null_typeES8_S8_S8_S8_S8_S8_S8_EEEEZZNS1_29radix_sort_onesweep_iterationIS3_Lb0ENS6_6detail15normal_iteratorINS6_10device_ptrIjEEEESG_NSD_INSE_IS9_EEEESI_jNS0_19identity_decomposerENS1_16block_id_wrapperIjLb0EEEEE10hipError_tT1_PNSt15iterator_traitsISN_E10value_typeET2_T3_PNSO_IST_E10value_typeET4_T5_PSY_SZ_PNS1_23onesweep_lookback_stateEbbT6_jjT7_P12ihipStream_tbENKUlT_T0_SN_SS_E_clIPjSG_PS9_SI_EEDaS16_S17_SN_SS_EUlS16_E_NS1_11comp_targetILNS1_3genE9ELNS1_11target_archE1100ELNS1_3gpuE3ELNS1_3repE0EEENS1_47radix_sort_onesweep_sort_config_static_selectorELNS0_4arch9wavefront6targetE0EEEvSN_.num_agpr, 0
	.set _ZN7rocprim17ROCPRIM_400000_NS6detail17trampoline_kernelINS0_14default_configENS1_35radix_sort_onesweep_config_selectorIjN6thrust23THRUST_200600_302600_NS5tupleIffNS6_9null_typeES8_S8_S8_S8_S8_S8_S8_EEEEZZNS1_29radix_sort_onesweep_iterationIS3_Lb0ENS6_6detail15normal_iteratorINS6_10device_ptrIjEEEESG_NSD_INSE_IS9_EEEESI_jNS0_19identity_decomposerENS1_16block_id_wrapperIjLb0EEEEE10hipError_tT1_PNSt15iterator_traitsISN_E10value_typeET2_T3_PNSO_IST_E10value_typeET4_T5_PSY_SZ_PNS1_23onesweep_lookback_stateEbbT6_jjT7_P12ihipStream_tbENKUlT_T0_SN_SS_E_clIPjSG_PS9_SI_EEDaS16_S17_SN_SS_EUlS16_E_NS1_11comp_targetILNS1_3genE9ELNS1_11target_archE1100ELNS1_3gpuE3ELNS1_3repE0EEENS1_47radix_sort_onesweep_sort_config_static_selectorELNS0_4arch9wavefront6targetE0EEEvSN_.numbered_sgpr, 0
	.set _ZN7rocprim17ROCPRIM_400000_NS6detail17trampoline_kernelINS0_14default_configENS1_35radix_sort_onesweep_config_selectorIjN6thrust23THRUST_200600_302600_NS5tupleIffNS6_9null_typeES8_S8_S8_S8_S8_S8_S8_EEEEZZNS1_29radix_sort_onesweep_iterationIS3_Lb0ENS6_6detail15normal_iteratorINS6_10device_ptrIjEEEESG_NSD_INSE_IS9_EEEESI_jNS0_19identity_decomposerENS1_16block_id_wrapperIjLb0EEEEE10hipError_tT1_PNSt15iterator_traitsISN_E10value_typeET2_T3_PNSO_IST_E10value_typeET4_T5_PSY_SZ_PNS1_23onesweep_lookback_stateEbbT6_jjT7_P12ihipStream_tbENKUlT_T0_SN_SS_E_clIPjSG_PS9_SI_EEDaS16_S17_SN_SS_EUlS16_E_NS1_11comp_targetILNS1_3genE9ELNS1_11target_archE1100ELNS1_3gpuE3ELNS1_3repE0EEENS1_47radix_sort_onesweep_sort_config_static_selectorELNS0_4arch9wavefront6targetE0EEEvSN_.num_named_barrier, 0
	.set _ZN7rocprim17ROCPRIM_400000_NS6detail17trampoline_kernelINS0_14default_configENS1_35radix_sort_onesweep_config_selectorIjN6thrust23THRUST_200600_302600_NS5tupleIffNS6_9null_typeES8_S8_S8_S8_S8_S8_S8_EEEEZZNS1_29radix_sort_onesweep_iterationIS3_Lb0ENS6_6detail15normal_iteratorINS6_10device_ptrIjEEEESG_NSD_INSE_IS9_EEEESI_jNS0_19identity_decomposerENS1_16block_id_wrapperIjLb0EEEEE10hipError_tT1_PNSt15iterator_traitsISN_E10value_typeET2_T3_PNSO_IST_E10value_typeET4_T5_PSY_SZ_PNS1_23onesweep_lookback_stateEbbT6_jjT7_P12ihipStream_tbENKUlT_T0_SN_SS_E_clIPjSG_PS9_SI_EEDaS16_S17_SN_SS_EUlS16_E_NS1_11comp_targetILNS1_3genE9ELNS1_11target_archE1100ELNS1_3gpuE3ELNS1_3repE0EEENS1_47radix_sort_onesweep_sort_config_static_selectorELNS0_4arch9wavefront6targetE0EEEvSN_.private_seg_size, 0
	.set _ZN7rocprim17ROCPRIM_400000_NS6detail17trampoline_kernelINS0_14default_configENS1_35radix_sort_onesweep_config_selectorIjN6thrust23THRUST_200600_302600_NS5tupleIffNS6_9null_typeES8_S8_S8_S8_S8_S8_S8_EEEEZZNS1_29radix_sort_onesweep_iterationIS3_Lb0ENS6_6detail15normal_iteratorINS6_10device_ptrIjEEEESG_NSD_INSE_IS9_EEEESI_jNS0_19identity_decomposerENS1_16block_id_wrapperIjLb0EEEEE10hipError_tT1_PNSt15iterator_traitsISN_E10value_typeET2_T3_PNSO_IST_E10value_typeET4_T5_PSY_SZ_PNS1_23onesweep_lookback_stateEbbT6_jjT7_P12ihipStream_tbENKUlT_T0_SN_SS_E_clIPjSG_PS9_SI_EEDaS16_S17_SN_SS_EUlS16_E_NS1_11comp_targetILNS1_3genE9ELNS1_11target_archE1100ELNS1_3gpuE3ELNS1_3repE0EEENS1_47radix_sort_onesweep_sort_config_static_selectorELNS0_4arch9wavefront6targetE0EEEvSN_.uses_vcc, 0
	.set _ZN7rocprim17ROCPRIM_400000_NS6detail17trampoline_kernelINS0_14default_configENS1_35radix_sort_onesweep_config_selectorIjN6thrust23THRUST_200600_302600_NS5tupleIffNS6_9null_typeES8_S8_S8_S8_S8_S8_S8_EEEEZZNS1_29radix_sort_onesweep_iterationIS3_Lb0ENS6_6detail15normal_iteratorINS6_10device_ptrIjEEEESG_NSD_INSE_IS9_EEEESI_jNS0_19identity_decomposerENS1_16block_id_wrapperIjLb0EEEEE10hipError_tT1_PNSt15iterator_traitsISN_E10value_typeET2_T3_PNSO_IST_E10value_typeET4_T5_PSY_SZ_PNS1_23onesweep_lookback_stateEbbT6_jjT7_P12ihipStream_tbENKUlT_T0_SN_SS_E_clIPjSG_PS9_SI_EEDaS16_S17_SN_SS_EUlS16_E_NS1_11comp_targetILNS1_3genE9ELNS1_11target_archE1100ELNS1_3gpuE3ELNS1_3repE0EEENS1_47radix_sort_onesweep_sort_config_static_selectorELNS0_4arch9wavefront6targetE0EEEvSN_.uses_flat_scratch, 0
	.set _ZN7rocprim17ROCPRIM_400000_NS6detail17trampoline_kernelINS0_14default_configENS1_35radix_sort_onesweep_config_selectorIjN6thrust23THRUST_200600_302600_NS5tupleIffNS6_9null_typeES8_S8_S8_S8_S8_S8_S8_EEEEZZNS1_29radix_sort_onesweep_iterationIS3_Lb0ENS6_6detail15normal_iteratorINS6_10device_ptrIjEEEESG_NSD_INSE_IS9_EEEESI_jNS0_19identity_decomposerENS1_16block_id_wrapperIjLb0EEEEE10hipError_tT1_PNSt15iterator_traitsISN_E10value_typeET2_T3_PNSO_IST_E10value_typeET4_T5_PSY_SZ_PNS1_23onesweep_lookback_stateEbbT6_jjT7_P12ihipStream_tbENKUlT_T0_SN_SS_E_clIPjSG_PS9_SI_EEDaS16_S17_SN_SS_EUlS16_E_NS1_11comp_targetILNS1_3genE9ELNS1_11target_archE1100ELNS1_3gpuE3ELNS1_3repE0EEENS1_47radix_sort_onesweep_sort_config_static_selectorELNS0_4arch9wavefront6targetE0EEEvSN_.has_dyn_sized_stack, 0
	.set _ZN7rocprim17ROCPRIM_400000_NS6detail17trampoline_kernelINS0_14default_configENS1_35radix_sort_onesweep_config_selectorIjN6thrust23THRUST_200600_302600_NS5tupleIffNS6_9null_typeES8_S8_S8_S8_S8_S8_S8_EEEEZZNS1_29radix_sort_onesweep_iterationIS3_Lb0ENS6_6detail15normal_iteratorINS6_10device_ptrIjEEEESG_NSD_INSE_IS9_EEEESI_jNS0_19identity_decomposerENS1_16block_id_wrapperIjLb0EEEEE10hipError_tT1_PNSt15iterator_traitsISN_E10value_typeET2_T3_PNSO_IST_E10value_typeET4_T5_PSY_SZ_PNS1_23onesweep_lookback_stateEbbT6_jjT7_P12ihipStream_tbENKUlT_T0_SN_SS_E_clIPjSG_PS9_SI_EEDaS16_S17_SN_SS_EUlS16_E_NS1_11comp_targetILNS1_3genE9ELNS1_11target_archE1100ELNS1_3gpuE3ELNS1_3repE0EEENS1_47radix_sort_onesweep_sort_config_static_selectorELNS0_4arch9wavefront6targetE0EEEvSN_.has_recursion, 0
	.set _ZN7rocprim17ROCPRIM_400000_NS6detail17trampoline_kernelINS0_14default_configENS1_35radix_sort_onesweep_config_selectorIjN6thrust23THRUST_200600_302600_NS5tupleIffNS6_9null_typeES8_S8_S8_S8_S8_S8_S8_EEEEZZNS1_29radix_sort_onesweep_iterationIS3_Lb0ENS6_6detail15normal_iteratorINS6_10device_ptrIjEEEESG_NSD_INSE_IS9_EEEESI_jNS0_19identity_decomposerENS1_16block_id_wrapperIjLb0EEEEE10hipError_tT1_PNSt15iterator_traitsISN_E10value_typeET2_T3_PNSO_IST_E10value_typeET4_T5_PSY_SZ_PNS1_23onesweep_lookback_stateEbbT6_jjT7_P12ihipStream_tbENKUlT_T0_SN_SS_E_clIPjSG_PS9_SI_EEDaS16_S17_SN_SS_EUlS16_E_NS1_11comp_targetILNS1_3genE9ELNS1_11target_archE1100ELNS1_3gpuE3ELNS1_3repE0EEENS1_47radix_sort_onesweep_sort_config_static_selectorELNS0_4arch9wavefront6targetE0EEEvSN_.has_indirect_call, 0
	.section	.AMDGPU.csdata,"",@progbits
; Kernel info:
; codeLenInByte = 0
; TotalNumSgprs: 0
; NumVgprs: 0
; ScratchSize: 0
; MemoryBound: 0
; FloatMode: 240
; IeeeMode: 1
; LDSByteSize: 0 bytes/workgroup (compile time only)
; SGPRBlocks: 0
; VGPRBlocks: 0
; NumSGPRsForWavesPerEU: 1
; NumVGPRsForWavesPerEU: 1
; Occupancy: 16
; WaveLimiterHint : 0
; COMPUTE_PGM_RSRC2:SCRATCH_EN: 0
; COMPUTE_PGM_RSRC2:USER_SGPR: 6
; COMPUTE_PGM_RSRC2:TRAP_HANDLER: 0
; COMPUTE_PGM_RSRC2:TGID_X_EN: 1
; COMPUTE_PGM_RSRC2:TGID_Y_EN: 0
; COMPUTE_PGM_RSRC2:TGID_Z_EN: 0
; COMPUTE_PGM_RSRC2:TIDIG_COMP_CNT: 0
	.section	.text._ZN7rocprim17ROCPRIM_400000_NS6detail17trampoline_kernelINS0_14default_configENS1_35radix_sort_onesweep_config_selectorIjN6thrust23THRUST_200600_302600_NS5tupleIffNS6_9null_typeES8_S8_S8_S8_S8_S8_S8_EEEEZZNS1_29radix_sort_onesweep_iterationIS3_Lb0ENS6_6detail15normal_iteratorINS6_10device_ptrIjEEEESG_NSD_INSE_IS9_EEEESI_jNS0_19identity_decomposerENS1_16block_id_wrapperIjLb0EEEEE10hipError_tT1_PNSt15iterator_traitsISN_E10value_typeET2_T3_PNSO_IST_E10value_typeET4_T5_PSY_SZ_PNS1_23onesweep_lookback_stateEbbT6_jjT7_P12ihipStream_tbENKUlT_T0_SN_SS_E_clIPjSG_PS9_SI_EEDaS16_S17_SN_SS_EUlS16_E_NS1_11comp_targetILNS1_3genE8ELNS1_11target_archE1030ELNS1_3gpuE2ELNS1_3repE0EEENS1_47radix_sort_onesweep_sort_config_static_selectorELNS0_4arch9wavefront6targetE0EEEvSN_,"axG",@progbits,_ZN7rocprim17ROCPRIM_400000_NS6detail17trampoline_kernelINS0_14default_configENS1_35radix_sort_onesweep_config_selectorIjN6thrust23THRUST_200600_302600_NS5tupleIffNS6_9null_typeES8_S8_S8_S8_S8_S8_S8_EEEEZZNS1_29radix_sort_onesweep_iterationIS3_Lb0ENS6_6detail15normal_iteratorINS6_10device_ptrIjEEEESG_NSD_INSE_IS9_EEEESI_jNS0_19identity_decomposerENS1_16block_id_wrapperIjLb0EEEEE10hipError_tT1_PNSt15iterator_traitsISN_E10value_typeET2_T3_PNSO_IST_E10value_typeET4_T5_PSY_SZ_PNS1_23onesweep_lookback_stateEbbT6_jjT7_P12ihipStream_tbENKUlT_T0_SN_SS_E_clIPjSG_PS9_SI_EEDaS16_S17_SN_SS_EUlS16_E_NS1_11comp_targetILNS1_3genE8ELNS1_11target_archE1030ELNS1_3gpuE2ELNS1_3repE0EEENS1_47radix_sort_onesweep_sort_config_static_selectorELNS0_4arch9wavefront6targetE0EEEvSN_,comdat
	.protected	_ZN7rocprim17ROCPRIM_400000_NS6detail17trampoline_kernelINS0_14default_configENS1_35radix_sort_onesweep_config_selectorIjN6thrust23THRUST_200600_302600_NS5tupleIffNS6_9null_typeES8_S8_S8_S8_S8_S8_S8_EEEEZZNS1_29radix_sort_onesweep_iterationIS3_Lb0ENS6_6detail15normal_iteratorINS6_10device_ptrIjEEEESG_NSD_INSE_IS9_EEEESI_jNS0_19identity_decomposerENS1_16block_id_wrapperIjLb0EEEEE10hipError_tT1_PNSt15iterator_traitsISN_E10value_typeET2_T3_PNSO_IST_E10value_typeET4_T5_PSY_SZ_PNS1_23onesweep_lookback_stateEbbT6_jjT7_P12ihipStream_tbENKUlT_T0_SN_SS_E_clIPjSG_PS9_SI_EEDaS16_S17_SN_SS_EUlS16_E_NS1_11comp_targetILNS1_3genE8ELNS1_11target_archE1030ELNS1_3gpuE2ELNS1_3repE0EEENS1_47radix_sort_onesweep_sort_config_static_selectorELNS0_4arch9wavefront6targetE0EEEvSN_ ; -- Begin function _ZN7rocprim17ROCPRIM_400000_NS6detail17trampoline_kernelINS0_14default_configENS1_35radix_sort_onesweep_config_selectorIjN6thrust23THRUST_200600_302600_NS5tupleIffNS6_9null_typeES8_S8_S8_S8_S8_S8_S8_EEEEZZNS1_29radix_sort_onesweep_iterationIS3_Lb0ENS6_6detail15normal_iteratorINS6_10device_ptrIjEEEESG_NSD_INSE_IS9_EEEESI_jNS0_19identity_decomposerENS1_16block_id_wrapperIjLb0EEEEE10hipError_tT1_PNSt15iterator_traitsISN_E10value_typeET2_T3_PNSO_IST_E10value_typeET4_T5_PSY_SZ_PNS1_23onesweep_lookback_stateEbbT6_jjT7_P12ihipStream_tbENKUlT_T0_SN_SS_E_clIPjSG_PS9_SI_EEDaS16_S17_SN_SS_EUlS16_E_NS1_11comp_targetILNS1_3genE8ELNS1_11target_archE1030ELNS1_3gpuE2ELNS1_3repE0EEENS1_47radix_sort_onesweep_sort_config_static_selectorELNS0_4arch9wavefront6targetE0EEEvSN_
	.globl	_ZN7rocprim17ROCPRIM_400000_NS6detail17trampoline_kernelINS0_14default_configENS1_35radix_sort_onesweep_config_selectorIjN6thrust23THRUST_200600_302600_NS5tupleIffNS6_9null_typeES8_S8_S8_S8_S8_S8_S8_EEEEZZNS1_29radix_sort_onesweep_iterationIS3_Lb0ENS6_6detail15normal_iteratorINS6_10device_ptrIjEEEESG_NSD_INSE_IS9_EEEESI_jNS0_19identity_decomposerENS1_16block_id_wrapperIjLb0EEEEE10hipError_tT1_PNSt15iterator_traitsISN_E10value_typeET2_T3_PNSO_IST_E10value_typeET4_T5_PSY_SZ_PNS1_23onesweep_lookback_stateEbbT6_jjT7_P12ihipStream_tbENKUlT_T0_SN_SS_E_clIPjSG_PS9_SI_EEDaS16_S17_SN_SS_EUlS16_E_NS1_11comp_targetILNS1_3genE8ELNS1_11target_archE1030ELNS1_3gpuE2ELNS1_3repE0EEENS1_47radix_sort_onesweep_sort_config_static_selectorELNS0_4arch9wavefront6targetE0EEEvSN_
	.p2align	8
	.type	_ZN7rocprim17ROCPRIM_400000_NS6detail17trampoline_kernelINS0_14default_configENS1_35radix_sort_onesweep_config_selectorIjN6thrust23THRUST_200600_302600_NS5tupleIffNS6_9null_typeES8_S8_S8_S8_S8_S8_S8_EEEEZZNS1_29radix_sort_onesweep_iterationIS3_Lb0ENS6_6detail15normal_iteratorINS6_10device_ptrIjEEEESG_NSD_INSE_IS9_EEEESI_jNS0_19identity_decomposerENS1_16block_id_wrapperIjLb0EEEEE10hipError_tT1_PNSt15iterator_traitsISN_E10value_typeET2_T3_PNSO_IST_E10value_typeET4_T5_PSY_SZ_PNS1_23onesweep_lookback_stateEbbT6_jjT7_P12ihipStream_tbENKUlT_T0_SN_SS_E_clIPjSG_PS9_SI_EEDaS16_S17_SN_SS_EUlS16_E_NS1_11comp_targetILNS1_3genE8ELNS1_11target_archE1030ELNS1_3gpuE2ELNS1_3repE0EEENS1_47radix_sort_onesweep_sort_config_static_selectorELNS0_4arch9wavefront6targetE0EEEvSN_,@function
_ZN7rocprim17ROCPRIM_400000_NS6detail17trampoline_kernelINS0_14default_configENS1_35radix_sort_onesweep_config_selectorIjN6thrust23THRUST_200600_302600_NS5tupleIffNS6_9null_typeES8_S8_S8_S8_S8_S8_S8_EEEEZZNS1_29radix_sort_onesweep_iterationIS3_Lb0ENS6_6detail15normal_iteratorINS6_10device_ptrIjEEEESG_NSD_INSE_IS9_EEEESI_jNS0_19identity_decomposerENS1_16block_id_wrapperIjLb0EEEEE10hipError_tT1_PNSt15iterator_traitsISN_E10value_typeET2_T3_PNSO_IST_E10value_typeET4_T5_PSY_SZ_PNS1_23onesweep_lookback_stateEbbT6_jjT7_P12ihipStream_tbENKUlT_T0_SN_SS_E_clIPjSG_PS9_SI_EEDaS16_S17_SN_SS_EUlS16_E_NS1_11comp_targetILNS1_3genE8ELNS1_11target_archE1030ELNS1_3gpuE2ELNS1_3repE0EEENS1_47radix_sort_onesweep_sort_config_static_selectorELNS0_4arch9wavefront6targetE0EEEvSN_: ; @_ZN7rocprim17ROCPRIM_400000_NS6detail17trampoline_kernelINS0_14default_configENS1_35radix_sort_onesweep_config_selectorIjN6thrust23THRUST_200600_302600_NS5tupleIffNS6_9null_typeES8_S8_S8_S8_S8_S8_S8_EEEEZZNS1_29radix_sort_onesweep_iterationIS3_Lb0ENS6_6detail15normal_iteratorINS6_10device_ptrIjEEEESG_NSD_INSE_IS9_EEEESI_jNS0_19identity_decomposerENS1_16block_id_wrapperIjLb0EEEEE10hipError_tT1_PNSt15iterator_traitsISN_E10value_typeET2_T3_PNSO_IST_E10value_typeET4_T5_PSY_SZ_PNS1_23onesweep_lookback_stateEbbT6_jjT7_P12ihipStream_tbENKUlT_T0_SN_SS_E_clIPjSG_PS9_SI_EEDaS16_S17_SN_SS_EUlS16_E_NS1_11comp_targetILNS1_3genE8ELNS1_11target_archE1030ELNS1_3gpuE2ELNS1_3repE0EEENS1_47radix_sort_onesweep_sort_config_static_selectorELNS0_4arch9wavefront6targetE0EEEvSN_
; %bb.0:
	s_clause 0x3
	s_load_dwordx4 s[28:31], s[4:5], 0x44
	s_load_dwordx8 s[16:23], s[4:5], 0x0
	s_load_dwordx4 s[24:27], s[4:5], 0x28
	s_load_dwordx2 s[14:15], s[4:5], 0x38
	v_mbcnt_lo_u32_b32 v18, -1, 0
	v_lshlrev_b32_e32 v17, 2, v0
	s_mov_b32 s0, -1
	s_waitcnt lgkmcnt(0)
	s_cmp_ge_u32 s6, s30
	s_cbranch_scc0 .LBB228_64
; %bb.1:
	s_load_dword s2, s[4:5], 0x20
	s_lshl_b32 s3, s30, 12
	s_lshl_b32 s30, s6, 12
	s_mov_b32 s31, 0
	v_and_b32_e32 v11, 0xf80, v17
	v_lshlrev_b32_e32 v3, 2, v18
	s_lshl_b64 s[0:1], s[30:31], 2
	v_mov_b32_e32 v12, -1
	v_mov_b32_e32 v13, -1
	v_lshlrev_b32_e32 v4, 2, v11
	v_or_b32_e32 v5, v18, v11
	s_waitcnt lgkmcnt(0)
	s_sub_i32 s33, s2, s3
	s_add_u32 s0, s16, s0
	s_addc_u32 s1, s17, s1
	v_add_co_u32 v3, s0, s0, v3
	v_add_co_ci_u32_e64 v6, null, s1, 0, s0
	v_cmp_gt_u32_e64 s1, s33, v5
	v_add_co_u32 v3, vcc_lo, v3, v4
	v_add_co_ci_u32_e64 v4, null, 0, v6, vcc_lo
	s_and_saveexec_b32 s0, s1
	s_cbranch_execz .LBB228_3
; %bb.2:
	global_load_dword v13, v[3:4], off
.LBB228_3:
	s_or_b32 exec_lo, exec_lo, s0
	v_or_b32_e32 v6, 32, v5
	v_cmp_gt_u32_e64 s2, s33, v6
	s_and_saveexec_b32 s0, s2
	s_cbranch_execz .LBB228_5
; %bb.4:
	global_load_dword v12, v[3:4], off offset:128
.LBB228_5:
	s_or_b32 exec_lo, exec_lo, s0
	v_or_b32_e32 v6, 64, v5
	v_mov_b32_e32 v14, -1
	v_mov_b32_e32 v15, -1
	v_cmp_gt_u32_e64 s0, s33, v6
	s_and_saveexec_b32 s3, s0
	s_cbranch_execz .LBB228_7
; %bb.6:
	global_load_dword v15, v[3:4], off offset:256
.LBB228_7:
	s_or_b32 exec_lo, exec_lo, s3
	v_or_b32_e32 v5, 0x60, v5
	v_cmp_gt_u32_e32 vcc_lo, s33, v5
	s_and_saveexec_b32 s3, vcc_lo
	s_cbranch_execz .LBB228_9
; %bb.8:
	global_load_dword v14, v[3:4], off offset:384
.LBB228_9:
	s_or_b32 exec_lo, exec_lo, s3
	s_clause 0x1
	s_load_dword s3, s[4:5], 0x64
	s_load_dword s13, s[4:5], 0x58
	s_add_u32 s7, s4, 0x58
	s_addc_u32 s9, s5, 0
	v_mov_b32_e32 v5, 0
	s_waitcnt vmcnt(0)
	v_lshrrev_b32_e32 v4, s28, v13
	s_waitcnt lgkmcnt(0)
	s_lshr_b32 s10, s3, 16
	s_cmp_lt_u32 s6, s13
	s_cselect_b32 s3, 12, 18
	s_add_u32 s8, s7, s3
	s_addc_u32 s9, s9, 0
	s_lshl_b32 s3, -1, s29
	global_load_ushort v3, v5, s[8:9]
	s_not_b32 s34, s3
	v_and_b32_e32 v6, s34, v4
	v_and_b32_e32 v4, 1, v6
	v_lshlrev_b32_e32 v7, 30, v6
	v_lshlrev_b32_e32 v8, 29, v6
	;; [unrolled: 1-line block ×4, first 2 shown]
	v_add_co_u32 v4, s3, v4, -1
	v_cndmask_b32_e64 v9, 0, 1, s3
	v_not_b32_e32 v20, v7
	v_cmp_gt_i32_e64 s7, 0, v7
	v_not_b32_e32 v7, v8
	v_lshlrev_b32_e32 v19, 26, v6
	v_cmp_ne_u32_e64 s3, 0, v9
	v_ashrrev_i32_e32 v20, 31, v20
	v_lshlrev_b32_e32 v9, 25, v6
	v_ashrrev_i32_e32 v7, 31, v7
	v_xor_b32_e32 v4, s3, v4
	v_cmp_gt_i32_e64 s3, 0, v8
	v_not_b32_e32 v8, v10
	v_xor_b32_e32 v20, s7, v20
	v_cmp_gt_i32_e64 s7, 0, v10
	v_and_b32_e32 v4, exec_lo, v4
	v_not_b32_e32 v10, v16
	v_ashrrev_i32_e32 v8, 31, v8
	v_xor_b32_e32 v7, s3, v7
	v_cmp_gt_i32_e64 s3, 0, v16
	v_and_b32_e32 v4, v4, v20
	v_not_b32_e32 v16, v19
	v_ashrrev_i32_e32 v10, 31, v10
	v_xor_b32_e32 v8, s7, v8
	v_cmp_gt_i32_e64 s7, 0, v19
	v_and_b32_e32 v4, v4, v7
	;; [unrolled: 5-line block ×3, first 2 shown]
	v_lshlrev_b32_e32 v8, 24, v6
	v_ashrrev_i32_e32 v7, 31, v7
	v_xor_b32_e32 v9, s7, v16
	v_mul_lo_u32 v6, 0x84, v6
	v_and_b32_e32 v4, v4, v10
	v_not_b32_e32 v10, v8
	v_xor_b32_e32 v7, s3, v7
	v_cmp_gt_i32_e64 s3, 0, v8
	v_mul_u32_u24_e32 v19, 36, v0
	v_and_b32_e32 v4, v4, v9
	v_mad_u32_u24 v9, v2, s10, v1
	v_ashrrev_i32_e32 v8, 31, v10
	ds_write2_b32 v19, v5, v5 offset0:32 offset1:33
	v_and_b32_e32 v7, v4, v7
	ds_write2_b32 v19, v5, v5 offset0:34 offset1:35
	ds_write2_b32 v19, v5, v5 offset0:36 offset1:37
	;; [unrolled: 1-line block ×3, first 2 shown]
	ds_write_b32 v19, v5 offset:160
	s_waitcnt vmcnt(0) lgkmcnt(0)
	s_barrier
	buffer_gl0_inv
	; wave barrier
	v_mad_u64_u32 v[3:4], null, v9, v3, v[0:1]
	v_xor_b32_e32 v4, s3, v8
	v_and_b32_e32 v4, v7, v4
	v_lshrrev_b32_e32 v3, 3, v3
	v_mbcnt_lo_u32_b32 v16, v4, 0
	v_and_b32_e32 v3, 0x1ffffffc, v3
	v_cmp_ne_u32_e64 s7, 0, v4
	v_cmp_eq_u32_e64 s3, 0, v16
	v_add_nc_u32_e32 v20, v3, v6
	s_and_b32 s7, s7, s3
	s_and_saveexec_b32 s3, s7
; %bb.10:
	v_bcnt_u32_b32 v4, v4, 0
	ds_write_b32 v20, v4 offset:128
; %bb.11:
	s_or_b32 exec_lo, exec_lo, s3
	v_lshrrev_b32_e32 v4, s28, v12
	; wave barrier
	v_and_b32_e32 v4, s34, v4
	v_and_b32_e32 v6, 1, v4
	v_lshlrev_b32_e32 v7, 30, v4
	v_lshlrev_b32_e32 v8, 29, v4
	;; [unrolled: 1-line block ×4, first 2 shown]
	v_add_co_u32 v6, s3, v6, -1
	v_cndmask_b32_e64 v10, 0, 1, s3
	v_not_b32_e32 v24, v7
	v_cmp_gt_i32_e64 s7, 0, v7
	v_not_b32_e32 v7, v8
	v_lshlrev_b32_e32 v22, 26, v4
	v_cmp_ne_u32_e64 s3, 0, v10
	v_ashrrev_i32_e32 v10, 31, v24
	v_lshlrev_b32_e32 v23, 25, v4
	v_ashrrev_i32_e32 v7, 31, v7
	v_mul_lo_u32 v5, 0x84, v4
	v_xor_b32_e32 v6, s3, v6
	v_cmp_gt_i32_e64 s3, 0, v8
	v_not_b32_e32 v8, v9
	v_xor_b32_e32 v10, s7, v10
	v_cmp_gt_i32_e64 s7, 0, v9
	v_and_b32_e32 v6, exec_lo, v6
	v_not_b32_e32 v9, v21
	v_ashrrev_i32_e32 v8, 31, v8
	v_xor_b32_e32 v7, s3, v7
	v_cmp_gt_i32_e64 s3, 0, v21
	v_and_b32_e32 v6, v6, v10
	v_not_b32_e32 v10, v22
	v_ashrrev_i32_e32 v9, 31, v9
	v_xor_b32_e32 v8, s7, v8
	v_lshlrev_b32_e32 v4, 24, v4
	v_and_b32_e32 v6, v6, v7
	v_cmp_gt_i32_e64 s7, 0, v22
	v_not_b32_e32 v7, v23
	v_ashrrev_i32_e32 v10, 31, v10
	v_xor_b32_e32 v9, s3, v9
	v_and_b32_e32 v6, v6, v8
	v_cmp_gt_i32_e64 s3, 0, v23
	v_not_b32_e32 v8, v4
	v_ashrrev_i32_e32 v7, 31, v7
	v_xor_b32_e32 v10, s7, v10
	v_and_b32_e32 v6, v6, v9
	v_cmp_gt_i32_e64 s7, 0, v4
	v_ashrrev_i32_e32 v4, 31, v8
	v_xor_b32_e32 v7, s3, v7
	v_add_nc_u32_e32 v23, v3, v5
	v_and_b32_e32 v6, v6, v10
	v_xor_b32_e32 v4, s7, v4
	ds_read_b32 v21, v23 offset:128
	v_and_b32_e32 v5, v6, v7
	; wave barrier
	v_and_b32_e32 v4, v5, v4
	v_mbcnt_lo_u32_b32 v22, v4, 0
	v_cmp_ne_u32_e64 s7, 0, v4
	v_cmp_eq_u32_e64 s3, 0, v22
	s_and_b32 s7, s7, s3
	s_and_saveexec_b32 s3, s7
	s_cbranch_execz .LBB228_13
; %bb.12:
	s_waitcnt lgkmcnt(0)
	v_bcnt_u32_b32 v4, v4, v21
	ds_write_b32 v23, v4 offset:128
.LBB228_13:
	s_or_b32 exec_lo, exec_lo, s3
	v_lshrrev_b32_e32 v4, s28, v15
	; wave barrier
	v_and_b32_e32 v4, s34, v4
	v_and_b32_e32 v6, 1, v4
	v_lshlrev_b32_e32 v7, 30, v4
	v_lshlrev_b32_e32 v8, 29, v4
	;; [unrolled: 1-line block ×4, first 2 shown]
	v_add_co_u32 v6, s3, v6, -1
	v_cndmask_b32_e64 v10, 0, 1, s3
	v_not_b32_e32 v27, v7
	v_cmp_gt_i32_e64 s7, 0, v7
	v_not_b32_e32 v7, v8
	v_lshlrev_b32_e32 v25, 26, v4
	v_cmp_ne_u32_e64 s3, 0, v10
	v_ashrrev_i32_e32 v10, 31, v27
	v_lshlrev_b32_e32 v26, 25, v4
	v_ashrrev_i32_e32 v7, 31, v7
	v_mul_lo_u32 v5, 0x84, v4
	v_xor_b32_e32 v6, s3, v6
	v_cmp_gt_i32_e64 s3, 0, v8
	v_not_b32_e32 v8, v9
	v_xor_b32_e32 v10, s7, v10
	v_cmp_gt_i32_e64 s7, 0, v9
	v_and_b32_e32 v6, exec_lo, v6
	v_not_b32_e32 v9, v24
	v_ashrrev_i32_e32 v8, 31, v8
	v_xor_b32_e32 v7, s3, v7
	v_cmp_gt_i32_e64 s3, 0, v24
	v_and_b32_e32 v6, v6, v10
	v_not_b32_e32 v10, v25
	v_ashrrev_i32_e32 v9, 31, v9
	v_xor_b32_e32 v8, s7, v8
	v_lshlrev_b32_e32 v4, 24, v4
	v_and_b32_e32 v6, v6, v7
	v_cmp_gt_i32_e64 s7, 0, v25
	v_not_b32_e32 v7, v26
	v_ashrrev_i32_e32 v10, 31, v10
	v_xor_b32_e32 v9, s3, v9
	v_and_b32_e32 v6, v6, v8
	v_cmp_gt_i32_e64 s3, 0, v26
	v_not_b32_e32 v8, v4
	v_ashrrev_i32_e32 v7, 31, v7
	v_xor_b32_e32 v10, s7, v10
	v_and_b32_e32 v6, v6, v9
	v_cmp_gt_i32_e64 s7, 0, v4
	v_ashrrev_i32_e32 v4, 31, v8
	v_xor_b32_e32 v7, s3, v7
	v_add_nc_u32_e32 v24, v3, v5
	v_and_b32_e32 v6, v6, v10
	v_xor_b32_e32 v4, s7, v4
	ds_read_b32 v25, v24 offset:128
	v_and_b32_e32 v5, v6, v7
	; wave barrier
	v_and_b32_e32 v4, v5, v4
	v_mbcnt_lo_u32_b32 v26, v4, 0
	v_cmp_ne_u32_e64 s7, 0, v4
	v_cmp_eq_u32_e64 s3, 0, v26
	s_and_b32 s7, s7, s3
	s_and_saveexec_b32 s3, s7
	s_cbranch_execz .LBB228_15
; %bb.14:
	s_waitcnt lgkmcnt(0)
	v_bcnt_u32_b32 v4, v4, v25
	ds_write_b32 v24, v4 offset:128
.LBB228_15:
	s_or_b32 exec_lo, exec_lo, s3
	v_lshrrev_b32_e32 v4, s28, v14
	; wave barrier
	v_and_b32_e32 v4, s34, v4
	v_and_b32_e32 v6, 1, v4
	v_lshlrev_b32_e32 v7, 30, v4
	v_lshlrev_b32_e32 v8, 29, v4
	v_lshlrev_b32_e32 v9, 28, v4
	v_lshlrev_b32_e32 v27, 27, v4
	v_add_co_u32 v6, s3, v6, -1
	v_cndmask_b32_e64 v10, 0, 1, s3
	v_not_b32_e32 v30, v7
	v_cmp_gt_i32_e64 s7, 0, v7
	v_not_b32_e32 v7, v8
	v_lshlrev_b32_e32 v28, 26, v4
	v_cmp_ne_u32_e64 s3, 0, v10
	v_ashrrev_i32_e32 v10, 31, v30
	v_lshlrev_b32_e32 v29, 25, v4
	v_ashrrev_i32_e32 v7, 31, v7
	v_mul_lo_u32 v5, 0x84, v4
	v_xor_b32_e32 v6, s3, v6
	v_cmp_gt_i32_e64 s3, 0, v8
	v_not_b32_e32 v8, v9
	v_xor_b32_e32 v10, s7, v10
	v_cmp_gt_i32_e64 s7, 0, v9
	v_and_b32_e32 v6, exec_lo, v6
	v_not_b32_e32 v9, v27
	v_ashrrev_i32_e32 v8, 31, v8
	v_xor_b32_e32 v7, s3, v7
	v_cmp_gt_i32_e64 s3, 0, v27
	v_and_b32_e32 v6, v6, v10
	v_not_b32_e32 v10, v28
	v_ashrrev_i32_e32 v9, 31, v9
	v_xor_b32_e32 v8, s7, v8
	v_lshlrev_b32_e32 v4, 24, v4
	v_and_b32_e32 v6, v6, v7
	v_cmp_gt_i32_e64 s7, 0, v28
	v_not_b32_e32 v7, v29
	v_ashrrev_i32_e32 v10, 31, v10
	v_xor_b32_e32 v9, s3, v9
	v_and_b32_e32 v6, v6, v8
	v_cmp_gt_i32_e64 s3, 0, v29
	v_not_b32_e32 v8, v4
	v_ashrrev_i32_e32 v7, 31, v7
	v_xor_b32_e32 v10, s7, v10
	v_and_b32_e32 v6, v6, v9
	v_cmp_gt_i32_e64 s7, 0, v4
	v_ashrrev_i32_e32 v4, 31, v8
	v_xor_b32_e32 v7, s3, v7
	v_add_nc_u32_e32 v29, v3, v5
	v_and_b32_e32 v6, v6, v10
	v_xor_b32_e32 v3, s7, v4
	ds_read_b32 v27, v29 offset:128
	v_and_b32_e32 v4, v6, v7
	; wave barrier
	v_and_b32_e32 v3, v4, v3
	v_mbcnt_lo_u32_b32 v28, v3, 0
	v_cmp_ne_u32_e64 s7, 0, v3
	v_cmp_eq_u32_e64 s3, 0, v28
	s_and_b32 s7, s7, s3
	s_and_saveexec_b32 s3, s7
	s_cbranch_execz .LBB228_17
; %bb.16:
	s_waitcnt lgkmcnt(0)
	v_bcnt_u32_b32 v3, v3, v27
	ds_write_b32 v29, v3 offset:128
.LBB228_17:
	s_or_b32 exec_lo, exec_lo, s3
	; wave barrier
	s_waitcnt lgkmcnt(0)
	s_barrier
	buffer_gl0_inv
	ds_read2_b32 v[9:10], v19 offset0:32 offset1:33
	ds_read2_b32 v[7:8], v19 offset0:34 offset1:35
	;; [unrolled: 1-line block ×4, first 2 shown]
	ds_read_b32 v30, v19 offset:160
	v_and_b32_e32 v33, 16, v18
	v_and_b32_e32 v34, 31, v0
	s_mov_b32 s12, exec_lo
	v_cmp_eq_u32_e64 s10, 0, v33
	s_waitcnt lgkmcnt(3)
	v_add3_u32 v31, v10, v9, v7
	s_waitcnt lgkmcnt(2)
	v_add3_u32 v31, v31, v8, v5
	;; [unrolled: 2-line block ×4, first 2 shown]
	v_and_b32_e32 v31, 15, v18
	v_mov_b32_dpp v32, v30 row_shr:1 row_mask:0xf bank_mask:0xf
	v_cmp_eq_u32_e64 s3, 0, v31
	v_cmp_lt_u32_e64 s7, 1, v31
	v_cmp_lt_u32_e64 s8, 3, v31
	;; [unrolled: 1-line block ×3, first 2 shown]
	v_cndmask_b32_e64 v32, v32, 0, s3
	v_add_nc_u32_e32 v30, v32, v30
	v_mov_b32_dpp v32, v30 row_shr:2 row_mask:0xf bank_mask:0xf
	v_cndmask_b32_e64 v32, 0, v32, s7
	v_add_nc_u32_e32 v30, v30, v32
	v_mov_b32_dpp v32, v30 row_shr:4 row_mask:0xf bank_mask:0xf
	;; [unrolled: 3-line block ×3, first 2 shown]
	v_cndmask_b32_e64 v31, 0, v32, s9
	v_bfe_i32 v32, v18, 4, 1
	v_add_nc_u32_e32 v30, v30, v31
	ds_swizzle_b32 v31, v30 offset:swizzle(BROADCAST,32,15)
	s_waitcnt lgkmcnt(0)
	v_and_b32_e32 v32, v32, v31
	v_lshrrev_b32_e32 v31, 5, v0
	v_add_nc_u32_e32 v30, v30, v32
	v_cmpx_eq_u32_e32 31, v34
; %bb.18:
	v_lshlrev_b32_e32 v32, 2, v31
	ds_write_b32 v32, v30
; %bb.19:
	s_or_b32 exec_lo, exec_lo, s12
	v_cmp_lt_u32_e64 s11, 31, v0
	s_mov_b32 s35, exec_lo
	s_waitcnt lgkmcnt(0)
	s_barrier
	buffer_gl0_inv
	v_cmpx_gt_u32_e32 32, v0
	s_cbranch_execz .LBB228_21
; %bb.20:
	ds_read_b32 v32, v17
	s_waitcnt lgkmcnt(0)
	v_mov_b32_dpp v33, v32 row_shr:1 row_mask:0xf bank_mask:0xf
	v_cndmask_b32_e64 v33, v33, 0, s3
	v_add_nc_u32_e32 v32, v33, v32
	v_mov_b32_dpp v33, v32 row_shr:2 row_mask:0xf bank_mask:0xf
	v_cndmask_b32_e64 v33, 0, v33, s7
	v_add_nc_u32_e32 v32, v32, v33
	;; [unrolled: 3-line block ×4, first 2 shown]
	ds_swizzle_b32 v33, v32 offset:swizzle(BROADCAST,32,15)
	s_waitcnt lgkmcnt(0)
	v_cndmask_b32_e64 v33, v33, 0, s10
	v_add_nc_u32_e32 v32, v32, v33
	ds_write_b32 v17, v32
.LBB228_21:
	s_or_b32 exec_lo, exec_lo, s35
	v_mov_b32_e32 v32, 0
	s_waitcnt lgkmcnt(0)
	s_barrier
	buffer_gl0_inv
	s_and_saveexec_b32 s3, s11
; %bb.22:
	v_lshl_add_u32 v31, v31, 2, -4
	ds_read_b32 v32, v31
; %bb.23:
	s_or_b32 exec_lo, exec_lo, s3
	v_sub_co_u32 v31, s3, v18, 1
	s_waitcnt lgkmcnt(0)
	v_add_nc_u32_e32 v30, v32, v30
	v_cmp_gt_i32_e64 s7, 0, v31
	v_cndmask_b32_e64 v31, v31, v18, s7
	v_cmp_gt_u32_e64 s7, 0x100, v0
	v_lshlrev_b32_e32 v31, 2, v31
	ds_bpermute_b32 v30, v31, v30
	s_waitcnt lgkmcnt(0)
	v_cndmask_b32_e64 v30, v30, v32, s3
	v_cmp_ne_u32_e64 s3, 0, v0
	v_cndmask_b32_e64 v30, 0, v30, s3
	v_cmp_lt_u32_e64 s3, 0xff, v0
	v_add_nc_u32_e32 v9, v30, v9
	v_add_nc_u32_e32 v10, v9, v10
	;; [unrolled: 1-line block ×8, first 2 shown]
	ds_write2_b32 v19, v30, v9 offset0:32 offset1:33
	ds_write2_b32 v19, v10, v7 offset0:34 offset1:35
	;; [unrolled: 1-line block ×4, first 2 shown]
	ds_write_b32 v19, v4 offset:160
	s_waitcnt lgkmcnt(0)
	s_barrier
	buffer_gl0_inv
	ds_read_b32 v3, v20 offset:128
	ds_read_b32 v4, v23 offset:128
	;; [unrolled: 1-line block ×4, first 2 shown]
                                        ; implicit-def: $vgpr19
                                        ; implicit-def: $vgpr20
	s_and_saveexec_b32 s9, s7
	s_cbranch_execz .LBB228_27
; %bb.24:
	v_mul_u32_u24_e32 v7, 0x84, v0
	v_add_nc_u32_e32 v8, 1, v0
	s_mov_b32 s10, exec_lo
	ds_read_b32 v19, v7 offset:128
	v_mov_b32_e32 v7, 0x1000
	v_cmpx_ne_u32_e32 0x100, v8
; %bb.25:
	v_mul_u32_u24_e32 v7, 0x84, v8
	ds_read_b32 v7, v7 offset:128
; %bb.26:
	s_or_b32 exec_lo, exec_lo, s10
	s_waitcnt lgkmcnt(0)
	v_sub_nc_u32_e32 v20, v7, v19
.LBB228_27:
	s_or_b32 exec_lo, exec_lo, s9
	s_waitcnt lgkmcnt(3)
	v_add_nc_u32_e32 v24, v3, v16
	s_waitcnt lgkmcnt(2)
	v_add3_u32 v23, v22, v21, v4
	s_waitcnt lgkmcnt(1)
	v_add3_u32 v22, v26, v25, v5
	;; [unrolled: 2-line block ×3, first 2 shown]
	v_mov_b32_e32 v4, 0
	v_lshlrev_b32_e32 v3, 2, v24
	v_lshlrev_b32_e32 v5, 2, v23
	;; [unrolled: 1-line block ×4, first 2 shown]
	s_barrier
	buffer_gl0_inv
	ds_write_b32 v3, v13 offset:1024
	ds_write_b32 v5, v12 offset:1024
	;; [unrolled: 1-line block ×4, first 2 shown]
	s_and_saveexec_b32 s8, s7
	s_cbranch_execz .LBB228_37
; %bb.28:
	v_lshl_add_u32 v3, s6, 8, v0
	v_mov_b32_e32 v9, 0
	s_mov_b32 s9, 0
	s_mov_b32 s10, s6
	v_lshlrev_b64 v[5:6], 2, v[3:4]
	v_or_b32_e32 v3, 2.0, v20
	v_add_co_u32 v5, s7, s14, v5
	v_add_co_ci_u32_e64 v6, null, s15, v6, s7
                                        ; implicit-def: $sgpr7
	global_store_dword v[5:6], v3, off
	s_branch .LBB228_31
	.p2align	6
.LBB228_29:                             ;   in Loop: Header=BB228_31 Depth=1
	s_or_b32 exec_lo, exec_lo, s12
.LBB228_30:                             ;   in Loop: Header=BB228_31 Depth=1
	s_or_b32 exec_lo, exec_lo, s11
	v_and_b32_e32 v7, 0x3fffffff, v3
	v_cmp_gt_i32_e64 s7, -2.0, v3
	v_add_nc_u32_e32 v9, v7, v9
	s_and_b32 s11, exec_lo, s7
	s_or_b32 s9, s11, s9
	s_andn2_b32 exec_lo, exec_lo, s9
	s_cbranch_execz .LBB228_36
.LBB228_31:                             ; =>This Loop Header: Depth=1
                                        ;     Child Loop BB228_34 Depth 2
	s_or_b32 s7, s7, exec_lo
	s_cmp_eq_u32 s10, 0
	s_cbranch_scc1 .LBB228_35
; %bb.32:                               ;   in Loop: Header=BB228_31 Depth=1
	s_add_i32 s10, s10, -1
	s_mov_b32 s11, exec_lo
	v_lshl_or_b32 v3, s10, 8, v0
	v_lshlrev_b64 v[7:8], 2, v[3:4]
	v_add_co_u32 v7, s7, s14, v7
	v_add_co_ci_u32_e64 v8, null, s15, v8, s7
	global_load_dword v3, v[7:8], off glc dlc
	s_waitcnt vmcnt(0)
	v_cmpx_gt_u32_e32 2.0, v3
	s_cbranch_execz .LBB228_30
; %bb.33:                               ;   in Loop: Header=BB228_31 Depth=1
	s_mov_b32 s12, 0
.LBB228_34:                             ;   Parent Loop BB228_31 Depth=1
                                        ; =>  This Inner Loop Header: Depth=2
	global_load_dword v3, v[7:8], off glc dlc
	s_waitcnt vmcnt(0)
	v_cmp_lt_u32_e64 s7, 0x3fffffff, v3
	s_or_b32 s12, s7, s12
	s_andn2_b32 exec_lo, exec_lo, s12
	s_cbranch_execnz .LBB228_34
	s_branch .LBB228_29
.LBB228_35:                             ;   in Loop: Header=BB228_31 Depth=1
                                        ; implicit-def: $sgpr10
	s_and_b32 s11, exec_lo, s7
	s_or_b32 s9, s11, s9
	s_andn2_b32 exec_lo, exec_lo, s9
	s_cbranch_execnz .LBB228_31
.LBB228_36:
	s_or_b32 exec_lo, exec_lo, s9
	v_add_nc_u32_e32 v3, v9, v20
	v_sub_nc_u32_e32 v4, v9, v19
	v_or_b32_e32 v3, 0x80000000, v3
	global_store_dword v[5:6], v3, off
	global_load_dword v3, v17, s[24:25]
	s_waitcnt vmcnt(0)
	v_add_nc_u32_e32 v3, v4, v3
	ds_write_b32 v17, v3
.LBB228_37:
	s_or_b32 exec_lo, exec_lo, s8
	v_mov_b32_e32 v3, 0
	v_cmp_gt_u32_e64 s7, s33, v0
	s_waitcnt lgkmcnt(0)
	s_waitcnt_vscnt null, 0x0
	s_barrier
	buffer_gl0_inv
	v_mov_b32_e32 v4, v3
	v_mov_b32_e32 v5, v3
	;; [unrolled: 1-line block ×3, first 2 shown]
	s_and_saveexec_b32 s9, s7
	s_cbranch_execz .LBB228_39
; %bb.38:
	ds_read_b32 v10, v17 offset:1024
	v_mov_b32_e32 v6, v3
	v_mov_b32_e32 v7, v3
	s_waitcnt lgkmcnt(0)
	v_lshrrev_b32_e32 v4, s28, v10
	v_and_b32_e32 v4, s34, v4
	v_lshlrev_b32_e32 v5, 2, v4
	ds_read_b32 v5, v5
	s_waitcnt lgkmcnt(0)
	v_add_nc_u32_e32 v5, v5, v0
	v_lshlrev_b64 v[8:9], 2, v[5:6]
	v_mov_b32_e32 v5, v3
	v_mov_b32_e32 v3, v4
	;; [unrolled: 1-line block ×5, first 2 shown]
	v_add_co_u32 v8, s8, s18, v8
	v_add_co_ci_u32_e64 v9, null, s19, v9, s8
	global_store_dword v[8:9], v10, off
.LBB228_39:
	s_or_b32 exec_lo, exec_lo, s9
	v_or_b32_e32 v25, 0x400, v0
	v_cmp_gt_u32_e64 s8, s33, v25
	s_and_saveexec_b32 s10, s8
	s_cbranch_execz .LBB228_41
; %bb.40:
	ds_read_b32 v9, v17 offset:5120
	v_mov_b32_e32 v8, 0
	s_waitcnt lgkmcnt(0)
	v_lshrrev_b32_e32 v4, s28, v9
	v_and_b32_e32 v4, s34, v4
	v_lshlrev_b32_e32 v7, 2, v4
	ds_read_b32 v7, v7
	s_waitcnt lgkmcnt(0)
	v_add_nc_u32_e32 v7, v7, v25
	v_lshlrev_b64 v[7:8], 2, v[7:8]
	v_add_co_u32 v7, s9, s18, v7
	v_add_co_ci_u32_e64 v8, null, s19, v8, s9
	global_store_dword v[7:8], v9, off
.LBB228_41:
	s_or_b32 exec_lo, exec_lo, s10
	v_or_b32_e32 v26, 0x800, v0
	v_cmp_gt_u32_e64 s9, s33, v26
	s_and_saveexec_b32 s11, s9
	s_cbranch_execz .LBB228_43
; %bb.42:
	ds_read_b32 v9, v17 offset:9216
	v_mov_b32_e32 v8, 0
	s_waitcnt lgkmcnt(0)
	v_lshrrev_b32_e32 v5, s28, v9
	v_and_b32_e32 v5, s34, v5
	v_lshlrev_b32_e32 v7, 2, v5
	ds_read_b32 v7, v7
	s_waitcnt lgkmcnt(0)
	v_add_nc_u32_e32 v7, v7, v26
	v_lshlrev_b64 v[7:8], 2, v[7:8]
	v_add_co_u32 v7, s10, s18, v7
	v_add_co_ci_u32_e64 v8, null, s19, v8, s10
	global_store_dword v[7:8], v9, off
.LBB228_43:
	;; [unrolled: 20-line block ×3, first 2 shown]
	s_or_b32 exec_lo, exec_lo, s12
	v_lshlrev_b32_e32 v7, 3, v18
	s_lshl_b64 s[30:31], s[30:31], 3
	v_lshlrev_b32_e32 v9, 3, v11
	s_add_u32 s11, s20, s30
	s_addc_u32 s12, s21, s31
	v_add_co_u32 v7, s11, s11, v7
	v_add_co_ci_u32_e64 v10, null, s12, 0, s11
	v_mov_b32_e32 v8, 0
	v_add_co_u32 v13, s11, v7, v9
	v_add_co_ci_u32_e64 v14, null, 0, v10, s11
	v_mov_b32_e32 v10, 0
	v_mov_b32_e32 v9, 0
	s_and_saveexec_b32 s11, s1
	s_cbranch_execz .LBB228_47
; %bb.46:
	global_load_dwordx2 v[9:10], v[13:14], off
.LBB228_47:
	s_or_b32 exec_lo, exec_lo, s11
	v_mov_b32_e32 v7, 0
	s_and_saveexec_b32 s1, s2
	s_cbranch_execz .LBB228_49
; %bb.48:
	global_load_dwordx2 v[7:8], v[13:14], off offset:256
.LBB228_49:
	s_or_b32 exec_lo, exec_lo, s1
	v_mov_b32_e32 v12, 0
	v_mov_b32_e32 v16, 0
	;; [unrolled: 1-line block ×3, first 2 shown]
	s_and_saveexec_b32 s1, s0
	s_cbranch_execz .LBB228_51
; %bb.50:
	global_load_dwordx2 v[15:16], v[13:14], off offset:512
.LBB228_51:
	s_or_b32 exec_lo, exec_lo, s1
	v_mov_b32_e32 v11, 0
	s_and_saveexec_b32 s0, vcc_lo
	s_cbranch_execz .LBB228_53
; %bb.52:
	global_load_dwordx2 v[11:12], v[13:14], off offset:768
.LBB228_53:
	s_or_b32 exec_lo, exec_lo, s0
	v_min_u32_e32 v13, 0x1000, v24
	v_min_u32_e32 v14, 0x1000, v23
	;; [unrolled: 1-line block ×4, first 2 shown]
	s_waitcnt vmcnt(0)
	s_waitcnt_vscnt null, 0x0
	v_lshlrev_b32_e32 v13, 3, v13
	v_lshlrev_b32_e32 v14, 3, v14
	;; [unrolled: 1-line block ×3, first 2 shown]
	s_barrier
	buffer_gl0_inv
	v_lshlrev_b32_e32 v21, 3, v21
	ds_write_b64 v13, v[9:10] offset:1024
	ds_write_b64 v14, v[7:8] offset:1024
	;; [unrolled: 1-line block ×3, first 2 shown]
	v_lshlrev_b32_e32 v7, 3, v0
	ds_write_b64 v21, v[11:12] offset:1024
	s_waitcnt lgkmcnt(0)
	s_barrier
	buffer_gl0_inv
	s_and_saveexec_b32 s0, s7
	s_cbranch_execz .LBB228_57
; %bb.54:
	v_lshlrev_b32_e32 v3, 2, v3
	v_mov_b32_e32 v11, 0
	ds_read_b32 v3, v3
	ds_read_b64 v[8:9], v7 offset:1024
	s_waitcnt lgkmcnt(1)
	v_add_nc_u32_e32 v10, v3, v0
	v_lshlrev_b64 v[10:11], 3, v[10:11]
	v_add_co_u32 v10, vcc_lo, s22, v10
	v_add_co_ci_u32_e64 v11, null, s23, v11, vcc_lo
	s_waitcnt lgkmcnt(0)
	global_store_dwordx2 v[10:11], v[8:9], off
	s_or_b32 exec_lo, exec_lo, s0
	s_and_saveexec_b32 s0, s8
	s_cbranch_execnz .LBB228_58
.LBB228_55:
	s_or_b32 exec_lo, exec_lo, s0
	s_and_saveexec_b32 s0, s9
	s_cbranch_execz .LBB228_59
.LBB228_56:
	v_lshlrev_b32_e32 v3, 2, v5
	v_mov_b32_e32 v9, 0
	ds_read_b32 v5, v3
	ds_read_b64 v[3:4], v7 offset:17408
	s_waitcnt lgkmcnt(1)
	v_add_nc_u32_e32 v8, v5, v26
	v_lshlrev_b64 v[8:9], 3, v[8:9]
	v_add_co_u32 v8, vcc_lo, s22, v8
	v_add_co_ci_u32_e64 v9, null, s23, v9, vcc_lo
	s_waitcnt lgkmcnt(0)
	global_store_dwordx2 v[8:9], v[3:4], off
	s_or_b32 exec_lo, exec_lo, s0
	s_and_saveexec_b32 s0, s10
	s_cbranch_execnz .LBB228_60
	s_branch .LBB228_61
.LBB228_57:
	s_or_b32 exec_lo, exec_lo, s0
	s_and_saveexec_b32 s0, s8
	s_cbranch_execz .LBB228_55
.LBB228_58:
	v_lshlrev_b32_e32 v3, 2, v4
	v_mov_b32_e32 v9, 0
	ds_read_b32 v8, v3
	ds_read_b64 v[3:4], v7 offset:9216
	s_waitcnt lgkmcnt(1)
	v_add_nc_u32_e32 v8, v8, v25
	v_lshlrev_b64 v[8:9], 3, v[8:9]
	v_add_co_u32 v8, vcc_lo, s22, v8
	v_add_co_ci_u32_e64 v9, null, s23, v9, vcc_lo
	s_waitcnt lgkmcnt(0)
	global_store_dwordx2 v[8:9], v[3:4], off
	s_or_b32 exec_lo, exec_lo, s0
	s_and_saveexec_b32 s0, s9
	s_cbranch_execnz .LBB228_56
.LBB228_59:
	s_or_b32 exec_lo, exec_lo, s0
	s_and_saveexec_b32 s0, s10
	s_cbranch_execz .LBB228_61
.LBB228_60:
	v_lshlrev_b32_e32 v3, 2, v6
	v_mov_b32_e32 v6, 0
	ds_read_b32 v5, v3
	ds_read_b64 v[3:4], v7 offset:25600
	s_waitcnt lgkmcnt(1)
	v_add_nc_u32_e32 v5, v5, v27
	v_lshlrev_b64 v[5:6], 3, v[5:6]
	v_add_co_u32 v5, vcc_lo, s22, v5
	v_add_co_ci_u32_e64 v6, null, s23, v6, vcc_lo
	s_waitcnt lgkmcnt(0)
	global_store_dwordx2 v[5:6], v[3:4], off
.LBB228_61:
	s_or_b32 exec_lo, exec_lo, s0
	s_add_i32 s13, s13, -1
	s_cmp_eq_u32 s6, s13
	s_cselect_b32 s0, -1, 0
	s_xor_b32 s1, s3, -1
	s_and_b32 s1, s1, s0
	s_and_saveexec_b32 s0, s1
	s_cbranch_execz .LBB228_63
; %bb.62:
	ds_read_b32 v3, v17
	s_waitcnt lgkmcnt(0)
	v_add3_u32 v3, v19, v20, v3
	global_store_dword v17, v3, s[26:27]
.LBB228_63:
	s_or_b32 exec_lo, exec_lo, s0
	s_mov_b32 s0, 0
.LBB228_64:
	s_and_b32 vcc_lo, exec_lo, s0
	s_cbranch_vccz .LBB228_95
; %bb.65:
	s_lshl_b32 s8, s6, 12
	s_mov_b32 s9, 0
	v_and_b32_e32 v9, 0xf80, v17
	v_lshlrev_b32_e32 v3, 2, v18
	s_lshl_b64 s[0:1], s[8:9], 2
	s_add_u32 s0, s16, s0
	s_addc_u32 s1, s17, s1
	v_lshlrev_b32_e32 v4, 2, v9
	v_add_co_u32 v3, s0, s0, v3
	v_add_co_ci_u32_e64 v5, null, s1, 0, s0
	s_add_u32 s1, s4, 0x58
	v_add_co_u32 v3, vcc_lo, v3, v4
	v_add_co_ci_u32_e64 v4, null, 0, v5, vcc_lo
	s_addc_u32 s2, s5, 0
	v_mov_b32_e32 v5, 0
	global_load_dword v10, v[3:4], off
	s_clause 0x1
	s_load_dword s0, s[4:5], 0x64
	s_load_dword s7, s[4:5], 0x58
	s_waitcnt lgkmcnt(0)
	s_lshr_b32 s3, s0, 16
	s_cmp_lt_u32 s6, s7
	v_mad_u32_u24 v1, v2, s3, v1
	s_cselect_b32 s0, 12, 18
	s_add_u32 s0, s1, s0
	s_addc_u32 s1, s2, 0
	global_load_ushort v6, v5, s[0:1]
	s_clause 0x2
	global_load_dword v11, v[3:4], off offset:128
	global_load_dword v12, v[3:4], off offset:256
	;; [unrolled: 1-line block ×3, first 2 shown]
	s_lshl_b32 s0, -1, s29
	s_not_b32 s10, s0
	s_waitcnt vmcnt(4)
	v_lshrrev_b32_e32 v3, s28, v10
	v_and_b32_e32 v3, s10, v3
	v_and_b32_e32 v4, 1, v3
	v_lshlrev_b32_e32 v7, 30, v3
	v_lshlrev_b32_e32 v8, 29, v3
	v_lshlrev_b32_e32 v14, 28, v3
	v_lshlrev_b32_e32 v16, 27, v3
	v_add_co_u32 v4, s0, v4, -1
	v_cndmask_b32_e64 v15, 0, 1, s0
	v_not_b32_e32 v21, v7
	v_cmp_gt_i32_e64 s0, 0, v7
	v_not_b32_e32 v7, v8
	v_lshlrev_b32_e32 v19, 26, v3
	v_cmp_ne_u32_e32 vcc_lo, 0, v15
	v_ashrrev_i32_e32 v21, 31, v21
	v_lshlrev_b32_e32 v20, 25, v3
	v_ashrrev_i32_e32 v7, 31, v7
	v_lshlrev_b32_e32 v15, 24, v3
	v_xor_b32_e32 v4, vcc_lo, v4
	v_cmp_gt_i32_e32 vcc_lo, 0, v8
	v_not_b32_e32 v8, v14
	v_xor_b32_e32 v21, s0, v21
	v_cmp_gt_i32_e64 s0, 0, v14
	v_and_b32_e32 v4, exec_lo, v4
	v_not_b32_e32 v14, v16
	v_ashrrev_i32_e32 v8, 31, v8
	v_xor_b32_e32 v7, vcc_lo, v7
	v_cmp_gt_i32_e32 vcc_lo, 0, v16
	v_and_b32_e32 v4, v4, v21
	v_not_b32_e32 v16, v19
	v_ashrrev_i32_e32 v14, 31, v14
	v_xor_b32_e32 v8, s0, v8
	v_cmp_gt_i32_e64 s0, 0, v19
	v_and_b32_e32 v4, v4, v7
	v_not_b32_e32 v7, v20
	v_ashrrev_i32_e32 v16, 31, v16
	v_xor_b32_e32 v14, vcc_lo, v14
	v_cmp_gt_i32_e32 vcc_lo, 0, v20
	v_and_b32_e32 v4, v4, v8
	v_not_b32_e32 v8, v15
	v_ashrrev_i32_e32 v7, 31, v7
	v_xor_b32_e32 v16, s0, v16
	v_cmp_gt_i32_e64 s0, 0, v15
	v_and_b32_e32 v4, v4, v14
	v_ashrrev_i32_e32 v8, 31, v8
	v_xor_b32_e32 v7, vcc_lo, v7
	s_waitcnt vmcnt(3)
	v_mad_u64_u32 v[1:2], null, v1, v6, v[0:1]
	v_and_b32_e32 v4, v4, v16
	v_xor_b32_e32 v2, s0, v8
	v_mul_lo_u32 v3, 0x84, v3
	v_mul_u32_u24_e32 v15, 36, v0
	v_and_b32_e32 v4, v4, v7
	v_lshrrev_b32_e32 v1, 3, v1
	ds_write2_b32 v15, v5, v5 offset0:32 offset1:33
	ds_write2_b32 v15, v5, v5 offset0:34 offset1:35
	;; [unrolled: 1-line block ×3, first 2 shown]
	v_and_b32_e32 v2, v4, v2
	v_and_b32_e32 v1, 0x1ffffffc, v1
	ds_write2_b32 v15, v5, v5 offset0:38 offset1:39
	ds_write_b32 v15, v5 offset:160
	s_waitcnt vmcnt(0) lgkmcnt(0)
	s_waitcnt_vscnt null, 0x0
	s_barrier
	v_mbcnt_lo_u32_b32 v14, v2, 0
	v_cmp_ne_u32_e64 s0, 0, v2
	v_add_nc_u32_e32 v16, v1, v3
	buffer_gl0_inv
	v_cmp_eq_u32_e32 vcc_lo, 0, v14
	; wave barrier
	s_and_b32 s1, s0, vcc_lo
	s_and_saveexec_b32 s0, s1
; %bb.66:
	v_bcnt_u32_b32 v2, v2, 0
	ds_write_b32 v16, v2 offset:128
; %bb.67:
	s_or_b32 exec_lo, exec_lo, s0
	v_lshrrev_b32_e32 v2, s28, v11
	; wave barrier
	v_and_b32_e32 v2, s10, v2
	v_and_b32_e32 v4, 1, v2
	v_lshlrev_b32_e32 v5, 30, v2
	v_lshlrev_b32_e32 v6, 29, v2
	;; [unrolled: 1-line block ×4, first 2 shown]
	v_add_co_u32 v4, s0, v4, -1
	v_cndmask_b32_e64 v8, 0, 1, s0
	v_not_b32_e32 v22, v5
	v_cmp_gt_i32_e64 s0, 0, v5
	v_not_b32_e32 v5, v6
	v_lshlrev_b32_e32 v20, 26, v2
	v_cmp_ne_u32_e32 vcc_lo, 0, v8
	v_ashrrev_i32_e32 v8, 31, v22
	v_lshlrev_b32_e32 v21, 25, v2
	v_ashrrev_i32_e32 v5, 31, v5
	v_mul_lo_u32 v3, 0x84, v2
	v_xor_b32_e32 v4, vcc_lo, v4
	v_cmp_gt_i32_e32 vcc_lo, 0, v6
	v_not_b32_e32 v6, v7
	v_xor_b32_e32 v8, s0, v8
	v_cmp_gt_i32_e64 s0, 0, v7
	v_and_b32_e32 v4, exec_lo, v4
	v_not_b32_e32 v7, v19
	v_ashrrev_i32_e32 v6, 31, v6
	v_xor_b32_e32 v5, vcc_lo, v5
	v_cmp_gt_i32_e32 vcc_lo, 0, v19
	v_and_b32_e32 v4, v4, v8
	v_not_b32_e32 v8, v20
	v_ashrrev_i32_e32 v7, 31, v7
	v_xor_b32_e32 v6, s0, v6
	v_lshlrev_b32_e32 v2, 24, v2
	v_and_b32_e32 v4, v4, v5
	v_cmp_gt_i32_e64 s0, 0, v20
	v_not_b32_e32 v5, v21
	v_ashrrev_i32_e32 v8, 31, v8
	v_xor_b32_e32 v7, vcc_lo, v7
	v_and_b32_e32 v4, v4, v6
	v_cmp_gt_i32_e32 vcc_lo, 0, v21
	v_not_b32_e32 v6, v2
	v_ashrrev_i32_e32 v5, 31, v5
	v_xor_b32_e32 v8, s0, v8
	v_and_b32_e32 v4, v4, v7
	v_cmp_gt_i32_e64 s0, 0, v2
	v_ashrrev_i32_e32 v2, 31, v6
	v_xor_b32_e32 v5, vcc_lo, v5
	v_add_nc_u32_e32 v21, v1, v3
	v_and_b32_e32 v4, v4, v8
	v_xor_b32_e32 v2, s0, v2
	ds_read_b32 v19, v21 offset:128
	v_and_b32_e32 v3, v4, v5
	; wave barrier
	v_and_b32_e32 v2, v3, v2
	v_mbcnt_lo_u32_b32 v20, v2, 0
	v_cmp_ne_u32_e64 s0, 0, v2
	v_cmp_eq_u32_e32 vcc_lo, 0, v20
	s_and_b32 s1, s0, vcc_lo
	s_and_saveexec_b32 s0, s1
	s_cbranch_execz .LBB228_69
; %bb.68:
	s_waitcnt lgkmcnt(0)
	v_bcnt_u32_b32 v2, v2, v19
	ds_write_b32 v21, v2 offset:128
.LBB228_69:
	s_or_b32 exec_lo, exec_lo, s0
	v_lshrrev_b32_e32 v2, s28, v12
	; wave barrier
	v_and_b32_e32 v2, s10, v2
	v_and_b32_e32 v4, 1, v2
	v_lshlrev_b32_e32 v5, 30, v2
	v_lshlrev_b32_e32 v6, 29, v2
	;; [unrolled: 1-line block ×4, first 2 shown]
	v_add_co_u32 v4, s0, v4, -1
	v_cndmask_b32_e64 v8, 0, 1, s0
	v_not_b32_e32 v25, v5
	v_cmp_gt_i32_e64 s0, 0, v5
	v_not_b32_e32 v5, v6
	v_lshlrev_b32_e32 v23, 26, v2
	v_cmp_ne_u32_e32 vcc_lo, 0, v8
	v_ashrrev_i32_e32 v8, 31, v25
	v_lshlrev_b32_e32 v24, 25, v2
	v_ashrrev_i32_e32 v5, 31, v5
	v_mul_lo_u32 v3, 0x84, v2
	v_xor_b32_e32 v4, vcc_lo, v4
	v_cmp_gt_i32_e32 vcc_lo, 0, v6
	v_not_b32_e32 v6, v7
	v_xor_b32_e32 v8, s0, v8
	v_cmp_gt_i32_e64 s0, 0, v7
	v_and_b32_e32 v4, exec_lo, v4
	v_not_b32_e32 v7, v22
	v_ashrrev_i32_e32 v6, 31, v6
	v_xor_b32_e32 v5, vcc_lo, v5
	v_cmp_gt_i32_e32 vcc_lo, 0, v22
	v_and_b32_e32 v4, v4, v8
	v_not_b32_e32 v8, v23
	v_ashrrev_i32_e32 v7, 31, v7
	v_xor_b32_e32 v6, s0, v6
	v_lshlrev_b32_e32 v2, 24, v2
	v_and_b32_e32 v4, v4, v5
	v_cmp_gt_i32_e64 s0, 0, v23
	v_not_b32_e32 v5, v24
	v_ashrrev_i32_e32 v8, 31, v8
	v_xor_b32_e32 v7, vcc_lo, v7
	v_and_b32_e32 v4, v4, v6
	v_cmp_gt_i32_e32 vcc_lo, 0, v24
	v_not_b32_e32 v6, v2
	v_ashrrev_i32_e32 v5, 31, v5
	v_xor_b32_e32 v8, s0, v8
	v_and_b32_e32 v4, v4, v7
	v_cmp_gt_i32_e64 s0, 0, v2
	v_ashrrev_i32_e32 v2, 31, v6
	v_xor_b32_e32 v5, vcc_lo, v5
	v_add_nc_u32_e32 v24, v1, v3
	v_and_b32_e32 v4, v4, v8
	v_xor_b32_e32 v2, s0, v2
	ds_read_b32 v22, v24 offset:128
	v_and_b32_e32 v3, v4, v5
	; wave barrier
	v_and_b32_e32 v2, v3, v2
	v_mbcnt_lo_u32_b32 v23, v2, 0
	v_cmp_ne_u32_e64 s0, 0, v2
	v_cmp_eq_u32_e32 vcc_lo, 0, v23
	s_and_b32 s1, s0, vcc_lo
	s_and_saveexec_b32 s0, s1
	s_cbranch_execz .LBB228_71
; %bb.70:
	s_waitcnt lgkmcnt(0)
	v_bcnt_u32_b32 v2, v2, v22
	ds_write_b32 v24, v2 offset:128
.LBB228_71:
	s_or_b32 exec_lo, exec_lo, s0
	v_lshrrev_b32_e32 v2, s28, v13
	; wave barrier
	v_and_b32_e32 v2, s10, v2
	v_and_b32_e32 v4, 1, v2
	v_lshlrev_b32_e32 v5, 30, v2
	v_lshlrev_b32_e32 v6, 29, v2
	;; [unrolled: 1-line block ×4, first 2 shown]
	v_add_co_u32 v4, s0, v4, -1
	v_cndmask_b32_e64 v8, 0, 1, s0
	v_not_b32_e32 v28, v5
	v_cmp_gt_i32_e64 s0, 0, v5
	v_not_b32_e32 v5, v6
	v_lshlrev_b32_e32 v26, 26, v2
	v_cmp_ne_u32_e32 vcc_lo, 0, v8
	v_ashrrev_i32_e32 v8, 31, v28
	v_lshlrev_b32_e32 v27, 25, v2
	v_ashrrev_i32_e32 v5, 31, v5
	v_mul_lo_u32 v3, 0x84, v2
	v_xor_b32_e32 v4, vcc_lo, v4
	v_cmp_gt_i32_e32 vcc_lo, 0, v6
	v_not_b32_e32 v6, v7
	v_xor_b32_e32 v8, s0, v8
	v_cmp_gt_i32_e64 s0, 0, v7
	v_and_b32_e32 v4, exec_lo, v4
	v_not_b32_e32 v7, v25
	v_ashrrev_i32_e32 v6, 31, v6
	v_xor_b32_e32 v5, vcc_lo, v5
	v_cmp_gt_i32_e32 vcc_lo, 0, v25
	v_and_b32_e32 v4, v4, v8
	v_not_b32_e32 v8, v26
	v_ashrrev_i32_e32 v7, 31, v7
	v_xor_b32_e32 v6, s0, v6
	v_lshlrev_b32_e32 v2, 24, v2
	v_and_b32_e32 v4, v4, v5
	v_cmp_gt_i32_e64 s0, 0, v26
	v_not_b32_e32 v5, v27
	v_ashrrev_i32_e32 v8, 31, v8
	v_xor_b32_e32 v7, vcc_lo, v7
	v_and_b32_e32 v4, v4, v6
	v_cmp_gt_i32_e32 vcc_lo, 0, v27
	v_not_b32_e32 v6, v2
	v_ashrrev_i32_e32 v5, 31, v5
	v_xor_b32_e32 v8, s0, v8
	v_and_b32_e32 v4, v4, v7
	v_cmp_gt_i32_e64 s0, 0, v2
	v_ashrrev_i32_e32 v2, 31, v6
	v_xor_b32_e32 v5, vcc_lo, v5
	v_add_nc_u32_e32 v27, v1, v3
	v_and_b32_e32 v4, v4, v8
	v_xor_b32_e32 v1, s0, v2
	ds_read_b32 v25, v27 offset:128
	v_and_b32_e32 v2, v4, v5
	; wave barrier
	v_and_b32_e32 v1, v2, v1
	v_mbcnt_lo_u32_b32 v26, v1, 0
	v_cmp_ne_u32_e64 s0, 0, v1
	v_cmp_eq_u32_e32 vcc_lo, 0, v26
	s_and_b32 s1, s0, vcc_lo
	s_and_saveexec_b32 s0, s1
	s_cbranch_execz .LBB228_73
; %bb.72:
	s_waitcnt lgkmcnt(0)
	v_bcnt_u32_b32 v1, v1, v25
	ds_write_b32 v27, v1 offset:128
.LBB228_73:
	s_or_b32 exec_lo, exec_lo, s0
	; wave barrier
	s_waitcnt lgkmcnt(0)
	s_barrier
	buffer_gl0_inv
	ds_read2_b32 v[7:8], v15 offset0:32 offset1:33
	ds_read2_b32 v[5:6], v15 offset0:34 offset1:35
	;; [unrolled: 1-line block ×4, first 2 shown]
	ds_read_b32 v28, v15 offset:160
	v_and_b32_e32 v31, 16, v18
	v_and_b32_e32 v32, 31, v0
	s_mov_b32 s5, exec_lo
	v_cmp_eq_u32_e64 s3, 0, v31
	s_waitcnt lgkmcnt(3)
	v_add3_u32 v29, v8, v7, v5
	s_waitcnt lgkmcnt(2)
	v_add3_u32 v29, v29, v6, v3
	;; [unrolled: 2-line block ×4, first 2 shown]
	v_and_b32_e32 v29, 15, v18
	v_mov_b32_dpp v30, v28 row_shr:1 row_mask:0xf bank_mask:0xf
	v_cmp_eq_u32_e32 vcc_lo, 0, v29
	v_cmp_lt_u32_e64 s0, 1, v29
	v_cmp_lt_u32_e64 s1, 3, v29
	;; [unrolled: 1-line block ×3, first 2 shown]
	v_cndmask_b32_e64 v30, v30, 0, vcc_lo
	v_add_nc_u32_e32 v28, v30, v28
	v_mov_b32_dpp v30, v28 row_shr:2 row_mask:0xf bank_mask:0xf
	v_cndmask_b32_e64 v30, 0, v30, s0
	v_add_nc_u32_e32 v28, v28, v30
	v_mov_b32_dpp v30, v28 row_shr:4 row_mask:0xf bank_mask:0xf
	v_cndmask_b32_e64 v30, 0, v30, s1
	;; [unrolled: 3-line block ×3, first 2 shown]
	v_bfe_i32 v30, v18, 4, 1
	v_add_nc_u32_e32 v28, v28, v29
	ds_swizzle_b32 v29, v28 offset:swizzle(BROADCAST,32,15)
	s_waitcnt lgkmcnt(0)
	v_and_b32_e32 v30, v30, v29
	v_lshrrev_b32_e32 v29, 5, v0
	v_add_nc_u32_e32 v28, v28, v30
	v_cmpx_eq_u32_e32 31, v32
; %bb.74:
	v_lshlrev_b32_e32 v30, 2, v29
	ds_write_b32 v30, v28
; %bb.75:
	s_or_b32 exec_lo, exec_lo, s5
	v_cmp_lt_u32_e64 s4, 31, v0
	s_mov_b32 s11, exec_lo
	s_waitcnt lgkmcnt(0)
	s_barrier
	buffer_gl0_inv
	v_cmpx_gt_u32_e32 32, v0
	s_cbranch_execz .LBB228_77
; %bb.76:
	ds_read_b32 v30, v17
	s_waitcnt lgkmcnt(0)
	v_mov_b32_dpp v31, v30 row_shr:1 row_mask:0xf bank_mask:0xf
	v_cndmask_b32_e64 v31, v31, 0, vcc_lo
	v_add_nc_u32_e32 v30, v31, v30
	v_mov_b32_dpp v31, v30 row_shr:2 row_mask:0xf bank_mask:0xf
	v_cndmask_b32_e64 v31, 0, v31, s0
	v_add_nc_u32_e32 v30, v30, v31
	v_mov_b32_dpp v31, v30 row_shr:4 row_mask:0xf bank_mask:0xf
	v_cndmask_b32_e64 v31, 0, v31, s1
	;; [unrolled: 3-line block ×3, first 2 shown]
	v_add_nc_u32_e32 v30, v30, v31
	ds_swizzle_b32 v31, v30 offset:swizzle(BROADCAST,32,15)
	s_waitcnt lgkmcnt(0)
	v_cndmask_b32_e64 v31, v31, 0, s3
	v_add_nc_u32_e32 v30, v30, v31
	ds_write_b32 v17, v30
.LBB228_77:
	s_or_b32 exec_lo, exec_lo, s11
	v_mov_b32_e32 v30, 0
	s_waitcnt lgkmcnt(0)
	s_barrier
	buffer_gl0_inv
	s_and_saveexec_b32 s0, s4
; %bb.78:
	v_lshl_add_u32 v29, v29, 2, -4
	ds_read_b32 v30, v29
; %bb.79:
	s_or_b32 exec_lo, exec_lo, s0
	v_sub_co_u32 v29, vcc_lo, v18, 1
	s_waitcnt lgkmcnt(0)
	v_add_nc_u32_e32 v28, v30, v28
	v_cmp_gt_i32_e64 s0, 0, v29
	v_cndmask_b32_e64 v29, v29, v18, s0
	v_cmp_gt_u32_e64 s0, 0x100, v0
	v_lshlrev_b32_e32 v29, 2, v29
	ds_bpermute_b32 v28, v29, v28
	s_waitcnt lgkmcnt(0)
	v_cndmask_b32_e32 v28, v28, v30, vcc_lo
	v_cmp_ne_u32_e32 vcc_lo, 0, v0
	v_cndmask_b32_e32 v28, 0, v28, vcc_lo
	v_cmp_lt_u32_e32 vcc_lo, 0xff, v0
	v_add_nc_u32_e32 v7, v28, v7
	v_add_nc_u32_e32 v8, v7, v8
	;; [unrolled: 1-line block ×8, first 2 shown]
	ds_write2_b32 v15, v28, v7 offset0:32 offset1:33
	ds_write2_b32 v15, v8, v5 offset0:34 offset1:35
	;; [unrolled: 1-line block ×4, first 2 shown]
	ds_write_b32 v15, v2 offset:160
	s_waitcnt lgkmcnt(0)
	s_barrier
	buffer_gl0_inv
	ds_read_b32 v1, v16 offset:128
	ds_read_b32 v2, v21 offset:128
	;; [unrolled: 1-line block ×4, first 2 shown]
                                        ; implicit-def: $vgpr7
                                        ; implicit-def: $vgpr8
	s_and_saveexec_b32 s2, s0
	s_cbranch_execz .LBB228_83
; %bb.80:
	v_mul_u32_u24_e32 v5, 0x84, v0
	v_add_nc_u32_e32 v6, 1, v0
	s_mov_b32 s3, exec_lo
	ds_read_b32 v7, v5 offset:128
	v_mov_b32_e32 v5, 0x1000
	v_cmpx_ne_u32_e32 0x100, v6
; %bb.81:
	v_mul_u32_u24_e32 v5, 0x84, v6
	ds_read_b32 v5, v5 offset:128
; %bb.82:
	s_or_b32 exec_lo, exec_lo, s3
	s_waitcnt lgkmcnt(0)
	v_sub_nc_u32_e32 v8, v5, v7
.LBB228_83:
	s_or_b32 exec_lo, exec_lo, s2
	s_waitcnt lgkmcnt(3)
	v_add_nc_u32_e32 v21, v1, v14
	s_waitcnt lgkmcnt(2)
	v_add3_u32 v16, v20, v19, v2
	s_waitcnt lgkmcnt(1)
	v_add3_u32 v15, v23, v22, v3
	;; [unrolled: 2-line block ×3, first 2 shown]
	v_mov_b32_e32 v2, 0
	v_lshlrev_b32_e32 v1, 2, v21
	v_lshlrev_b32_e32 v3, 2, v16
	;; [unrolled: 1-line block ×4, first 2 shown]
	s_barrier
	buffer_gl0_inv
	ds_write_b32 v1, v10 offset:1024
	ds_write_b32 v3, v11 offset:1024
	ds_write_b32 v4, v12 offset:1024
	ds_write_b32 v5, v13 offset:1024
	s_and_saveexec_b32 s1, s0
	s_cbranch_execz .LBB228_93
; %bb.84:
	v_lshl_add_u32 v1, s6, 8, v0
	v_mov_b32_e32 v10, 0
	s_mov_b32 s2, 0
	s_mov_b32 s3, s6
	v_lshlrev_b64 v[3:4], 2, v[1:2]
	v_or_b32_e32 v1, 2.0, v8
	v_add_co_u32 v3, s0, s14, v3
	v_add_co_ci_u32_e64 v4, null, s15, v4, s0
                                        ; implicit-def: $sgpr0
	global_store_dword v[3:4], v1, off
	s_branch .LBB228_87
	.p2align	6
.LBB228_85:                             ;   in Loop: Header=BB228_87 Depth=1
	s_or_b32 exec_lo, exec_lo, s5
.LBB228_86:                             ;   in Loop: Header=BB228_87 Depth=1
	s_or_b32 exec_lo, exec_lo, s4
	v_and_b32_e32 v5, 0x3fffffff, v1
	v_cmp_gt_i32_e64 s0, -2.0, v1
	v_add_nc_u32_e32 v10, v5, v10
	s_and_b32 s4, exec_lo, s0
	s_or_b32 s2, s4, s2
	s_andn2_b32 exec_lo, exec_lo, s2
	s_cbranch_execz .LBB228_92
.LBB228_87:                             ; =>This Loop Header: Depth=1
                                        ;     Child Loop BB228_90 Depth 2
	s_or_b32 s0, s0, exec_lo
	s_cmp_eq_u32 s3, 0
	s_cbranch_scc1 .LBB228_91
; %bb.88:                               ;   in Loop: Header=BB228_87 Depth=1
	s_add_i32 s3, s3, -1
	s_mov_b32 s4, exec_lo
	v_lshl_or_b32 v1, s3, 8, v0
	v_lshlrev_b64 v[5:6], 2, v[1:2]
	v_add_co_u32 v5, s0, s14, v5
	v_add_co_ci_u32_e64 v6, null, s15, v6, s0
	global_load_dword v1, v[5:6], off glc dlc
	s_waitcnt vmcnt(0)
	v_cmpx_gt_u32_e32 2.0, v1
	s_cbranch_execz .LBB228_86
; %bb.89:                               ;   in Loop: Header=BB228_87 Depth=1
	s_mov_b32 s5, 0
.LBB228_90:                             ;   Parent Loop BB228_87 Depth=1
                                        ; =>  This Inner Loop Header: Depth=2
	global_load_dword v1, v[5:6], off glc dlc
	s_waitcnt vmcnt(0)
	v_cmp_lt_u32_e64 s0, 0x3fffffff, v1
	s_or_b32 s5, s0, s5
	s_andn2_b32 exec_lo, exec_lo, s5
	s_cbranch_execnz .LBB228_90
	s_branch .LBB228_85
.LBB228_91:                             ;   in Loop: Header=BB228_87 Depth=1
                                        ; implicit-def: $sgpr3
	s_and_b32 s4, exec_lo, s0
	s_or_b32 s2, s4, s2
	s_andn2_b32 exec_lo, exec_lo, s2
	s_cbranch_execnz .LBB228_87
.LBB228_92:
	s_or_b32 exec_lo, exec_lo, s2
	v_add_nc_u32_e32 v1, v10, v8
	v_sub_nc_u32_e32 v2, v10, v7
	v_or_b32_e32 v1, 0x80000000, v1
	global_store_dword v[3:4], v1, off
	global_load_dword v1, v17, s[24:25]
	s_waitcnt vmcnt(0)
	v_add_nc_u32_e32 v1, v2, v1
	ds_write_b32 v17, v1
.LBB228_93:
	s_or_b32 exec_lo, exec_lo, s1
	v_lshlrev_b32_e32 v1, 3, v18
	s_lshl_b64 s[0:1], s[8:9], 3
	v_lshlrev_b32_e32 v2, 3, v9
	s_add_u32 s0, s20, s0
	s_addc_u32 s1, s21, s1
	v_add_co_u32 v1, s0, s0, v1
	v_add_co_ci_u32_e64 v3, null, s1, 0, s0
	s_waitcnt lgkmcnt(0)
	s_waitcnt_vscnt null, 0x0
	v_add_co_u32 v1, s0, v1, v2
	v_add_co_ci_u32_e64 v2, null, 0, v3, s0
	s_barrier
	buffer_gl0_inv
	v_mov_b32_e32 v23, 0
	s_clause 0x3
	global_load_dwordx2 v[3:4], v[1:2], off
	global_load_dwordx2 v[5:6], v[1:2], off offset:256
	global_load_dwordx2 v[9:10], v[1:2], off offset:512
	;; [unrolled: 1-line block ×3, first 2 shown]
	ds_read2st64_b32 v[11:12], v17 offset0:4 offset1:20
	ds_read2st64_b32 v[18:19], v17 offset0:36 offset1:52
	v_or_b32_e32 v30, 0x400, v0
	v_or_b32_e32 v31, 0x800, v0
	v_min_u32_e32 v33, 0x1000, v15
	v_or_b32_e32 v32, 0xc00, v0
	v_min_u32_e32 v34, 0x1000, v14
	s_add_i32 s7, s7, -1
	v_lshlrev_b32_e32 v33, 3, v33
	s_cmp_eq_u32 s6, s7
	s_waitcnt lgkmcnt(1)
	v_lshrrev_b32_e32 v13, s28, v11
	v_lshrrev_b32_e32 v20, s28, v12
	v_and_b32_e32 v13, s10, v13
	v_lshlrev_b32_e32 v26, 2, v13
	v_and_b32_e32 v13, s10, v20
	s_waitcnt lgkmcnt(0)
	v_lshrrev_b32_e32 v20, s28, v18
	ds_read_b32 v22, v26
	v_lshlrev_b32_e32 v27, 2, v13
	v_and_b32_e32 v13, s10, v20
	v_lshrrev_b32_e32 v20, s28, v19
	ds_read_b32 v24, v27
	v_lshlrev_b32_e32 v28, 2, v13
	v_and_b32_e32 v13, s10, v20
	ds_read_b32 v20, v28
	v_lshlrev_b32_e32 v29, 2, v13
	v_min_u32_e32 v13, 0x1000, v21
	v_min_u32_e32 v21, 0x1000, v16
	ds_read_b32 v25, v29
	v_lshlrev_b32_e32 v35, 3, v13
	s_waitcnt lgkmcnt(3)
	v_add_nc_u32_e32 v22, v22, v0
	v_lshlrev_b32_e32 v36, 3, v21
	v_lshlrev_b64 v[15:16], 2, v[22:23]
	s_waitcnt lgkmcnt(2)
	v_add_nc_u32_e32 v22, v24, v30
	v_lshlrev_b64 v[13:14], 2, v[22:23]
	s_waitcnt lgkmcnt(1)
	v_add_nc_u32_e32 v22, v20, v31
	v_add_co_u32 v15, s0, s18, v15
	v_add_co_ci_u32_e64 v16, null, s19, v16, s0
	v_lshlrev_b64 v[20:21], 2, v[22:23]
	s_waitcnt lgkmcnt(0)
	v_add_nc_u32_e32 v22, v25, v32
	v_add_co_u32 v13, s0, s18, v13
	v_add_co_ci_u32_e64 v14, null, s19, v14, s0
	v_lshlrev_b64 v[24:25], 2, v[22:23]
	v_add_co_u32 v20, s0, s18, v20
	v_add_co_ci_u32_e64 v21, null, s19, v21, s0
	v_lshlrev_b32_e32 v22, 3, v34
	v_add_co_u32 v24, s0, s18, v24
	v_add_co_ci_u32_e64 v25, null, s19, v25, s0
	global_store_dword v[15:16], v11, off
	global_store_dword v[13:14], v12, off
	;; [unrolled: 1-line block ×4, first 2 shown]
	s_waitcnt vmcnt(0)
	s_waitcnt_vscnt null, 0x0
	s_barrier
	buffer_gl0_inv
	ds_write_b64 v35, v[3:4] offset:1024
	ds_write_b64 v36, v[5:6] offset:1024
	ds_write_b64 v33, v[9:10] offset:1024
	ds_write_b64 v22, v[1:2] offset:1024
	s_waitcnt lgkmcnt(0)
	s_barrier
	buffer_gl0_inv
	ds_read_b32 v1, v26
	ds_read_b32 v6, v27
	ds_read_b32 v15, v28
	ds_read_b32 v18, v29
	v_add_nc_u32_e32 v9, v17, v17
	s_waitcnt lgkmcnt(3)
	v_add_nc_u32_e32 v22, v1, v0
	ds_read2st64_b64 v[0:3], v9 offset0:2 offset1:18
	ds_read2st64_b64 v[9:12], v9 offset0:34 offset1:50
	v_lshlrev_b64 v[4:5], 3, v[22:23]
	s_waitcnt lgkmcnt(4)
	v_add_nc_u32_e32 v22, v6, v30
	v_lshlrev_b64 v[13:14], 3, v[22:23]
	s_waitcnt lgkmcnt(3)
	v_add_nc_u32_e32 v22, v15, v31
	v_add_co_u32 v4, s0, s22, v4
	v_add_co_ci_u32_e64 v5, null, s23, v5, s0
	v_lshlrev_b64 v[15:16], 3, v[22:23]
	s_waitcnt lgkmcnt(2)
	v_add_nc_u32_e32 v22, v18, v32
	v_add_co_u32 v13, s0, s22, v13
	v_add_co_ci_u32_e64 v14, null, s23, v14, s0
	s_waitcnt lgkmcnt(1)
	global_store_dwordx2 v[4:5], v[0:1], off
	v_lshlrev_b64 v[0:1], 3, v[22:23]
	global_store_dwordx2 v[13:14], v[2:3], off
	v_add_co_u32 v2, s0, s22, v15
	v_add_co_ci_u32_e64 v3, null, s23, v16, s0
	v_add_co_u32 v0, s0, s22, v0
	v_add_co_ci_u32_e64 v1, null, s23, v1, s0
	s_cselect_b32 s0, -1, 0
	s_xor_b32 s1, vcc_lo, -1
	s_waitcnt lgkmcnt(0)
	global_store_dwordx2 v[2:3], v[9:10], off
	s_and_b32 s0, s1, s0
	global_store_dwordx2 v[0:1], v[11:12], off
	s_and_saveexec_b32 s1, s0
	s_cbranch_execz .LBB228_95
; %bb.94:
	ds_read_b32 v0, v17
	s_waitcnt lgkmcnt(0)
	v_add3_u32 v0, v7, v8, v0
	global_store_dword v17, v0, s[26:27]
.LBB228_95:
	s_endpgm
	.section	.rodata,"a",@progbits
	.p2align	6, 0x0
	.amdhsa_kernel _ZN7rocprim17ROCPRIM_400000_NS6detail17trampoline_kernelINS0_14default_configENS1_35radix_sort_onesweep_config_selectorIjN6thrust23THRUST_200600_302600_NS5tupleIffNS6_9null_typeES8_S8_S8_S8_S8_S8_S8_EEEEZZNS1_29radix_sort_onesweep_iterationIS3_Lb0ENS6_6detail15normal_iteratorINS6_10device_ptrIjEEEESG_NSD_INSE_IS9_EEEESI_jNS0_19identity_decomposerENS1_16block_id_wrapperIjLb0EEEEE10hipError_tT1_PNSt15iterator_traitsISN_E10value_typeET2_T3_PNSO_IST_E10value_typeET4_T5_PSY_SZ_PNS1_23onesweep_lookback_stateEbbT6_jjT7_P12ihipStream_tbENKUlT_T0_SN_SS_E_clIPjSG_PS9_SI_EEDaS16_S17_SN_SS_EUlS16_E_NS1_11comp_targetILNS1_3genE8ELNS1_11target_archE1030ELNS1_3gpuE2ELNS1_3repE0EEENS1_47radix_sort_onesweep_sort_config_static_selectorELNS0_4arch9wavefront6targetE0EEEvSN_
		.amdhsa_group_segment_fixed_size 37000
		.amdhsa_private_segment_fixed_size 0
		.amdhsa_kernarg_size 344
		.amdhsa_user_sgpr_count 6
		.amdhsa_user_sgpr_private_segment_buffer 1
		.amdhsa_user_sgpr_dispatch_ptr 0
		.amdhsa_user_sgpr_queue_ptr 0
		.amdhsa_user_sgpr_kernarg_segment_ptr 1
		.amdhsa_user_sgpr_dispatch_id 0
		.amdhsa_user_sgpr_flat_scratch_init 0
		.amdhsa_user_sgpr_private_segment_size 0
		.amdhsa_wavefront_size32 1
		.amdhsa_uses_dynamic_stack 0
		.amdhsa_system_sgpr_private_segment_wavefront_offset 0
		.amdhsa_system_sgpr_workgroup_id_x 1
		.amdhsa_system_sgpr_workgroup_id_y 0
		.amdhsa_system_sgpr_workgroup_id_z 0
		.amdhsa_system_sgpr_workgroup_info 0
		.amdhsa_system_vgpr_workitem_id 2
		.amdhsa_next_free_vgpr 37
		.amdhsa_next_free_sgpr 36
		.amdhsa_reserve_vcc 1
		.amdhsa_reserve_flat_scratch 0
		.amdhsa_float_round_mode_32 0
		.amdhsa_float_round_mode_16_64 0
		.amdhsa_float_denorm_mode_32 3
		.amdhsa_float_denorm_mode_16_64 3
		.amdhsa_dx10_clamp 1
		.amdhsa_ieee_mode 1
		.amdhsa_fp16_overflow 0
		.amdhsa_workgroup_processor_mode 1
		.amdhsa_memory_ordered 1
		.amdhsa_forward_progress 1
		.amdhsa_shared_vgpr_count 0
		.amdhsa_exception_fp_ieee_invalid_op 0
		.amdhsa_exception_fp_denorm_src 0
		.amdhsa_exception_fp_ieee_div_zero 0
		.amdhsa_exception_fp_ieee_overflow 0
		.amdhsa_exception_fp_ieee_underflow 0
		.amdhsa_exception_fp_ieee_inexact 0
		.amdhsa_exception_int_div_zero 0
	.end_amdhsa_kernel
	.section	.text._ZN7rocprim17ROCPRIM_400000_NS6detail17trampoline_kernelINS0_14default_configENS1_35radix_sort_onesweep_config_selectorIjN6thrust23THRUST_200600_302600_NS5tupleIffNS6_9null_typeES8_S8_S8_S8_S8_S8_S8_EEEEZZNS1_29radix_sort_onesweep_iterationIS3_Lb0ENS6_6detail15normal_iteratorINS6_10device_ptrIjEEEESG_NSD_INSE_IS9_EEEESI_jNS0_19identity_decomposerENS1_16block_id_wrapperIjLb0EEEEE10hipError_tT1_PNSt15iterator_traitsISN_E10value_typeET2_T3_PNSO_IST_E10value_typeET4_T5_PSY_SZ_PNS1_23onesweep_lookback_stateEbbT6_jjT7_P12ihipStream_tbENKUlT_T0_SN_SS_E_clIPjSG_PS9_SI_EEDaS16_S17_SN_SS_EUlS16_E_NS1_11comp_targetILNS1_3genE8ELNS1_11target_archE1030ELNS1_3gpuE2ELNS1_3repE0EEENS1_47radix_sort_onesweep_sort_config_static_selectorELNS0_4arch9wavefront6targetE0EEEvSN_,"axG",@progbits,_ZN7rocprim17ROCPRIM_400000_NS6detail17trampoline_kernelINS0_14default_configENS1_35radix_sort_onesweep_config_selectorIjN6thrust23THRUST_200600_302600_NS5tupleIffNS6_9null_typeES8_S8_S8_S8_S8_S8_S8_EEEEZZNS1_29radix_sort_onesweep_iterationIS3_Lb0ENS6_6detail15normal_iteratorINS6_10device_ptrIjEEEESG_NSD_INSE_IS9_EEEESI_jNS0_19identity_decomposerENS1_16block_id_wrapperIjLb0EEEEE10hipError_tT1_PNSt15iterator_traitsISN_E10value_typeET2_T3_PNSO_IST_E10value_typeET4_T5_PSY_SZ_PNS1_23onesweep_lookback_stateEbbT6_jjT7_P12ihipStream_tbENKUlT_T0_SN_SS_E_clIPjSG_PS9_SI_EEDaS16_S17_SN_SS_EUlS16_E_NS1_11comp_targetILNS1_3genE8ELNS1_11target_archE1030ELNS1_3gpuE2ELNS1_3repE0EEENS1_47radix_sort_onesweep_sort_config_static_selectorELNS0_4arch9wavefront6targetE0EEEvSN_,comdat
.Lfunc_end228:
	.size	_ZN7rocprim17ROCPRIM_400000_NS6detail17trampoline_kernelINS0_14default_configENS1_35radix_sort_onesweep_config_selectorIjN6thrust23THRUST_200600_302600_NS5tupleIffNS6_9null_typeES8_S8_S8_S8_S8_S8_S8_EEEEZZNS1_29radix_sort_onesweep_iterationIS3_Lb0ENS6_6detail15normal_iteratorINS6_10device_ptrIjEEEESG_NSD_INSE_IS9_EEEESI_jNS0_19identity_decomposerENS1_16block_id_wrapperIjLb0EEEEE10hipError_tT1_PNSt15iterator_traitsISN_E10value_typeET2_T3_PNSO_IST_E10value_typeET4_T5_PSY_SZ_PNS1_23onesweep_lookback_stateEbbT6_jjT7_P12ihipStream_tbENKUlT_T0_SN_SS_E_clIPjSG_PS9_SI_EEDaS16_S17_SN_SS_EUlS16_E_NS1_11comp_targetILNS1_3genE8ELNS1_11target_archE1030ELNS1_3gpuE2ELNS1_3repE0EEENS1_47radix_sort_onesweep_sort_config_static_selectorELNS0_4arch9wavefront6targetE0EEEvSN_, .Lfunc_end228-_ZN7rocprim17ROCPRIM_400000_NS6detail17trampoline_kernelINS0_14default_configENS1_35radix_sort_onesweep_config_selectorIjN6thrust23THRUST_200600_302600_NS5tupleIffNS6_9null_typeES8_S8_S8_S8_S8_S8_S8_EEEEZZNS1_29radix_sort_onesweep_iterationIS3_Lb0ENS6_6detail15normal_iteratorINS6_10device_ptrIjEEEESG_NSD_INSE_IS9_EEEESI_jNS0_19identity_decomposerENS1_16block_id_wrapperIjLb0EEEEE10hipError_tT1_PNSt15iterator_traitsISN_E10value_typeET2_T3_PNSO_IST_E10value_typeET4_T5_PSY_SZ_PNS1_23onesweep_lookback_stateEbbT6_jjT7_P12ihipStream_tbENKUlT_T0_SN_SS_E_clIPjSG_PS9_SI_EEDaS16_S17_SN_SS_EUlS16_E_NS1_11comp_targetILNS1_3genE8ELNS1_11target_archE1030ELNS1_3gpuE2ELNS1_3repE0EEENS1_47radix_sort_onesweep_sort_config_static_selectorELNS0_4arch9wavefront6targetE0EEEvSN_
                                        ; -- End function
	.set _ZN7rocprim17ROCPRIM_400000_NS6detail17trampoline_kernelINS0_14default_configENS1_35radix_sort_onesweep_config_selectorIjN6thrust23THRUST_200600_302600_NS5tupleIffNS6_9null_typeES8_S8_S8_S8_S8_S8_S8_EEEEZZNS1_29radix_sort_onesweep_iterationIS3_Lb0ENS6_6detail15normal_iteratorINS6_10device_ptrIjEEEESG_NSD_INSE_IS9_EEEESI_jNS0_19identity_decomposerENS1_16block_id_wrapperIjLb0EEEEE10hipError_tT1_PNSt15iterator_traitsISN_E10value_typeET2_T3_PNSO_IST_E10value_typeET4_T5_PSY_SZ_PNS1_23onesweep_lookback_stateEbbT6_jjT7_P12ihipStream_tbENKUlT_T0_SN_SS_E_clIPjSG_PS9_SI_EEDaS16_S17_SN_SS_EUlS16_E_NS1_11comp_targetILNS1_3genE8ELNS1_11target_archE1030ELNS1_3gpuE2ELNS1_3repE0EEENS1_47radix_sort_onesweep_sort_config_static_selectorELNS0_4arch9wavefront6targetE0EEEvSN_.num_vgpr, 37
	.set _ZN7rocprim17ROCPRIM_400000_NS6detail17trampoline_kernelINS0_14default_configENS1_35radix_sort_onesweep_config_selectorIjN6thrust23THRUST_200600_302600_NS5tupleIffNS6_9null_typeES8_S8_S8_S8_S8_S8_S8_EEEEZZNS1_29radix_sort_onesweep_iterationIS3_Lb0ENS6_6detail15normal_iteratorINS6_10device_ptrIjEEEESG_NSD_INSE_IS9_EEEESI_jNS0_19identity_decomposerENS1_16block_id_wrapperIjLb0EEEEE10hipError_tT1_PNSt15iterator_traitsISN_E10value_typeET2_T3_PNSO_IST_E10value_typeET4_T5_PSY_SZ_PNS1_23onesweep_lookback_stateEbbT6_jjT7_P12ihipStream_tbENKUlT_T0_SN_SS_E_clIPjSG_PS9_SI_EEDaS16_S17_SN_SS_EUlS16_E_NS1_11comp_targetILNS1_3genE8ELNS1_11target_archE1030ELNS1_3gpuE2ELNS1_3repE0EEENS1_47radix_sort_onesweep_sort_config_static_selectorELNS0_4arch9wavefront6targetE0EEEvSN_.num_agpr, 0
	.set _ZN7rocprim17ROCPRIM_400000_NS6detail17trampoline_kernelINS0_14default_configENS1_35radix_sort_onesweep_config_selectorIjN6thrust23THRUST_200600_302600_NS5tupleIffNS6_9null_typeES8_S8_S8_S8_S8_S8_S8_EEEEZZNS1_29radix_sort_onesweep_iterationIS3_Lb0ENS6_6detail15normal_iteratorINS6_10device_ptrIjEEEESG_NSD_INSE_IS9_EEEESI_jNS0_19identity_decomposerENS1_16block_id_wrapperIjLb0EEEEE10hipError_tT1_PNSt15iterator_traitsISN_E10value_typeET2_T3_PNSO_IST_E10value_typeET4_T5_PSY_SZ_PNS1_23onesweep_lookback_stateEbbT6_jjT7_P12ihipStream_tbENKUlT_T0_SN_SS_E_clIPjSG_PS9_SI_EEDaS16_S17_SN_SS_EUlS16_E_NS1_11comp_targetILNS1_3genE8ELNS1_11target_archE1030ELNS1_3gpuE2ELNS1_3repE0EEENS1_47radix_sort_onesweep_sort_config_static_selectorELNS0_4arch9wavefront6targetE0EEEvSN_.numbered_sgpr, 36
	.set _ZN7rocprim17ROCPRIM_400000_NS6detail17trampoline_kernelINS0_14default_configENS1_35radix_sort_onesweep_config_selectorIjN6thrust23THRUST_200600_302600_NS5tupleIffNS6_9null_typeES8_S8_S8_S8_S8_S8_S8_EEEEZZNS1_29radix_sort_onesweep_iterationIS3_Lb0ENS6_6detail15normal_iteratorINS6_10device_ptrIjEEEESG_NSD_INSE_IS9_EEEESI_jNS0_19identity_decomposerENS1_16block_id_wrapperIjLb0EEEEE10hipError_tT1_PNSt15iterator_traitsISN_E10value_typeET2_T3_PNSO_IST_E10value_typeET4_T5_PSY_SZ_PNS1_23onesweep_lookback_stateEbbT6_jjT7_P12ihipStream_tbENKUlT_T0_SN_SS_E_clIPjSG_PS9_SI_EEDaS16_S17_SN_SS_EUlS16_E_NS1_11comp_targetILNS1_3genE8ELNS1_11target_archE1030ELNS1_3gpuE2ELNS1_3repE0EEENS1_47radix_sort_onesweep_sort_config_static_selectorELNS0_4arch9wavefront6targetE0EEEvSN_.num_named_barrier, 0
	.set _ZN7rocprim17ROCPRIM_400000_NS6detail17trampoline_kernelINS0_14default_configENS1_35radix_sort_onesweep_config_selectorIjN6thrust23THRUST_200600_302600_NS5tupleIffNS6_9null_typeES8_S8_S8_S8_S8_S8_S8_EEEEZZNS1_29radix_sort_onesweep_iterationIS3_Lb0ENS6_6detail15normal_iteratorINS6_10device_ptrIjEEEESG_NSD_INSE_IS9_EEEESI_jNS0_19identity_decomposerENS1_16block_id_wrapperIjLb0EEEEE10hipError_tT1_PNSt15iterator_traitsISN_E10value_typeET2_T3_PNSO_IST_E10value_typeET4_T5_PSY_SZ_PNS1_23onesweep_lookback_stateEbbT6_jjT7_P12ihipStream_tbENKUlT_T0_SN_SS_E_clIPjSG_PS9_SI_EEDaS16_S17_SN_SS_EUlS16_E_NS1_11comp_targetILNS1_3genE8ELNS1_11target_archE1030ELNS1_3gpuE2ELNS1_3repE0EEENS1_47radix_sort_onesweep_sort_config_static_selectorELNS0_4arch9wavefront6targetE0EEEvSN_.private_seg_size, 0
	.set _ZN7rocprim17ROCPRIM_400000_NS6detail17trampoline_kernelINS0_14default_configENS1_35radix_sort_onesweep_config_selectorIjN6thrust23THRUST_200600_302600_NS5tupleIffNS6_9null_typeES8_S8_S8_S8_S8_S8_S8_EEEEZZNS1_29radix_sort_onesweep_iterationIS3_Lb0ENS6_6detail15normal_iteratorINS6_10device_ptrIjEEEESG_NSD_INSE_IS9_EEEESI_jNS0_19identity_decomposerENS1_16block_id_wrapperIjLb0EEEEE10hipError_tT1_PNSt15iterator_traitsISN_E10value_typeET2_T3_PNSO_IST_E10value_typeET4_T5_PSY_SZ_PNS1_23onesweep_lookback_stateEbbT6_jjT7_P12ihipStream_tbENKUlT_T0_SN_SS_E_clIPjSG_PS9_SI_EEDaS16_S17_SN_SS_EUlS16_E_NS1_11comp_targetILNS1_3genE8ELNS1_11target_archE1030ELNS1_3gpuE2ELNS1_3repE0EEENS1_47radix_sort_onesweep_sort_config_static_selectorELNS0_4arch9wavefront6targetE0EEEvSN_.uses_vcc, 1
	.set _ZN7rocprim17ROCPRIM_400000_NS6detail17trampoline_kernelINS0_14default_configENS1_35radix_sort_onesweep_config_selectorIjN6thrust23THRUST_200600_302600_NS5tupleIffNS6_9null_typeES8_S8_S8_S8_S8_S8_S8_EEEEZZNS1_29radix_sort_onesweep_iterationIS3_Lb0ENS6_6detail15normal_iteratorINS6_10device_ptrIjEEEESG_NSD_INSE_IS9_EEEESI_jNS0_19identity_decomposerENS1_16block_id_wrapperIjLb0EEEEE10hipError_tT1_PNSt15iterator_traitsISN_E10value_typeET2_T3_PNSO_IST_E10value_typeET4_T5_PSY_SZ_PNS1_23onesweep_lookback_stateEbbT6_jjT7_P12ihipStream_tbENKUlT_T0_SN_SS_E_clIPjSG_PS9_SI_EEDaS16_S17_SN_SS_EUlS16_E_NS1_11comp_targetILNS1_3genE8ELNS1_11target_archE1030ELNS1_3gpuE2ELNS1_3repE0EEENS1_47radix_sort_onesweep_sort_config_static_selectorELNS0_4arch9wavefront6targetE0EEEvSN_.uses_flat_scratch, 0
	.set _ZN7rocprim17ROCPRIM_400000_NS6detail17trampoline_kernelINS0_14default_configENS1_35radix_sort_onesweep_config_selectorIjN6thrust23THRUST_200600_302600_NS5tupleIffNS6_9null_typeES8_S8_S8_S8_S8_S8_S8_EEEEZZNS1_29radix_sort_onesweep_iterationIS3_Lb0ENS6_6detail15normal_iteratorINS6_10device_ptrIjEEEESG_NSD_INSE_IS9_EEEESI_jNS0_19identity_decomposerENS1_16block_id_wrapperIjLb0EEEEE10hipError_tT1_PNSt15iterator_traitsISN_E10value_typeET2_T3_PNSO_IST_E10value_typeET4_T5_PSY_SZ_PNS1_23onesweep_lookback_stateEbbT6_jjT7_P12ihipStream_tbENKUlT_T0_SN_SS_E_clIPjSG_PS9_SI_EEDaS16_S17_SN_SS_EUlS16_E_NS1_11comp_targetILNS1_3genE8ELNS1_11target_archE1030ELNS1_3gpuE2ELNS1_3repE0EEENS1_47radix_sort_onesweep_sort_config_static_selectorELNS0_4arch9wavefront6targetE0EEEvSN_.has_dyn_sized_stack, 0
	.set _ZN7rocprim17ROCPRIM_400000_NS6detail17trampoline_kernelINS0_14default_configENS1_35radix_sort_onesweep_config_selectorIjN6thrust23THRUST_200600_302600_NS5tupleIffNS6_9null_typeES8_S8_S8_S8_S8_S8_S8_EEEEZZNS1_29radix_sort_onesweep_iterationIS3_Lb0ENS6_6detail15normal_iteratorINS6_10device_ptrIjEEEESG_NSD_INSE_IS9_EEEESI_jNS0_19identity_decomposerENS1_16block_id_wrapperIjLb0EEEEE10hipError_tT1_PNSt15iterator_traitsISN_E10value_typeET2_T3_PNSO_IST_E10value_typeET4_T5_PSY_SZ_PNS1_23onesweep_lookback_stateEbbT6_jjT7_P12ihipStream_tbENKUlT_T0_SN_SS_E_clIPjSG_PS9_SI_EEDaS16_S17_SN_SS_EUlS16_E_NS1_11comp_targetILNS1_3genE8ELNS1_11target_archE1030ELNS1_3gpuE2ELNS1_3repE0EEENS1_47radix_sort_onesweep_sort_config_static_selectorELNS0_4arch9wavefront6targetE0EEEvSN_.has_recursion, 0
	.set _ZN7rocprim17ROCPRIM_400000_NS6detail17trampoline_kernelINS0_14default_configENS1_35radix_sort_onesweep_config_selectorIjN6thrust23THRUST_200600_302600_NS5tupleIffNS6_9null_typeES8_S8_S8_S8_S8_S8_S8_EEEEZZNS1_29radix_sort_onesweep_iterationIS3_Lb0ENS6_6detail15normal_iteratorINS6_10device_ptrIjEEEESG_NSD_INSE_IS9_EEEESI_jNS0_19identity_decomposerENS1_16block_id_wrapperIjLb0EEEEE10hipError_tT1_PNSt15iterator_traitsISN_E10value_typeET2_T3_PNSO_IST_E10value_typeET4_T5_PSY_SZ_PNS1_23onesweep_lookback_stateEbbT6_jjT7_P12ihipStream_tbENKUlT_T0_SN_SS_E_clIPjSG_PS9_SI_EEDaS16_S17_SN_SS_EUlS16_E_NS1_11comp_targetILNS1_3genE8ELNS1_11target_archE1030ELNS1_3gpuE2ELNS1_3repE0EEENS1_47radix_sort_onesweep_sort_config_static_selectorELNS0_4arch9wavefront6targetE0EEEvSN_.has_indirect_call, 0
	.section	.AMDGPU.csdata,"",@progbits
; Kernel info:
; codeLenInByte = 7684
; TotalNumSgprs: 38
; NumVgprs: 37
; ScratchSize: 0
; MemoryBound: 0
; FloatMode: 240
; IeeeMode: 1
; LDSByteSize: 37000 bytes/workgroup (compile time only)
; SGPRBlocks: 0
; VGPRBlocks: 4
; NumSGPRsForWavesPerEU: 38
; NumVGPRsForWavesPerEU: 37
; Occupancy: 16
; WaveLimiterHint : 1
; COMPUTE_PGM_RSRC2:SCRATCH_EN: 0
; COMPUTE_PGM_RSRC2:USER_SGPR: 6
; COMPUTE_PGM_RSRC2:TRAP_HANDLER: 0
; COMPUTE_PGM_RSRC2:TGID_X_EN: 1
; COMPUTE_PGM_RSRC2:TGID_Y_EN: 0
; COMPUTE_PGM_RSRC2:TGID_Z_EN: 0
; COMPUTE_PGM_RSRC2:TIDIG_COMP_CNT: 2
	.section	.text._ZN6thrust23THRUST_200600_302600_NS11hip_rocprim14__parallel_for6kernelILj256ENS1_11__transform17unary_transform_fINS0_10device_ptrINS0_5tupleIffNS0_9null_typeES8_S8_S8_S8_S8_S8_S8_EEEESA_NS4_14no_stencil_tagENS0_8identityIS9_EENS4_21always_true_predicateEEElLj1EEEvT0_T1_SH_,"axG",@progbits,_ZN6thrust23THRUST_200600_302600_NS11hip_rocprim14__parallel_for6kernelILj256ENS1_11__transform17unary_transform_fINS0_10device_ptrINS0_5tupleIffNS0_9null_typeES8_S8_S8_S8_S8_S8_S8_EEEESA_NS4_14no_stencil_tagENS0_8identityIS9_EENS4_21always_true_predicateEEElLj1EEEvT0_T1_SH_,comdat
	.protected	_ZN6thrust23THRUST_200600_302600_NS11hip_rocprim14__parallel_for6kernelILj256ENS1_11__transform17unary_transform_fINS0_10device_ptrINS0_5tupleIffNS0_9null_typeES8_S8_S8_S8_S8_S8_S8_EEEESA_NS4_14no_stencil_tagENS0_8identityIS9_EENS4_21always_true_predicateEEElLj1EEEvT0_T1_SH_ ; -- Begin function _ZN6thrust23THRUST_200600_302600_NS11hip_rocprim14__parallel_for6kernelILj256ENS1_11__transform17unary_transform_fINS0_10device_ptrINS0_5tupleIffNS0_9null_typeES8_S8_S8_S8_S8_S8_S8_EEEESA_NS4_14no_stencil_tagENS0_8identityIS9_EENS4_21always_true_predicateEEElLj1EEEvT0_T1_SH_
	.globl	_ZN6thrust23THRUST_200600_302600_NS11hip_rocprim14__parallel_for6kernelILj256ENS1_11__transform17unary_transform_fINS0_10device_ptrINS0_5tupleIffNS0_9null_typeES8_S8_S8_S8_S8_S8_S8_EEEESA_NS4_14no_stencil_tagENS0_8identityIS9_EENS4_21always_true_predicateEEElLj1EEEvT0_T1_SH_
	.p2align	8
	.type	_ZN6thrust23THRUST_200600_302600_NS11hip_rocprim14__parallel_for6kernelILj256ENS1_11__transform17unary_transform_fINS0_10device_ptrINS0_5tupleIffNS0_9null_typeES8_S8_S8_S8_S8_S8_S8_EEEESA_NS4_14no_stencil_tagENS0_8identityIS9_EENS4_21always_true_predicateEEElLj1EEEvT0_T1_SH_,@function
_ZN6thrust23THRUST_200600_302600_NS11hip_rocprim14__parallel_for6kernelILj256ENS1_11__transform17unary_transform_fINS0_10device_ptrINS0_5tupleIffNS0_9null_typeES8_S8_S8_S8_S8_S8_S8_EEEESA_NS4_14no_stencil_tagENS0_8identityIS9_EENS4_21always_true_predicateEEElLj1EEEvT0_T1_SH_: ; @_ZN6thrust23THRUST_200600_302600_NS11hip_rocprim14__parallel_for6kernelILj256ENS1_11__transform17unary_transform_fINS0_10device_ptrINS0_5tupleIffNS0_9null_typeES8_S8_S8_S8_S8_S8_S8_EEEESA_NS4_14no_stencil_tagENS0_8identityIS9_EENS4_21always_true_predicateEEElLj1EEEvT0_T1_SH_
; %bb.0:
	s_clause 0x1
	s_load_dwordx4 s[8:11], s[4:5], 0x18
	s_load_dwordx4 s[0:3], s[4:5], 0x0
	s_lshl_b32 s4, s6, 8
	s_waitcnt lgkmcnt(0)
	s_add_u32 s4, s10, s4
	s_addc_u32 s5, s11, 0
	s_sub_u32 s6, s8, s4
	s_subb_u32 s7, s9, s5
	v_cmp_gt_i64_e64 s7, 0x100, s[6:7]
	s_and_b32 s7, s7, exec_lo
	s_cselect_b32 s7, s6, 0x100
	s_mov_b32 s6, -1
	s_cmpk_eq_i32 s7, 0x100
	s_cbranch_scc0 .LBB229_3
; %bb.1:
	s_andn2_b32 vcc_lo, exec_lo, s6
	s_cbranch_vccz .LBB229_6
.LBB229_2:
	s_endpgm
.LBB229_3:
	s_mov_b32 s6, exec_lo
	v_cmpx_gt_u32_e64 s7, v0
	s_cbranch_execz .LBB229_5
; %bb.4:
	v_add_co_u32 v1, s7, s4, v0
	v_add_co_ci_u32_e64 v2, null, s5, 0, s7
	v_lshlrev_b64 v[1:2], 3, v[1:2]
	v_add_co_u32 v3, vcc_lo, s0, v1
	v_add_co_ci_u32_e64 v4, null, s1, v2, vcc_lo
	v_add_co_u32 v1, vcc_lo, s2, v1
	v_add_co_ci_u32_e64 v2, null, s3, v2, vcc_lo
	flat_load_dwordx2 v[3:4], v[3:4]
	s_waitcnt vmcnt(0) lgkmcnt(0)
	flat_store_dwordx2 v[1:2], v[3:4]
.LBB229_5:
	s_or_b32 exec_lo, exec_lo, s6
	s_cbranch_execnz .LBB229_2
.LBB229_6:
	v_add_co_u32 v0, s4, s4, v0
	v_add_co_ci_u32_e64 v1, null, s5, 0, s4
	v_lshlrev_b64 v[0:1], 3, v[0:1]
	v_add_co_u32 v2, vcc_lo, s0, v0
	v_add_co_ci_u32_e64 v3, null, s1, v1, vcc_lo
	v_add_co_u32 v0, vcc_lo, s2, v0
	v_add_co_ci_u32_e64 v1, null, s3, v1, vcc_lo
	flat_load_dwordx2 v[2:3], v[2:3]
	s_waitcnt vmcnt(0) lgkmcnt(0)
	flat_store_dwordx2 v[0:1], v[2:3]
	s_endpgm
	.section	.rodata,"a",@progbits
	.p2align	6, 0x0
	.amdhsa_kernel _ZN6thrust23THRUST_200600_302600_NS11hip_rocprim14__parallel_for6kernelILj256ENS1_11__transform17unary_transform_fINS0_10device_ptrINS0_5tupleIffNS0_9null_typeES8_S8_S8_S8_S8_S8_S8_EEEESA_NS4_14no_stencil_tagENS0_8identityIS9_EENS4_21always_true_predicateEEElLj1EEEvT0_T1_SH_
		.amdhsa_group_segment_fixed_size 0
		.amdhsa_private_segment_fixed_size 0
		.amdhsa_kernarg_size 40
		.amdhsa_user_sgpr_count 6
		.amdhsa_user_sgpr_private_segment_buffer 1
		.amdhsa_user_sgpr_dispatch_ptr 0
		.amdhsa_user_sgpr_queue_ptr 0
		.amdhsa_user_sgpr_kernarg_segment_ptr 1
		.amdhsa_user_sgpr_dispatch_id 0
		.amdhsa_user_sgpr_flat_scratch_init 0
		.amdhsa_user_sgpr_private_segment_size 0
		.amdhsa_wavefront_size32 1
		.amdhsa_uses_dynamic_stack 0
		.amdhsa_system_sgpr_private_segment_wavefront_offset 0
		.amdhsa_system_sgpr_workgroup_id_x 1
		.amdhsa_system_sgpr_workgroup_id_y 0
		.amdhsa_system_sgpr_workgroup_id_z 0
		.amdhsa_system_sgpr_workgroup_info 0
		.amdhsa_system_vgpr_workitem_id 0
		.amdhsa_next_free_vgpr 5
		.amdhsa_next_free_sgpr 12
		.amdhsa_reserve_vcc 1
		.amdhsa_reserve_flat_scratch 0
		.amdhsa_float_round_mode_32 0
		.amdhsa_float_round_mode_16_64 0
		.amdhsa_float_denorm_mode_32 3
		.amdhsa_float_denorm_mode_16_64 3
		.amdhsa_dx10_clamp 1
		.amdhsa_ieee_mode 1
		.amdhsa_fp16_overflow 0
		.amdhsa_workgroup_processor_mode 1
		.amdhsa_memory_ordered 1
		.amdhsa_forward_progress 1
		.amdhsa_shared_vgpr_count 0
		.amdhsa_exception_fp_ieee_invalid_op 0
		.amdhsa_exception_fp_denorm_src 0
		.amdhsa_exception_fp_ieee_div_zero 0
		.amdhsa_exception_fp_ieee_overflow 0
		.amdhsa_exception_fp_ieee_underflow 0
		.amdhsa_exception_fp_ieee_inexact 0
		.amdhsa_exception_int_div_zero 0
	.end_amdhsa_kernel
	.section	.text._ZN6thrust23THRUST_200600_302600_NS11hip_rocprim14__parallel_for6kernelILj256ENS1_11__transform17unary_transform_fINS0_10device_ptrINS0_5tupleIffNS0_9null_typeES8_S8_S8_S8_S8_S8_S8_EEEESA_NS4_14no_stencil_tagENS0_8identityIS9_EENS4_21always_true_predicateEEElLj1EEEvT0_T1_SH_,"axG",@progbits,_ZN6thrust23THRUST_200600_302600_NS11hip_rocprim14__parallel_for6kernelILj256ENS1_11__transform17unary_transform_fINS0_10device_ptrINS0_5tupleIffNS0_9null_typeES8_S8_S8_S8_S8_S8_S8_EEEESA_NS4_14no_stencil_tagENS0_8identityIS9_EENS4_21always_true_predicateEEElLj1EEEvT0_T1_SH_,comdat
.Lfunc_end229:
	.size	_ZN6thrust23THRUST_200600_302600_NS11hip_rocprim14__parallel_for6kernelILj256ENS1_11__transform17unary_transform_fINS0_10device_ptrINS0_5tupleIffNS0_9null_typeES8_S8_S8_S8_S8_S8_S8_EEEESA_NS4_14no_stencil_tagENS0_8identityIS9_EENS4_21always_true_predicateEEElLj1EEEvT0_T1_SH_, .Lfunc_end229-_ZN6thrust23THRUST_200600_302600_NS11hip_rocprim14__parallel_for6kernelILj256ENS1_11__transform17unary_transform_fINS0_10device_ptrINS0_5tupleIffNS0_9null_typeES8_S8_S8_S8_S8_S8_S8_EEEESA_NS4_14no_stencil_tagENS0_8identityIS9_EENS4_21always_true_predicateEEElLj1EEEvT0_T1_SH_
                                        ; -- End function
	.set _ZN6thrust23THRUST_200600_302600_NS11hip_rocprim14__parallel_for6kernelILj256ENS1_11__transform17unary_transform_fINS0_10device_ptrINS0_5tupleIffNS0_9null_typeES8_S8_S8_S8_S8_S8_S8_EEEESA_NS4_14no_stencil_tagENS0_8identityIS9_EENS4_21always_true_predicateEEElLj1EEEvT0_T1_SH_.num_vgpr, 5
	.set _ZN6thrust23THRUST_200600_302600_NS11hip_rocprim14__parallel_for6kernelILj256ENS1_11__transform17unary_transform_fINS0_10device_ptrINS0_5tupleIffNS0_9null_typeES8_S8_S8_S8_S8_S8_S8_EEEESA_NS4_14no_stencil_tagENS0_8identityIS9_EENS4_21always_true_predicateEEElLj1EEEvT0_T1_SH_.num_agpr, 0
	.set _ZN6thrust23THRUST_200600_302600_NS11hip_rocprim14__parallel_for6kernelILj256ENS1_11__transform17unary_transform_fINS0_10device_ptrINS0_5tupleIffNS0_9null_typeES8_S8_S8_S8_S8_S8_S8_EEEESA_NS4_14no_stencil_tagENS0_8identityIS9_EENS4_21always_true_predicateEEElLj1EEEvT0_T1_SH_.numbered_sgpr, 12
	.set _ZN6thrust23THRUST_200600_302600_NS11hip_rocprim14__parallel_for6kernelILj256ENS1_11__transform17unary_transform_fINS0_10device_ptrINS0_5tupleIffNS0_9null_typeES8_S8_S8_S8_S8_S8_S8_EEEESA_NS4_14no_stencil_tagENS0_8identityIS9_EENS4_21always_true_predicateEEElLj1EEEvT0_T1_SH_.num_named_barrier, 0
	.set _ZN6thrust23THRUST_200600_302600_NS11hip_rocprim14__parallel_for6kernelILj256ENS1_11__transform17unary_transform_fINS0_10device_ptrINS0_5tupleIffNS0_9null_typeES8_S8_S8_S8_S8_S8_S8_EEEESA_NS4_14no_stencil_tagENS0_8identityIS9_EENS4_21always_true_predicateEEElLj1EEEvT0_T1_SH_.private_seg_size, 0
	.set _ZN6thrust23THRUST_200600_302600_NS11hip_rocprim14__parallel_for6kernelILj256ENS1_11__transform17unary_transform_fINS0_10device_ptrINS0_5tupleIffNS0_9null_typeES8_S8_S8_S8_S8_S8_S8_EEEESA_NS4_14no_stencil_tagENS0_8identityIS9_EENS4_21always_true_predicateEEElLj1EEEvT0_T1_SH_.uses_vcc, 1
	.set _ZN6thrust23THRUST_200600_302600_NS11hip_rocprim14__parallel_for6kernelILj256ENS1_11__transform17unary_transform_fINS0_10device_ptrINS0_5tupleIffNS0_9null_typeES8_S8_S8_S8_S8_S8_S8_EEEESA_NS4_14no_stencil_tagENS0_8identityIS9_EENS4_21always_true_predicateEEElLj1EEEvT0_T1_SH_.uses_flat_scratch, 0
	.set _ZN6thrust23THRUST_200600_302600_NS11hip_rocprim14__parallel_for6kernelILj256ENS1_11__transform17unary_transform_fINS0_10device_ptrINS0_5tupleIffNS0_9null_typeES8_S8_S8_S8_S8_S8_S8_EEEESA_NS4_14no_stencil_tagENS0_8identityIS9_EENS4_21always_true_predicateEEElLj1EEEvT0_T1_SH_.has_dyn_sized_stack, 0
	.set _ZN6thrust23THRUST_200600_302600_NS11hip_rocprim14__parallel_for6kernelILj256ENS1_11__transform17unary_transform_fINS0_10device_ptrINS0_5tupleIffNS0_9null_typeES8_S8_S8_S8_S8_S8_S8_EEEESA_NS4_14no_stencil_tagENS0_8identityIS9_EENS4_21always_true_predicateEEElLj1EEEvT0_T1_SH_.has_recursion, 0
	.set _ZN6thrust23THRUST_200600_302600_NS11hip_rocprim14__parallel_for6kernelILj256ENS1_11__transform17unary_transform_fINS0_10device_ptrINS0_5tupleIffNS0_9null_typeES8_S8_S8_S8_S8_S8_S8_EEEESA_NS4_14no_stencil_tagENS0_8identityIS9_EENS4_21always_true_predicateEEElLj1EEEvT0_T1_SH_.has_indirect_call, 0
	.section	.AMDGPU.csdata,"",@progbits
; Kernel info:
; codeLenInByte = 272
; TotalNumSgprs: 14
; NumVgprs: 5
; ScratchSize: 0
; MemoryBound: 0
; FloatMode: 240
; IeeeMode: 1
; LDSByteSize: 0 bytes/workgroup (compile time only)
; SGPRBlocks: 0
; VGPRBlocks: 0
; NumSGPRsForWavesPerEU: 14
; NumVGPRsForWavesPerEU: 5
; Occupancy: 16
; WaveLimiterHint : 0
; COMPUTE_PGM_RSRC2:SCRATCH_EN: 0
; COMPUTE_PGM_RSRC2:USER_SGPR: 6
; COMPUTE_PGM_RSRC2:TRAP_HANDLER: 0
; COMPUTE_PGM_RSRC2:TGID_X_EN: 1
; COMPUTE_PGM_RSRC2:TGID_Y_EN: 0
; COMPUTE_PGM_RSRC2:TGID_Z_EN: 0
; COMPUTE_PGM_RSRC2:TIDIG_COMP_CNT: 0
	.section	.text._ZN7rocprim17ROCPRIM_400000_NS6detail17trampoline_kernelINS0_14default_configENS1_27lower_bound_config_selectorIjjEEZNS1_14transform_implILb0ES3_S5_N6thrust23THRUST_200600_302600_NS17counting_iteratorIjNS8_11use_defaultESA_SA_EENS8_6detail15normal_iteratorINS8_10device_ptrIjEEEEZNS1_13binary_searchIS3_S5_SG_SB_SG_NS1_21lower_bound_search_opENSC_16wrapped_functionINS0_4lessIvEEbEEEE10hipError_tPvRmT1_T2_T3_mmT4_T5_P12ihipStream_tbEUlRKjE_EESN_SR_SS_mST_SW_bEUlT_E_NS1_11comp_targetILNS1_3genE0ELNS1_11target_archE4294967295ELNS1_3gpuE0ELNS1_3repE0EEENS1_30default_config_static_selectorELNS0_4arch9wavefront6targetE0EEEvSQ_,"axG",@progbits,_ZN7rocprim17ROCPRIM_400000_NS6detail17trampoline_kernelINS0_14default_configENS1_27lower_bound_config_selectorIjjEEZNS1_14transform_implILb0ES3_S5_N6thrust23THRUST_200600_302600_NS17counting_iteratorIjNS8_11use_defaultESA_SA_EENS8_6detail15normal_iteratorINS8_10device_ptrIjEEEEZNS1_13binary_searchIS3_S5_SG_SB_SG_NS1_21lower_bound_search_opENSC_16wrapped_functionINS0_4lessIvEEbEEEE10hipError_tPvRmT1_T2_T3_mmT4_T5_P12ihipStream_tbEUlRKjE_EESN_SR_SS_mST_SW_bEUlT_E_NS1_11comp_targetILNS1_3genE0ELNS1_11target_archE4294967295ELNS1_3gpuE0ELNS1_3repE0EEENS1_30default_config_static_selectorELNS0_4arch9wavefront6targetE0EEEvSQ_,comdat
	.protected	_ZN7rocprim17ROCPRIM_400000_NS6detail17trampoline_kernelINS0_14default_configENS1_27lower_bound_config_selectorIjjEEZNS1_14transform_implILb0ES3_S5_N6thrust23THRUST_200600_302600_NS17counting_iteratorIjNS8_11use_defaultESA_SA_EENS8_6detail15normal_iteratorINS8_10device_ptrIjEEEEZNS1_13binary_searchIS3_S5_SG_SB_SG_NS1_21lower_bound_search_opENSC_16wrapped_functionINS0_4lessIvEEbEEEE10hipError_tPvRmT1_T2_T3_mmT4_T5_P12ihipStream_tbEUlRKjE_EESN_SR_SS_mST_SW_bEUlT_E_NS1_11comp_targetILNS1_3genE0ELNS1_11target_archE4294967295ELNS1_3gpuE0ELNS1_3repE0EEENS1_30default_config_static_selectorELNS0_4arch9wavefront6targetE0EEEvSQ_ ; -- Begin function _ZN7rocprim17ROCPRIM_400000_NS6detail17trampoline_kernelINS0_14default_configENS1_27lower_bound_config_selectorIjjEEZNS1_14transform_implILb0ES3_S5_N6thrust23THRUST_200600_302600_NS17counting_iteratorIjNS8_11use_defaultESA_SA_EENS8_6detail15normal_iteratorINS8_10device_ptrIjEEEEZNS1_13binary_searchIS3_S5_SG_SB_SG_NS1_21lower_bound_search_opENSC_16wrapped_functionINS0_4lessIvEEbEEEE10hipError_tPvRmT1_T2_T3_mmT4_T5_P12ihipStream_tbEUlRKjE_EESN_SR_SS_mST_SW_bEUlT_E_NS1_11comp_targetILNS1_3genE0ELNS1_11target_archE4294967295ELNS1_3gpuE0ELNS1_3repE0EEENS1_30default_config_static_selectorELNS0_4arch9wavefront6targetE0EEEvSQ_
	.globl	_ZN7rocprim17ROCPRIM_400000_NS6detail17trampoline_kernelINS0_14default_configENS1_27lower_bound_config_selectorIjjEEZNS1_14transform_implILb0ES3_S5_N6thrust23THRUST_200600_302600_NS17counting_iteratorIjNS8_11use_defaultESA_SA_EENS8_6detail15normal_iteratorINS8_10device_ptrIjEEEEZNS1_13binary_searchIS3_S5_SG_SB_SG_NS1_21lower_bound_search_opENSC_16wrapped_functionINS0_4lessIvEEbEEEE10hipError_tPvRmT1_T2_T3_mmT4_T5_P12ihipStream_tbEUlRKjE_EESN_SR_SS_mST_SW_bEUlT_E_NS1_11comp_targetILNS1_3genE0ELNS1_11target_archE4294967295ELNS1_3gpuE0ELNS1_3repE0EEENS1_30default_config_static_selectorELNS0_4arch9wavefront6targetE0EEEvSQ_
	.p2align	8
	.type	_ZN7rocprim17ROCPRIM_400000_NS6detail17trampoline_kernelINS0_14default_configENS1_27lower_bound_config_selectorIjjEEZNS1_14transform_implILb0ES3_S5_N6thrust23THRUST_200600_302600_NS17counting_iteratorIjNS8_11use_defaultESA_SA_EENS8_6detail15normal_iteratorINS8_10device_ptrIjEEEEZNS1_13binary_searchIS3_S5_SG_SB_SG_NS1_21lower_bound_search_opENSC_16wrapped_functionINS0_4lessIvEEbEEEE10hipError_tPvRmT1_T2_T3_mmT4_T5_P12ihipStream_tbEUlRKjE_EESN_SR_SS_mST_SW_bEUlT_E_NS1_11comp_targetILNS1_3genE0ELNS1_11target_archE4294967295ELNS1_3gpuE0ELNS1_3repE0EEENS1_30default_config_static_selectorELNS0_4arch9wavefront6targetE0EEEvSQ_,@function
_ZN7rocprim17ROCPRIM_400000_NS6detail17trampoline_kernelINS0_14default_configENS1_27lower_bound_config_selectorIjjEEZNS1_14transform_implILb0ES3_S5_N6thrust23THRUST_200600_302600_NS17counting_iteratorIjNS8_11use_defaultESA_SA_EENS8_6detail15normal_iteratorINS8_10device_ptrIjEEEEZNS1_13binary_searchIS3_S5_SG_SB_SG_NS1_21lower_bound_search_opENSC_16wrapped_functionINS0_4lessIvEEbEEEE10hipError_tPvRmT1_T2_T3_mmT4_T5_P12ihipStream_tbEUlRKjE_EESN_SR_SS_mST_SW_bEUlT_E_NS1_11comp_targetILNS1_3genE0ELNS1_11target_archE4294967295ELNS1_3gpuE0ELNS1_3repE0EEENS1_30default_config_static_selectorELNS0_4arch9wavefront6targetE0EEEvSQ_: ; @_ZN7rocprim17ROCPRIM_400000_NS6detail17trampoline_kernelINS0_14default_configENS1_27lower_bound_config_selectorIjjEEZNS1_14transform_implILb0ES3_S5_N6thrust23THRUST_200600_302600_NS17counting_iteratorIjNS8_11use_defaultESA_SA_EENS8_6detail15normal_iteratorINS8_10device_ptrIjEEEEZNS1_13binary_searchIS3_S5_SG_SB_SG_NS1_21lower_bound_search_opENSC_16wrapped_functionINS0_4lessIvEEbEEEE10hipError_tPvRmT1_T2_T3_mmT4_T5_P12ihipStream_tbEUlRKjE_EESN_SR_SS_mST_SW_bEUlT_E_NS1_11comp_targetILNS1_3genE0ELNS1_11target_archE4294967295ELNS1_3gpuE0ELNS1_3repE0EEENS1_30default_config_static_selectorELNS0_4arch9wavefront6targetE0EEEvSQ_
; %bb.0:
	.section	.rodata,"a",@progbits
	.p2align	6, 0x0
	.amdhsa_kernel _ZN7rocprim17ROCPRIM_400000_NS6detail17trampoline_kernelINS0_14default_configENS1_27lower_bound_config_selectorIjjEEZNS1_14transform_implILb0ES3_S5_N6thrust23THRUST_200600_302600_NS17counting_iteratorIjNS8_11use_defaultESA_SA_EENS8_6detail15normal_iteratorINS8_10device_ptrIjEEEEZNS1_13binary_searchIS3_S5_SG_SB_SG_NS1_21lower_bound_search_opENSC_16wrapped_functionINS0_4lessIvEEbEEEE10hipError_tPvRmT1_T2_T3_mmT4_T5_P12ihipStream_tbEUlRKjE_EESN_SR_SS_mST_SW_bEUlT_E_NS1_11comp_targetILNS1_3genE0ELNS1_11target_archE4294967295ELNS1_3gpuE0ELNS1_3repE0EEENS1_30default_config_static_selectorELNS0_4arch9wavefront6targetE0EEEvSQ_
		.amdhsa_group_segment_fixed_size 0
		.amdhsa_private_segment_fixed_size 0
		.amdhsa_kernarg_size 56
		.amdhsa_user_sgpr_count 6
		.amdhsa_user_sgpr_private_segment_buffer 1
		.amdhsa_user_sgpr_dispatch_ptr 0
		.amdhsa_user_sgpr_queue_ptr 0
		.amdhsa_user_sgpr_kernarg_segment_ptr 1
		.amdhsa_user_sgpr_dispatch_id 0
		.amdhsa_user_sgpr_flat_scratch_init 0
		.amdhsa_user_sgpr_private_segment_size 0
		.amdhsa_wavefront_size32 1
		.amdhsa_uses_dynamic_stack 0
		.amdhsa_system_sgpr_private_segment_wavefront_offset 0
		.amdhsa_system_sgpr_workgroup_id_x 1
		.amdhsa_system_sgpr_workgroup_id_y 0
		.amdhsa_system_sgpr_workgroup_id_z 0
		.amdhsa_system_sgpr_workgroup_info 0
		.amdhsa_system_vgpr_workitem_id 0
		.amdhsa_next_free_vgpr 1
		.amdhsa_next_free_sgpr 1
		.amdhsa_reserve_vcc 0
		.amdhsa_reserve_flat_scratch 0
		.amdhsa_float_round_mode_32 0
		.amdhsa_float_round_mode_16_64 0
		.amdhsa_float_denorm_mode_32 3
		.amdhsa_float_denorm_mode_16_64 3
		.amdhsa_dx10_clamp 1
		.amdhsa_ieee_mode 1
		.amdhsa_fp16_overflow 0
		.amdhsa_workgroup_processor_mode 1
		.amdhsa_memory_ordered 1
		.amdhsa_forward_progress 1
		.amdhsa_shared_vgpr_count 0
		.amdhsa_exception_fp_ieee_invalid_op 0
		.amdhsa_exception_fp_denorm_src 0
		.amdhsa_exception_fp_ieee_div_zero 0
		.amdhsa_exception_fp_ieee_overflow 0
		.amdhsa_exception_fp_ieee_underflow 0
		.amdhsa_exception_fp_ieee_inexact 0
		.amdhsa_exception_int_div_zero 0
	.end_amdhsa_kernel
	.section	.text._ZN7rocprim17ROCPRIM_400000_NS6detail17trampoline_kernelINS0_14default_configENS1_27lower_bound_config_selectorIjjEEZNS1_14transform_implILb0ES3_S5_N6thrust23THRUST_200600_302600_NS17counting_iteratorIjNS8_11use_defaultESA_SA_EENS8_6detail15normal_iteratorINS8_10device_ptrIjEEEEZNS1_13binary_searchIS3_S5_SG_SB_SG_NS1_21lower_bound_search_opENSC_16wrapped_functionINS0_4lessIvEEbEEEE10hipError_tPvRmT1_T2_T3_mmT4_T5_P12ihipStream_tbEUlRKjE_EESN_SR_SS_mST_SW_bEUlT_E_NS1_11comp_targetILNS1_3genE0ELNS1_11target_archE4294967295ELNS1_3gpuE0ELNS1_3repE0EEENS1_30default_config_static_selectorELNS0_4arch9wavefront6targetE0EEEvSQ_,"axG",@progbits,_ZN7rocprim17ROCPRIM_400000_NS6detail17trampoline_kernelINS0_14default_configENS1_27lower_bound_config_selectorIjjEEZNS1_14transform_implILb0ES3_S5_N6thrust23THRUST_200600_302600_NS17counting_iteratorIjNS8_11use_defaultESA_SA_EENS8_6detail15normal_iteratorINS8_10device_ptrIjEEEEZNS1_13binary_searchIS3_S5_SG_SB_SG_NS1_21lower_bound_search_opENSC_16wrapped_functionINS0_4lessIvEEbEEEE10hipError_tPvRmT1_T2_T3_mmT4_T5_P12ihipStream_tbEUlRKjE_EESN_SR_SS_mST_SW_bEUlT_E_NS1_11comp_targetILNS1_3genE0ELNS1_11target_archE4294967295ELNS1_3gpuE0ELNS1_3repE0EEENS1_30default_config_static_selectorELNS0_4arch9wavefront6targetE0EEEvSQ_,comdat
.Lfunc_end230:
	.size	_ZN7rocprim17ROCPRIM_400000_NS6detail17trampoline_kernelINS0_14default_configENS1_27lower_bound_config_selectorIjjEEZNS1_14transform_implILb0ES3_S5_N6thrust23THRUST_200600_302600_NS17counting_iteratorIjNS8_11use_defaultESA_SA_EENS8_6detail15normal_iteratorINS8_10device_ptrIjEEEEZNS1_13binary_searchIS3_S5_SG_SB_SG_NS1_21lower_bound_search_opENSC_16wrapped_functionINS0_4lessIvEEbEEEE10hipError_tPvRmT1_T2_T3_mmT4_T5_P12ihipStream_tbEUlRKjE_EESN_SR_SS_mST_SW_bEUlT_E_NS1_11comp_targetILNS1_3genE0ELNS1_11target_archE4294967295ELNS1_3gpuE0ELNS1_3repE0EEENS1_30default_config_static_selectorELNS0_4arch9wavefront6targetE0EEEvSQ_, .Lfunc_end230-_ZN7rocprim17ROCPRIM_400000_NS6detail17trampoline_kernelINS0_14default_configENS1_27lower_bound_config_selectorIjjEEZNS1_14transform_implILb0ES3_S5_N6thrust23THRUST_200600_302600_NS17counting_iteratorIjNS8_11use_defaultESA_SA_EENS8_6detail15normal_iteratorINS8_10device_ptrIjEEEEZNS1_13binary_searchIS3_S5_SG_SB_SG_NS1_21lower_bound_search_opENSC_16wrapped_functionINS0_4lessIvEEbEEEE10hipError_tPvRmT1_T2_T3_mmT4_T5_P12ihipStream_tbEUlRKjE_EESN_SR_SS_mST_SW_bEUlT_E_NS1_11comp_targetILNS1_3genE0ELNS1_11target_archE4294967295ELNS1_3gpuE0ELNS1_3repE0EEENS1_30default_config_static_selectorELNS0_4arch9wavefront6targetE0EEEvSQ_
                                        ; -- End function
	.set _ZN7rocprim17ROCPRIM_400000_NS6detail17trampoline_kernelINS0_14default_configENS1_27lower_bound_config_selectorIjjEEZNS1_14transform_implILb0ES3_S5_N6thrust23THRUST_200600_302600_NS17counting_iteratorIjNS8_11use_defaultESA_SA_EENS8_6detail15normal_iteratorINS8_10device_ptrIjEEEEZNS1_13binary_searchIS3_S5_SG_SB_SG_NS1_21lower_bound_search_opENSC_16wrapped_functionINS0_4lessIvEEbEEEE10hipError_tPvRmT1_T2_T3_mmT4_T5_P12ihipStream_tbEUlRKjE_EESN_SR_SS_mST_SW_bEUlT_E_NS1_11comp_targetILNS1_3genE0ELNS1_11target_archE4294967295ELNS1_3gpuE0ELNS1_3repE0EEENS1_30default_config_static_selectorELNS0_4arch9wavefront6targetE0EEEvSQ_.num_vgpr, 0
	.set _ZN7rocprim17ROCPRIM_400000_NS6detail17trampoline_kernelINS0_14default_configENS1_27lower_bound_config_selectorIjjEEZNS1_14transform_implILb0ES3_S5_N6thrust23THRUST_200600_302600_NS17counting_iteratorIjNS8_11use_defaultESA_SA_EENS8_6detail15normal_iteratorINS8_10device_ptrIjEEEEZNS1_13binary_searchIS3_S5_SG_SB_SG_NS1_21lower_bound_search_opENSC_16wrapped_functionINS0_4lessIvEEbEEEE10hipError_tPvRmT1_T2_T3_mmT4_T5_P12ihipStream_tbEUlRKjE_EESN_SR_SS_mST_SW_bEUlT_E_NS1_11comp_targetILNS1_3genE0ELNS1_11target_archE4294967295ELNS1_3gpuE0ELNS1_3repE0EEENS1_30default_config_static_selectorELNS0_4arch9wavefront6targetE0EEEvSQ_.num_agpr, 0
	.set _ZN7rocprim17ROCPRIM_400000_NS6detail17trampoline_kernelINS0_14default_configENS1_27lower_bound_config_selectorIjjEEZNS1_14transform_implILb0ES3_S5_N6thrust23THRUST_200600_302600_NS17counting_iteratorIjNS8_11use_defaultESA_SA_EENS8_6detail15normal_iteratorINS8_10device_ptrIjEEEEZNS1_13binary_searchIS3_S5_SG_SB_SG_NS1_21lower_bound_search_opENSC_16wrapped_functionINS0_4lessIvEEbEEEE10hipError_tPvRmT1_T2_T3_mmT4_T5_P12ihipStream_tbEUlRKjE_EESN_SR_SS_mST_SW_bEUlT_E_NS1_11comp_targetILNS1_3genE0ELNS1_11target_archE4294967295ELNS1_3gpuE0ELNS1_3repE0EEENS1_30default_config_static_selectorELNS0_4arch9wavefront6targetE0EEEvSQ_.numbered_sgpr, 0
	.set _ZN7rocprim17ROCPRIM_400000_NS6detail17trampoline_kernelINS0_14default_configENS1_27lower_bound_config_selectorIjjEEZNS1_14transform_implILb0ES3_S5_N6thrust23THRUST_200600_302600_NS17counting_iteratorIjNS8_11use_defaultESA_SA_EENS8_6detail15normal_iteratorINS8_10device_ptrIjEEEEZNS1_13binary_searchIS3_S5_SG_SB_SG_NS1_21lower_bound_search_opENSC_16wrapped_functionINS0_4lessIvEEbEEEE10hipError_tPvRmT1_T2_T3_mmT4_T5_P12ihipStream_tbEUlRKjE_EESN_SR_SS_mST_SW_bEUlT_E_NS1_11comp_targetILNS1_3genE0ELNS1_11target_archE4294967295ELNS1_3gpuE0ELNS1_3repE0EEENS1_30default_config_static_selectorELNS0_4arch9wavefront6targetE0EEEvSQ_.num_named_barrier, 0
	.set _ZN7rocprim17ROCPRIM_400000_NS6detail17trampoline_kernelINS0_14default_configENS1_27lower_bound_config_selectorIjjEEZNS1_14transform_implILb0ES3_S5_N6thrust23THRUST_200600_302600_NS17counting_iteratorIjNS8_11use_defaultESA_SA_EENS8_6detail15normal_iteratorINS8_10device_ptrIjEEEEZNS1_13binary_searchIS3_S5_SG_SB_SG_NS1_21lower_bound_search_opENSC_16wrapped_functionINS0_4lessIvEEbEEEE10hipError_tPvRmT1_T2_T3_mmT4_T5_P12ihipStream_tbEUlRKjE_EESN_SR_SS_mST_SW_bEUlT_E_NS1_11comp_targetILNS1_3genE0ELNS1_11target_archE4294967295ELNS1_3gpuE0ELNS1_3repE0EEENS1_30default_config_static_selectorELNS0_4arch9wavefront6targetE0EEEvSQ_.private_seg_size, 0
	.set _ZN7rocprim17ROCPRIM_400000_NS6detail17trampoline_kernelINS0_14default_configENS1_27lower_bound_config_selectorIjjEEZNS1_14transform_implILb0ES3_S5_N6thrust23THRUST_200600_302600_NS17counting_iteratorIjNS8_11use_defaultESA_SA_EENS8_6detail15normal_iteratorINS8_10device_ptrIjEEEEZNS1_13binary_searchIS3_S5_SG_SB_SG_NS1_21lower_bound_search_opENSC_16wrapped_functionINS0_4lessIvEEbEEEE10hipError_tPvRmT1_T2_T3_mmT4_T5_P12ihipStream_tbEUlRKjE_EESN_SR_SS_mST_SW_bEUlT_E_NS1_11comp_targetILNS1_3genE0ELNS1_11target_archE4294967295ELNS1_3gpuE0ELNS1_3repE0EEENS1_30default_config_static_selectorELNS0_4arch9wavefront6targetE0EEEvSQ_.uses_vcc, 0
	.set _ZN7rocprim17ROCPRIM_400000_NS6detail17trampoline_kernelINS0_14default_configENS1_27lower_bound_config_selectorIjjEEZNS1_14transform_implILb0ES3_S5_N6thrust23THRUST_200600_302600_NS17counting_iteratorIjNS8_11use_defaultESA_SA_EENS8_6detail15normal_iteratorINS8_10device_ptrIjEEEEZNS1_13binary_searchIS3_S5_SG_SB_SG_NS1_21lower_bound_search_opENSC_16wrapped_functionINS0_4lessIvEEbEEEE10hipError_tPvRmT1_T2_T3_mmT4_T5_P12ihipStream_tbEUlRKjE_EESN_SR_SS_mST_SW_bEUlT_E_NS1_11comp_targetILNS1_3genE0ELNS1_11target_archE4294967295ELNS1_3gpuE0ELNS1_3repE0EEENS1_30default_config_static_selectorELNS0_4arch9wavefront6targetE0EEEvSQ_.uses_flat_scratch, 0
	.set _ZN7rocprim17ROCPRIM_400000_NS6detail17trampoline_kernelINS0_14default_configENS1_27lower_bound_config_selectorIjjEEZNS1_14transform_implILb0ES3_S5_N6thrust23THRUST_200600_302600_NS17counting_iteratorIjNS8_11use_defaultESA_SA_EENS8_6detail15normal_iteratorINS8_10device_ptrIjEEEEZNS1_13binary_searchIS3_S5_SG_SB_SG_NS1_21lower_bound_search_opENSC_16wrapped_functionINS0_4lessIvEEbEEEE10hipError_tPvRmT1_T2_T3_mmT4_T5_P12ihipStream_tbEUlRKjE_EESN_SR_SS_mST_SW_bEUlT_E_NS1_11comp_targetILNS1_3genE0ELNS1_11target_archE4294967295ELNS1_3gpuE0ELNS1_3repE0EEENS1_30default_config_static_selectorELNS0_4arch9wavefront6targetE0EEEvSQ_.has_dyn_sized_stack, 0
	.set _ZN7rocprim17ROCPRIM_400000_NS6detail17trampoline_kernelINS0_14default_configENS1_27lower_bound_config_selectorIjjEEZNS1_14transform_implILb0ES3_S5_N6thrust23THRUST_200600_302600_NS17counting_iteratorIjNS8_11use_defaultESA_SA_EENS8_6detail15normal_iteratorINS8_10device_ptrIjEEEEZNS1_13binary_searchIS3_S5_SG_SB_SG_NS1_21lower_bound_search_opENSC_16wrapped_functionINS0_4lessIvEEbEEEE10hipError_tPvRmT1_T2_T3_mmT4_T5_P12ihipStream_tbEUlRKjE_EESN_SR_SS_mST_SW_bEUlT_E_NS1_11comp_targetILNS1_3genE0ELNS1_11target_archE4294967295ELNS1_3gpuE0ELNS1_3repE0EEENS1_30default_config_static_selectorELNS0_4arch9wavefront6targetE0EEEvSQ_.has_recursion, 0
	.set _ZN7rocprim17ROCPRIM_400000_NS6detail17trampoline_kernelINS0_14default_configENS1_27lower_bound_config_selectorIjjEEZNS1_14transform_implILb0ES3_S5_N6thrust23THRUST_200600_302600_NS17counting_iteratorIjNS8_11use_defaultESA_SA_EENS8_6detail15normal_iteratorINS8_10device_ptrIjEEEEZNS1_13binary_searchIS3_S5_SG_SB_SG_NS1_21lower_bound_search_opENSC_16wrapped_functionINS0_4lessIvEEbEEEE10hipError_tPvRmT1_T2_T3_mmT4_T5_P12ihipStream_tbEUlRKjE_EESN_SR_SS_mST_SW_bEUlT_E_NS1_11comp_targetILNS1_3genE0ELNS1_11target_archE4294967295ELNS1_3gpuE0ELNS1_3repE0EEENS1_30default_config_static_selectorELNS0_4arch9wavefront6targetE0EEEvSQ_.has_indirect_call, 0
	.section	.AMDGPU.csdata,"",@progbits
; Kernel info:
; codeLenInByte = 0
; TotalNumSgprs: 0
; NumVgprs: 0
; ScratchSize: 0
; MemoryBound: 0
; FloatMode: 240
; IeeeMode: 1
; LDSByteSize: 0 bytes/workgroup (compile time only)
; SGPRBlocks: 0
; VGPRBlocks: 0
; NumSGPRsForWavesPerEU: 1
; NumVGPRsForWavesPerEU: 1
; Occupancy: 16
; WaveLimiterHint : 0
; COMPUTE_PGM_RSRC2:SCRATCH_EN: 0
; COMPUTE_PGM_RSRC2:USER_SGPR: 6
; COMPUTE_PGM_RSRC2:TRAP_HANDLER: 0
; COMPUTE_PGM_RSRC2:TGID_X_EN: 1
; COMPUTE_PGM_RSRC2:TGID_Y_EN: 0
; COMPUTE_PGM_RSRC2:TGID_Z_EN: 0
; COMPUTE_PGM_RSRC2:TIDIG_COMP_CNT: 0
	.section	.text._ZN7rocprim17ROCPRIM_400000_NS6detail17trampoline_kernelINS0_14default_configENS1_27lower_bound_config_selectorIjjEEZNS1_14transform_implILb0ES3_S5_N6thrust23THRUST_200600_302600_NS17counting_iteratorIjNS8_11use_defaultESA_SA_EENS8_6detail15normal_iteratorINS8_10device_ptrIjEEEEZNS1_13binary_searchIS3_S5_SG_SB_SG_NS1_21lower_bound_search_opENSC_16wrapped_functionINS0_4lessIvEEbEEEE10hipError_tPvRmT1_T2_T3_mmT4_T5_P12ihipStream_tbEUlRKjE_EESN_SR_SS_mST_SW_bEUlT_E_NS1_11comp_targetILNS1_3genE5ELNS1_11target_archE942ELNS1_3gpuE9ELNS1_3repE0EEENS1_30default_config_static_selectorELNS0_4arch9wavefront6targetE0EEEvSQ_,"axG",@progbits,_ZN7rocprim17ROCPRIM_400000_NS6detail17trampoline_kernelINS0_14default_configENS1_27lower_bound_config_selectorIjjEEZNS1_14transform_implILb0ES3_S5_N6thrust23THRUST_200600_302600_NS17counting_iteratorIjNS8_11use_defaultESA_SA_EENS8_6detail15normal_iteratorINS8_10device_ptrIjEEEEZNS1_13binary_searchIS3_S5_SG_SB_SG_NS1_21lower_bound_search_opENSC_16wrapped_functionINS0_4lessIvEEbEEEE10hipError_tPvRmT1_T2_T3_mmT4_T5_P12ihipStream_tbEUlRKjE_EESN_SR_SS_mST_SW_bEUlT_E_NS1_11comp_targetILNS1_3genE5ELNS1_11target_archE942ELNS1_3gpuE9ELNS1_3repE0EEENS1_30default_config_static_selectorELNS0_4arch9wavefront6targetE0EEEvSQ_,comdat
	.protected	_ZN7rocprim17ROCPRIM_400000_NS6detail17trampoline_kernelINS0_14default_configENS1_27lower_bound_config_selectorIjjEEZNS1_14transform_implILb0ES3_S5_N6thrust23THRUST_200600_302600_NS17counting_iteratorIjNS8_11use_defaultESA_SA_EENS8_6detail15normal_iteratorINS8_10device_ptrIjEEEEZNS1_13binary_searchIS3_S5_SG_SB_SG_NS1_21lower_bound_search_opENSC_16wrapped_functionINS0_4lessIvEEbEEEE10hipError_tPvRmT1_T2_T3_mmT4_T5_P12ihipStream_tbEUlRKjE_EESN_SR_SS_mST_SW_bEUlT_E_NS1_11comp_targetILNS1_3genE5ELNS1_11target_archE942ELNS1_3gpuE9ELNS1_3repE0EEENS1_30default_config_static_selectorELNS0_4arch9wavefront6targetE0EEEvSQ_ ; -- Begin function _ZN7rocprim17ROCPRIM_400000_NS6detail17trampoline_kernelINS0_14default_configENS1_27lower_bound_config_selectorIjjEEZNS1_14transform_implILb0ES3_S5_N6thrust23THRUST_200600_302600_NS17counting_iteratorIjNS8_11use_defaultESA_SA_EENS8_6detail15normal_iteratorINS8_10device_ptrIjEEEEZNS1_13binary_searchIS3_S5_SG_SB_SG_NS1_21lower_bound_search_opENSC_16wrapped_functionINS0_4lessIvEEbEEEE10hipError_tPvRmT1_T2_T3_mmT4_T5_P12ihipStream_tbEUlRKjE_EESN_SR_SS_mST_SW_bEUlT_E_NS1_11comp_targetILNS1_3genE5ELNS1_11target_archE942ELNS1_3gpuE9ELNS1_3repE0EEENS1_30default_config_static_selectorELNS0_4arch9wavefront6targetE0EEEvSQ_
	.globl	_ZN7rocprim17ROCPRIM_400000_NS6detail17trampoline_kernelINS0_14default_configENS1_27lower_bound_config_selectorIjjEEZNS1_14transform_implILb0ES3_S5_N6thrust23THRUST_200600_302600_NS17counting_iteratorIjNS8_11use_defaultESA_SA_EENS8_6detail15normal_iteratorINS8_10device_ptrIjEEEEZNS1_13binary_searchIS3_S5_SG_SB_SG_NS1_21lower_bound_search_opENSC_16wrapped_functionINS0_4lessIvEEbEEEE10hipError_tPvRmT1_T2_T3_mmT4_T5_P12ihipStream_tbEUlRKjE_EESN_SR_SS_mST_SW_bEUlT_E_NS1_11comp_targetILNS1_3genE5ELNS1_11target_archE942ELNS1_3gpuE9ELNS1_3repE0EEENS1_30default_config_static_selectorELNS0_4arch9wavefront6targetE0EEEvSQ_
	.p2align	8
	.type	_ZN7rocprim17ROCPRIM_400000_NS6detail17trampoline_kernelINS0_14default_configENS1_27lower_bound_config_selectorIjjEEZNS1_14transform_implILb0ES3_S5_N6thrust23THRUST_200600_302600_NS17counting_iteratorIjNS8_11use_defaultESA_SA_EENS8_6detail15normal_iteratorINS8_10device_ptrIjEEEEZNS1_13binary_searchIS3_S5_SG_SB_SG_NS1_21lower_bound_search_opENSC_16wrapped_functionINS0_4lessIvEEbEEEE10hipError_tPvRmT1_T2_T3_mmT4_T5_P12ihipStream_tbEUlRKjE_EESN_SR_SS_mST_SW_bEUlT_E_NS1_11comp_targetILNS1_3genE5ELNS1_11target_archE942ELNS1_3gpuE9ELNS1_3repE0EEENS1_30default_config_static_selectorELNS0_4arch9wavefront6targetE0EEEvSQ_,@function
_ZN7rocprim17ROCPRIM_400000_NS6detail17trampoline_kernelINS0_14default_configENS1_27lower_bound_config_selectorIjjEEZNS1_14transform_implILb0ES3_S5_N6thrust23THRUST_200600_302600_NS17counting_iteratorIjNS8_11use_defaultESA_SA_EENS8_6detail15normal_iteratorINS8_10device_ptrIjEEEEZNS1_13binary_searchIS3_S5_SG_SB_SG_NS1_21lower_bound_search_opENSC_16wrapped_functionINS0_4lessIvEEbEEEE10hipError_tPvRmT1_T2_T3_mmT4_T5_P12ihipStream_tbEUlRKjE_EESN_SR_SS_mST_SW_bEUlT_E_NS1_11comp_targetILNS1_3genE5ELNS1_11target_archE942ELNS1_3gpuE9ELNS1_3repE0EEENS1_30default_config_static_selectorELNS0_4arch9wavefront6targetE0EEEvSQ_: ; @_ZN7rocprim17ROCPRIM_400000_NS6detail17trampoline_kernelINS0_14default_configENS1_27lower_bound_config_selectorIjjEEZNS1_14transform_implILb0ES3_S5_N6thrust23THRUST_200600_302600_NS17counting_iteratorIjNS8_11use_defaultESA_SA_EENS8_6detail15normal_iteratorINS8_10device_ptrIjEEEEZNS1_13binary_searchIS3_S5_SG_SB_SG_NS1_21lower_bound_search_opENSC_16wrapped_functionINS0_4lessIvEEbEEEE10hipError_tPvRmT1_T2_T3_mmT4_T5_P12ihipStream_tbEUlRKjE_EESN_SR_SS_mST_SW_bEUlT_E_NS1_11comp_targetILNS1_3genE5ELNS1_11target_archE942ELNS1_3gpuE9ELNS1_3repE0EEENS1_30default_config_static_selectorELNS0_4arch9wavefront6targetE0EEEvSQ_
; %bb.0:
	.section	.rodata,"a",@progbits
	.p2align	6, 0x0
	.amdhsa_kernel _ZN7rocprim17ROCPRIM_400000_NS6detail17trampoline_kernelINS0_14default_configENS1_27lower_bound_config_selectorIjjEEZNS1_14transform_implILb0ES3_S5_N6thrust23THRUST_200600_302600_NS17counting_iteratorIjNS8_11use_defaultESA_SA_EENS8_6detail15normal_iteratorINS8_10device_ptrIjEEEEZNS1_13binary_searchIS3_S5_SG_SB_SG_NS1_21lower_bound_search_opENSC_16wrapped_functionINS0_4lessIvEEbEEEE10hipError_tPvRmT1_T2_T3_mmT4_T5_P12ihipStream_tbEUlRKjE_EESN_SR_SS_mST_SW_bEUlT_E_NS1_11comp_targetILNS1_3genE5ELNS1_11target_archE942ELNS1_3gpuE9ELNS1_3repE0EEENS1_30default_config_static_selectorELNS0_4arch9wavefront6targetE0EEEvSQ_
		.amdhsa_group_segment_fixed_size 0
		.amdhsa_private_segment_fixed_size 0
		.amdhsa_kernarg_size 56
		.amdhsa_user_sgpr_count 6
		.amdhsa_user_sgpr_private_segment_buffer 1
		.amdhsa_user_sgpr_dispatch_ptr 0
		.amdhsa_user_sgpr_queue_ptr 0
		.amdhsa_user_sgpr_kernarg_segment_ptr 1
		.amdhsa_user_sgpr_dispatch_id 0
		.amdhsa_user_sgpr_flat_scratch_init 0
		.amdhsa_user_sgpr_private_segment_size 0
		.amdhsa_wavefront_size32 1
		.amdhsa_uses_dynamic_stack 0
		.amdhsa_system_sgpr_private_segment_wavefront_offset 0
		.amdhsa_system_sgpr_workgroup_id_x 1
		.amdhsa_system_sgpr_workgroup_id_y 0
		.amdhsa_system_sgpr_workgroup_id_z 0
		.amdhsa_system_sgpr_workgroup_info 0
		.amdhsa_system_vgpr_workitem_id 0
		.amdhsa_next_free_vgpr 1
		.amdhsa_next_free_sgpr 1
		.amdhsa_reserve_vcc 0
		.amdhsa_reserve_flat_scratch 0
		.amdhsa_float_round_mode_32 0
		.amdhsa_float_round_mode_16_64 0
		.amdhsa_float_denorm_mode_32 3
		.amdhsa_float_denorm_mode_16_64 3
		.amdhsa_dx10_clamp 1
		.amdhsa_ieee_mode 1
		.amdhsa_fp16_overflow 0
		.amdhsa_workgroup_processor_mode 1
		.amdhsa_memory_ordered 1
		.amdhsa_forward_progress 1
		.amdhsa_shared_vgpr_count 0
		.amdhsa_exception_fp_ieee_invalid_op 0
		.amdhsa_exception_fp_denorm_src 0
		.amdhsa_exception_fp_ieee_div_zero 0
		.amdhsa_exception_fp_ieee_overflow 0
		.amdhsa_exception_fp_ieee_underflow 0
		.amdhsa_exception_fp_ieee_inexact 0
		.amdhsa_exception_int_div_zero 0
	.end_amdhsa_kernel
	.section	.text._ZN7rocprim17ROCPRIM_400000_NS6detail17trampoline_kernelINS0_14default_configENS1_27lower_bound_config_selectorIjjEEZNS1_14transform_implILb0ES3_S5_N6thrust23THRUST_200600_302600_NS17counting_iteratorIjNS8_11use_defaultESA_SA_EENS8_6detail15normal_iteratorINS8_10device_ptrIjEEEEZNS1_13binary_searchIS3_S5_SG_SB_SG_NS1_21lower_bound_search_opENSC_16wrapped_functionINS0_4lessIvEEbEEEE10hipError_tPvRmT1_T2_T3_mmT4_T5_P12ihipStream_tbEUlRKjE_EESN_SR_SS_mST_SW_bEUlT_E_NS1_11comp_targetILNS1_3genE5ELNS1_11target_archE942ELNS1_3gpuE9ELNS1_3repE0EEENS1_30default_config_static_selectorELNS0_4arch9wavefront6targetE0EEEvSQ_,"axG",@progbits,_ZN7rocprim17ROCPRIM_400000_NS6detail17trampoline_kernelINS0_14default_configENS1_27lower_bound_config_selectorIjjEEZNS1_14transform_implILb0ES3_S5_N6thrust23THRUST_200600_302600_NS17counting_iteratorIjNS8_11use_defaultESA_SA_EENS8_6detail15normal_iteratorINS8_10device_ptrIjEEEEZNS1_13binary_searchIS3_S5_SG_SB_SG_NS1_21lower_bound_search_opENSC_16wrapped_functionINS0_4lessIvEEbEEEE10hipError_tPvRmT1_T2_T3_mmT4_T5_P12ihipStream_tbEUlRKjE_EESN_SR_SS_mST_SW_bEUlT_E_NS1_11comp_targetILNS1_3genE5ELNS1_11target_archE942ELNS1_3gpuE9ELNS1_3repE0EEENS1_30default_config_static_selectorELNS0_4arch9wavefront6targetE0EEEvSQ_,comdat
.Lfunc_end231:
	.size	_ZN7rocprim17ROCPRIM_400000_NS6detail17trampoline_kernelINS0_14default_configENS1_27lower_bound_config_selectorIjjEEZNS1_14transform_implILb0ES3_S5_N6thrust23THRUST_200600_302600_NS17counting_iteratorIjNS8_11use_defaultESA_SA_EENS8_6detail15normal_iteratorINS8_10device_ptrIjEEEEZNS1_13binary_searchIS3_S5_SG_SB_SG_NS1_21lower_bound_search_opENSC_16wrapped_functionINS0_4lessIvEEbEEEE10hipError_tPvRmT1_T2_T3_mmT4_T5_P12ihipStream_tbEUlRKjE_EESN_SR_SS_mST_SW_bEUlT_E_NS1_11comp_targetILNS1_3genE5ELNS1_11target_archE942ELNS1_3gpuE9ELNS1_3repE0EEENS1_30default_config_static_selectorELNS0_4arch9wavefront6targetE0EEEvSQ_, .Lfunc_end231-_ZN7rocprim17ROCPRIM_400000_NS6detail17trampoline_kernelINS0_14default_configENS1_27lower_bound_config_selectorIjjEEZNS1_14transform_implILb0ES3_S5_N6thrust23THRUST_200600_302600_NS17counting_iteratorIjNS8_11use_defaultESA_SA_EENS8_6detail15normal_iteratorINS8_10device_ptrIjEEEEZNS1_13binary_searchIS3_S5_SG_SB_SG_NS1_21lower_bound_search_opENSC_16wrapped_functionINS0_4lessIvEEbEEEE10hipError_tPvRmT1_T2_T3_mmT4_T5_P12ihipStream_tbEUlRKjE_EESN_SR_SS_mST_SW_bEUlT_E_NS1_11comp_targetILNS1_3genE5ELNS1_11target_archE942ELNS1_3gpuE9ELNS1_3repE0EEENS1_30default_config_static_selectorELNS0_4arch9wavefront6targetE0EEEvSQ_
                                        ; -- End function
	.set _ZN7rocprim17ROCPRIM_400000_NS6detail17trampoline_kernelINS0_14default_configENS1_27lower_bound_config_selectorIjjEEZNS1_14transform_implILb0ES3_S5_N6thrust23THRUST_200600_302600_NS17counting_iteratorIjNS8_11use_defaultESA_SA_EENS8_6detail15normal_iteratorINS8_10device_ptrIjEEEEZNS1_13binary_searchIS3_S5_SG_SB_SG_NS1_21lower_bound_search_opENSC_16wrapped_functionINS0_4lessIvEEbEEEE10hipError_tPvRmT1_T2_T3_mmT4_T5_P12ihipStream_tbEUlRKjE_EESN_SR_SS_mST_SW_bEUlT_E_NS1_11comp_targetILNS1_3genE5ELNS1_11target_archE942ELNS1_3gpuE9ELNS1_3repE0EEENS1_30default_config_static_selectorELNS0_4arch9wavefront6targetE0EEEvSQ_.num_vgpr, 0
	.set _ZN7rocprim17ROCPRIM_400000_NS6detail17trampoline_kernelINS0_14default_configENS1_27lower_bound_config_selectorIjjEEZNS1_14transform_implILb0ES3_S5_N6thrust23THRUST_200600_302600_NS17counting_iteratorIjNS8_11use_defaultESA_SA_EENS8_6detail15normal_iteratorINS8_10device_ptrIjEEEEZNS1_13binary_searchIS3_S5_SG_SB_SG_NS1_21lower_bound_search_opENSC_16wrapped_functionINS0_4lessIvEEbEEEE10hipError_tPvRmT1_T2_T3_mmT4_T5_P12ihipStream_tbEUlRKjE_EESN_SR_SS_mST_SW_bEUlT_E_NS1_11comp_targetILNS1_3genE5ELNS1_11target_archE942ELNS1_3gpuE9ELNS1_3repE0EEENS1_30default_config_static_selectorELNS0_4arch9wavefront6targetE0EEEvSQ_.num_agpr, 0
	.set _ZN7rocprim17ROCPRIM_400000_NS6detail17trampoline_kernelINS0_14default_configENS1_27lower_bound_config_selectorIjjEEZNS1_14transform_implILb0ES3_S5_N6thrust23THRUST_200600_302600_NS17counting_iteratorIjNS8_11use_defaultESA_SA_EENS8_6detail15normal_iteratorINS8_10device_ptrIjEEEEZNS1_13binary_searchIS3_S5_SG_SB_SG_NS1_21lower_bound_search_opENSC_16wrapped_functionINS0_4lessIvEEbEEEE10hipError_tPvRmT1_T2_T3_mmT4_T5_P12ihipStream_tbEUlRKjE_EESN_SR_SS_mST_SW_bEUlT_E_NS1_11comp_targetILNS1_3genE5ELNS1_11target_archE942ELNS1_3gpuE9ELNS1_3repE0EEENS1_30default_config_static_selectorELNS0_4arch9wavefront6targetE0EEEvSQ_.numbered_sgpr, 0
	.set _ZN7rocprim17ROCPRIM_400000_NS6detail17trampoline_kernelINS0_14default_configENS1_27lower_bound_config_selectorIjjEEZNS1_14transform_implILb0ES3_S5_N6thrust23THRUST_200600_302600_NS17counting_iteratorIjNS8_11use_defaultESA_SA_EENS8_6detail15normal_iteratorINS8_10device_ptrIjEEEEZNS1_13binary_searchIS3_S5_SG_SB_SG_NS1_21lower_bound_search_opENSC_16wrapped_functionINS0_4lessIvEEbEEEE10hipError_tPvRmT1_T2_T3_mmT4_T5_P12ihipStream_tbEUlRKjE_EESN_SR_SS_mST_SW_bEUlT_E_NS1_11comp_targetILNS1_3genE5ELNS1_11target_archE942ELNS1_3gpuE9ELNS1_3repE0EEENS1_30default_config_static_selectorELNS0_4arch9wavefront6targetE0EEEvSQ_.num_named_barrier, 0
	.set _ZN7rocprim17ROCPRIM_400000_NS6detail17trampoline_kernelINS0_14default_configENS1_27lower_bound_config_selectorIjjEEZNS1_14transform_implILb0ES3_S5_N6thrust23THRUST_200600_302600_NS17counting_iteratorIjNS8_11use_defaultESA_SA_EENS8_6detail15normal_iteratorINS8_10device_ptrIjEEEEZNS1_13binary_searchIS3_S5_SG_SB_SG_NS1_21lower_bound_search_opENSC_16wrapped_functionINS0_4lessIvEEbEEEE10hipError_tPvRmT1_T2_T3_mmT4_T5_P12ihipStream_tbEUlRKjE_EESN_SR_SS_mST_SW_bEUlT_E_NS1_11comp_targetILNS1_3genE5ELNS1_11target_archE942ELNS1_3gpuE9ELNS1_3repE0EEENS1_30default_config_static_selectorELNS0_4arch9wavefront6targetE0EEEvSQ_.private_seg_size, 0
	.set _ZN7rocprim17ROCPRIM_400000_NS6detail17trampoline_kernelINS0_14default_configENS1_27lower_bound_config_selectorIjjEEZNS1_14transform_implILb0ES3_S5_N6thrust23THRUST_200600_302600_NS17counting_iteratorIjNS8_11use_defaultESA_SA_EENS8_6detail15normal_iteratorINS8_10device_ptrIjEEEEZNS1_13binary_searchIS3_S5_SG_SB_SG_NS1_21lower_bound_search_opENSC_16wrapped_functionINS0_4lessIvEEbEEEE10hipError_tPvRmT1_T2_T3_mmT4_T5_P12ihipStream_tbEUlRKjE_EESN_SR_SS_mST_SW_bEUlT_E_NS1_11comp_targetILNS1_3genE5ELNS1_11target_archE942ELNS1_3gpuE9ELNS1_3repE0EEENS1_30default_config_static_selectorELNS0_4arch9wavefront6targetE0EEEvSQ_.uses_vcc, 0
	.set _ZN7rocprim17ROCPRIM_400000_NS6detail17trampoline_kernelINS0_14default_configENS1_27lower_bound_config_selectorIjjEEZNS1_14transform_implILb0ES3_S5_N6thrust23THRUST_200600_302600_NS17counting_iteratorIjNS8_11use_defaultESA_SA_EENS8_6detail15normal_iteratorINS8_10device_ptrIjEEEEZNS1_13binary_searchIS3_S5_SG_SB_SG_NS1_21lower_bound_search_opENSC_16wrapped_functionINS0_4lessIvEEbEEEE10hipError_tPvRmT1_T2_T3_mmT4_T5_P12ihipStream_tbEUlRKjE_EESN_SR_SS_mST_SW_bEUlT_E_NS1_11comp_targetILNS1_3genE5ELNS1_11target_archE942ELNS1_3gpuE9ELNS1_3repE0EEENS1_30default_config_static_selectorELNS0_4arch9wavefront6targetE0EEEvSQ_.uses_flat_scratch, 0
	.set _ZN7rocprim17ROCPRIM_400000_NS6detail17trampoline_kernelINS0_14default_configENS1_27lower_bound_config_selectorIjjEEZNS1_14transform_implILb0ES3_S5_N6thrust23THRUST_200600_302600_NS17counting_iteratorIjNS8_11use_defaultESA_SA_EENS8_6detail15normal_iteratorINS8_10device_ptrIjEEEEZNS1_13binary_searchIS3_S5_SG_SB_SG_NS1_21lower_bound_search_opENSC_16wrapped_functionINS0_4lessIvEEbEEEE10hipError_tPvRmT1_T2_T3_mmT4_T5_P12ihipStream_tbEUlRKjE_EESN_SR_SS_mST_SW_bEUlT_E_NS1_11comp_targetILNS1_3genE5ELNS1_11target_archE942ELNS1_3gpuE9ELNS1_3repE0EEENS1_30default_config_static_selectorELNS0_4arch9wavefront6targetE0EEEvSQ_.has_dyn_sized_stack, 0
	.set _ZN7rocprim17ROCPRIM_400000_NS6detail17trampoline_kernelINS0_14default_configENS1_27lower_bound_config_selectorIjjEEZNS1_14transform_implILb0ES3_S5_N6thrust23THRUST_200600_302600_NS17counting_iteratorIjNS8_11use_defaultESA_SA_EENS8_6detail15normal_iteratorINS8_10device_ptrIjEEEEZNS1_13binary_searchIS3_S5_SG_SB_SG_NS1_21lower_bound_search_opENSC_16wrapped_functionINS0_4lessIvEEbEEEE10hipError_tPvRmT1_T2_T3_mmT4_T5_P12ihipStream_tbEUlRKjE_EESN_SR_SS_mST_SW_bEUlT_E_NS1_11comp_targetILNS1_3genE5ELNS1_11target_archE942ELNS1_3gpuE9ELNS1_3repE0EEENS1_30default_config_static_selectorELNS0_4arch9wavefront6targetE0EEEvSQ_.has_recursion, 0
	.set _ZN7rocprim17ROCPRIM_400000_NS6detail17trampoline_kernelINS0_14default_configENS1_27lower_bound_config_selectorIjjEEZNS1_14transform_implILb0ES3_S5_N6thrust23THRUST_200600_302600_NS17counting_iteratorIjNS8_11use_defaultESA_SA_EENS8_6detail15normal_iteratorINS8_10device_ptrIjEEEEZNS1_13binary_searchIS3_S5_SG_SB_SG_NS1_21lower_bound_search_opENSC_16wrapped_functionINS0_4lessIvEEbEEEE10hipError_tPvRmT1_T2_T3_mmT4_T5_P12ihipStream_tbEUlRKjE_EESN_SR_SS_mST_SW_bEUlT_E_NS1_11comp_targetILNS1_3genE5ELNS1_11target_archE942ELNS1_3gpuE9ELNS1_3repE0EEENS1_30default_config_static_selectorELNS0_4arch9wavefront6targetE0EEEvSQ_.has_indirect_call, 0
	.section	.AMDGPU.csdata,"",@progbits
; Kernel info:
; codeLenInByte = 0
; TotalNumSgprs: 0
; NumVgprs: 0
; ScratchSize: 0
; MemoryBound: 0
; FloatMode: 240
; IeeeMode: 1
; LDSByteSize: 0 bytes/workgroup (compile time only)
; SGPRBlocks: 0
; VGPRBlocks: 0
; NumSGPRsForWavesPerEU: 1
; NumVGPRsForWavesPerEU: 1
; Occupancy: 16
; WaveLimiterHint : 0
; COMPUTE_PGM_RSRC2:SCRATCH_EN: 0
; COMPUTE_PGM_RSRC2:USER_SGPR: 6
; COMPUTE_PGM_RSRC2:TRAP_HANDLER: 0
; COMPUTE_PGM_RSRC2:TGID_X_EN: 1
; COMPUTE_PGM_RSRC2:TGID_Y_EN: 0
; COMPUTE_PGM_RSRC2:TGID_Z_EN: 0
; COMPUTE_PGM_RSRC2:TIDIG_COMP_CNT: 0
	.section	.text._ZN7rocprim17ROCPRIM_400000_NS6detail17trampoline_kernelINS0_14default_configENS1_27lower_bound_config_selectorIjjEEZNS1_14transform_implILb0ES3_S5_N6thrust23THRUST_200600_302600_NS17counting_iteratorIjNS8_11use_defaultESA_SA_EENS8_6detail15normal_iteratorINS8_10device_ptrIjEEEEZNS1_13binary_searchIS3_S5_SG_SB_SG_NS1_21lower_bound_search_opENSC_16wrapped_functionINS0_4lessIvEEbEEEE10hipError_tPvRmT1_T2_T3_mmT4_T5_P12ihipStream_tbEUlRKjE_EESN_SR_SS_mST_SW_bEUlT_E_NS1_11comp_targetILNS1_3genE4ELNS1_11target_archE910ELNS1_3gpuE8ELNS1_3repE0EEENS1_30default_config_static_selectorELNS0_4arch9wavefront6targetE0EEEvSQ_,"axG",@progbits,_ZN7rocprim17ROCPRIM_400000_NS6detail17trampoline_kernelINS0_14default_configENS1_27lower_bound_config_selectorIjjEEZNS1_14transform_implILb0ES3_S5_N6thrust23THRUST_200600_302600_NS17counting_iteratorIjNS8_11use_defaultESA_SA_EENS8_6detail15normal_iteratorINS8_10device_ptrIjEEEEZNS1_13binary_searchIS3_S5_SG_SB_SG_NS1_21lower_bound_search_opENSC_16wrapped_functionINS0_4lessIvEEbEEEE10hipError_tPvRmT1_T2_T3_mmT4_T5_P12ihipStream_tbEUlRKjE_EESN_SR_SS_mST_SW_bEUlT_E_NS1_11comp_targetILNS1_3genE4ELNS1_11target_archE910ELNS1_3gpuE8ELNS1_3repE0EEENS1_30default_config_static_selectorELNS0_4arch9wavefront6targetE0EEEvSQ_,comdat
	.protected	_ZN7rocprim17ROCPRIM_400000_NS6detail17trampoline_kernelINS0_14default_configENS1_27lower_bound_config_selectorIjjEEZNS1_14transform_implILb0ES3_S5_N6thrust23THRUST_200600_302600_NS17counting_iteratorIjNS8_11use_defaultESA_SA_EENS8_6detail15normal_iteratorINS8_10device_ptrIjEEEEZNS1_13binary_searchIS3_S5_SG_SB_SG_NS1_21lower_bound_search_opENSC_16wrapped_functionINS0_4lessIvEEbEEEE10hipError_tPvRmT1_T2_T3_mmT4_T5_P12ihipStream_tbEUlRKjE_EESN_SR_SS_mST_SW_bEUlT_E_NS1_11comp_targetILNS1_3genE4ELNS1_11target_archE910ELNS1_3gpuE8ELNS1_3repE0EEENS1_30default_config_static_selectorELNS0_4arch9wavefront6targetE0EEEvSQ_ ; -- Begin function _ZN7rocprim17ROCPRIM_400000_NS6detail17trampoline_kernelINS0_14default_configENS1_27lower_bound_config_selectorIjjEEZNS1_14transform_implILb0ES3_S5_N6thrust23THRUST_200600_302600_NS17counting_iteratorIjNS8_11use_defaultESA_SA_EENS8_6detail15normal_iteratorINS8_10device_ptrIjEEEEZNS1_13binary_searchIS3_S5_SG_SB_SG_NS1_21lower_bound_search_opENSC_16wrapped_functionINS0_4lessIvEEbEEEE10hipError_tPvRmT1_T2_T3_mmT4_T5_P12ihipStream_tbEUlRKjE_EESN_SR_SS_mST_SW_bEUlT_E_NS1_11comp_targetILNS1_3genE4ELNS1_11target_archE910ELNS1_3gpuE8ELNS1_3repE0EEENS1_30default_config_static_selectorELNS0_4arch9wavefront6targetE0EEEvSQ_
	.globl	_ZN7rocprim17ROCPRIM_400000_NS6detail17trampoline_kernelINS0_14default_configENS1_27lower_bound_config_selectorIjjEEZNS1_14transform_implILb0ES3_S5_N6thrust23THRUST_200600_302600_NS17counting_iteratorIjNS8_11use_defaultESA_SA_EENS8_6detail15normal_iteratorINS8_10device_ptrIjEEEEZNS1_13binary_searchIS3_S5_SG_SB_SG_NS1_21lower_bound_search_opENSC_16wrapped_functionINS0_4lessIvEEbEEEE10hipError_tPvRmT1_T2_T3_mmT4_T5_P12ihipStream_tbEUlRKjE_EESN_SR_SS_mST_SW_bEUlT_E_NS1_11comp_targetILNS1_3genE4ELNS1_11target_archE910ELNS1_3gpuE8ELNS1_3repE0EEENS1_30default_config_static_selectorELNS0_4arch9wavefront6targetE0EEEvSQ_
	.p2align	8
	.type	_ZN7rocprim17ROCPRIM_400000_NS6detail17trampoline_kernelINS0_14default_configENS1_27lower_bound_config_selectorIjjEEZNS1_14transform_implILb0ES3_S5_N6thrust23THRUST_200600_302600_NS17counting_iteratorIjNS8_11use_defaultESA_SA_EENS8_6detail15normal_iteratorINS8_10device_ptrIjEEEEZNS1_13binary_searchIS3_S5_SG_SB_SG_NS1_21lower_bound_search_opENSC_16wrapped_functionINS0_4lessIvEEbEEEE10hipError_tPvRmT1_T2_T3_mmT4_T5_P12ihipStream_tbEUlRKjE_EESN_SR_SS_mST_SW_bEUlT_E_NS1_11comp_targetILNS1_3genE4ELNS1_11target_archE910ELNS1_3gpuE8ELNS1_3repE0EEENS1_30default_config_static_selectorELNS0_4arch9wavefront6targetE0EEEvSQ_,@function
_ZN7rocprim17ROCPRIM_400000_NS6detail17trampoline_kernelINS0_14default_configENS1_27lower_bound_config_selectorIjjEEZNS1_14transform_implILb0ES3_S5_N6thrust23THRUST_200600_302600_NS17counting_iteratorIjNS8_11use_defaultESA_SA_EENS8_6detail15normal_iteratorINS8_10device_ptrIjEEEEZNS1_13binary_searchIS3_S5_SG_SB_SG_NS1_21lower_bound_search_opENSC_16wrapped_functionINS0_4lessIvEEbEEEE10hipError_tPvRmT1_T2_T3_mmT4_T5_P12ihipStream_tbEUlRKjE_EESN_SR_SS_mST_SW_bEUlT_E_NS1_11comp_targetILNS1_3genE4ELNS1_11target_archE910ELNS1_3gpuE8ELNS1_3repE0EEENS1_30default_config_static_selectorELNS0_4arch9wavefront6targetE0EEEvSQ_: ; @_ZN7rocprim17ROCPRIM_400000_NS6detail17trampoline_kernelINS0_14default_configENS1_27lower_bound_config_selectorIjjEEZNS1_14transform_implILb0ES3_S5_N6thrust23THRUST_200600_302600_NS17counting_iteratorIjNS8_11use_defaultESA_SA_EENS8_6detail15normal_iteratorINS8_10device_ptrIjEEEEZNS1_13binary_searchIS3_S5_SG_SB_SG_NS1_21lower_bound_search_opENSC_16wrapped_functionINS0_4lessIvEEbEEEE10hipError_tPvRmT1_T2_T3_mmT4_T5_P12ihipStream_tbEUlRKjE_EESN_SR_SS_mST_SW_bEUlT_E_NS1_11comp_targetILNS1_3genE4ELNS1_11target_archE910ELNS1_3gpuE8ELNS1_3repE0EEENS1_30default_config_static_selectorELNS0_4arch9wavefront6targetE0EEEvSQ_
; %bb.0:
	.section	.rodata,"a",@progbits
	.p2align	6, 0x0
	.amdhsa_kernel _ZN7rocprim17ROCPRIM_400000_NS6detail17trampoline_kernelINS0_14default_configENS1_27lower_bound_config_selectorIjjEEZNS1_14transform_implILb0ES3_S5_N6thrust23THRUST_200600_302600_NS17counting_iteratorIjNS8_11use_defaultESA_SA_EENS8_6detail15normal_iteratorINS8_10device_ptrIjEEEEZNS1_13binary_searchIS3_S5_SG_SB_SG_NS1_21lower_bound_search_opENSC_16wrapped_functionINS0_4lessIvEEbEEEE10hipError_tPvRmT1_T2_T3_mmT4_T5_P12ihipStream_tbEUlRKjE_EESN_SR_SS_mST_SW_bEUlT_E_NS1_11comp_targetILNS1_3genE4ELNS1_11target_archE910ELNS1_3gpuE8ELNS1_3repE0EEENS1_30default_config_static_selectorELNS0_4arch9wavefront6targetE0EEEvSQ_
		.amdhsa_group_segment_fixed_size 0
		.amdhsa_private_segment_fixed_size 0
		.amdhsa_kernarg_size 56
		.amdhsa_user_sgpr_count 6
		.amdhsa_user_sgpr_private_segment_buffer 1
		.amdhsa_user_sgpr_dispatch_ptr 0
		.amdhsa_user_sgpr_queue_ptr 0
		.amdhsa_user_sgpr_kernarg_segment_ptr 1
		.amdhsa_user_sgpr_dispatch_id 0
		.amdhsa_user_sgpr_flat_scratch_init 0
		.amdhsa_user_sgpr_private_segment_size 0
		.amdhsa_wavefront_size32 1
		.amdhsa_uses_dynamic_stack 0
		.amdhsa_system_sgpr_private_segment_wavefront_offset 0
		.amdhsa_system_sgpr_workgroup_id_x 1
		.amdhsa_system_sgpr_workgroup_id_y 0
		.amdhsa_system_sgpr_workgroup_id_z 0
		.amdhsa_system_sgpr_workgroup_info 0
		.amdhsa_system_vgpr_workitem_id 0
		.amdhsa_next_free_vgpr 1
		.amdhsa_next_free_sgpr 1
		.amdhsa_reserve_vcc 0
		.amdhsa_reserve_flat_scratch 0
		.amdhsa_float_round_mode_32 0
		.amdhsa_float_round_mode_16_64 0
		.amdhsa_float_denorm_mode_32 3
		.amdhsa_float_denorm_mode_16_64 3
		.amdhsa_dx10_clamp 1
		.amdhsa_ieee_mode 1
		.amdhsa_fp16_overflow 0
		.amdhsa_workgroup_processor_mode 1
		.amdhsa_memory_ordered 1
		.amdhsa_forward_progress 1
		.amdhsa_shared_vgpr_count 0
		.amdhsa_exception_fp_ieee_invalid_op 0
		.amdhsa_exception_fp_denorm_src 0
		.amdhsa_exception_fp_ieee_div_zero 0
		.amdhsa_exception_fp_ieee_overflow 0
		.amdhsa_exception_fp_ieee_underflow 0
		.amdhsa_exception_fp_ieee_inexact 0
		.amdhsa_exception_int_div_zero 0
	.end_amdhsa_kernel
	.section	.text._ZN7rocprim17ROCPRIM_400000_NS6detail17trampoline_kernelINS0_14default_configENS1_27lower_bound_config_selectorIjjEEZNS1_14transform_implILb0ES3_S5_N6thrust23THRUST_200600_302600_NS17counting_iteratorIjNS8_11use_defaultESA_SA_EENS8_6detail15normal_iteratorINS8_10device_ptrIjEEEEZNS1_13binary_searchIS3_S5_SG_SB_SG_NS1_21lower_bound_search_opENSC_16wrapped_functionINS0_4lessIvEEbEEEE10hipError_tPvRmT1_T2_T3_mmT4_T5_P12ihipStream_tbEUlRKjE_EESN_SR_SS_mST_SW_bEUlT_E_NS1_11comp_targetILNS1_3genE4ELNS1_11target_archE910ELNS1_3gpuE8ELNS1_3repE0EEENS1_30default_config_static_selectorELNS0_4arch9wavefront6targetE0EEEvSQ_,"axG",@progbits,_ZN7rocprim17ROCPRIM_400000_NS6detail17trampoline_kernelINS0_14default_configENS1_27lower_bound_config_selectorIjjEEZNS1_14transform_implILb0ES3_S5_N6thrust23THRUST_200600_302600_NS17counting_iteratorIjNS8_11use_defaultESA_SA_EENS8_6detail15normal_iteratorINS8_10device_ptrIjEEEEZNS1_13binary_searchIS3_S5_SG_SB_SG_NS1_21lower_bound_search_opENSC_16wrapped_functionINS0_4lessIvEEbEEEE10hipError_tPvRmT1_T2_T3_mmT4_T5_P12ihipStream_tbEUlRKjE_EESN_SR_SS_mST_SW_bEUlT_E_NS1_11comp_targetILNS1_3genE4ELNS1_11target_archE910ELNS1_3gpuE8ELNS1_3repE0EEENS1_30default_config_static_selectorELNS0_4arch9wavefront6targetE0EEEvSQ_,comdat
.Lfunc_end232:
	.size	_ZN7rocprim17ROCPRIM_400000_NS6detail17trampoline_kernelINS0_14default_configENS1_27lower_bound_config_selectorIjjEEZNS1_14transform_implILb0ES3_S5_N6thrust23THRUST_200600_302600_NS17counting_iteratorIjNS8_11use_defaultESA_SA_EENS8_6detail15normal_iteratorINS8_10device_ptrIjEEEEZNS1_13binary_searchIS3_S5_SG_SB_SG_NS1_21lower_bound_search_opENSC_16wrapped_functionINS0_4lessIvEEbEEEE10hipError_tPvRmT1_T2_T3_mmT4_T5_P12ihipStream_tbEUlRKjE_EESN_SR_SS_mST_SW_bEUlT_E_NS1_11comp_targetILNS1_3genE4ELNS1_11target_archE910ELNS1_3gpuE8ELNS1_3repE0EEENS1_30default_config_static_selectorELNS0_4arch9wavefront6targetE0EEEvSQ_, .Lfunc_end232-_ZN7rocprim17ROCPRIM_400000_NS6detail17trampoline_kernelINS0_14default_configENS1_27lower_bound_config_selectorIjjEEZNS1_14transform_implILb0ES3_S5_N6thrust23THRUST_200600_302600_NS17counting_iteratorIjNS8_11use_defaultESA_SA_EENS8_6detail15normal_iteratorINS8_10device_ptrIjEEEEZNS1_13binary_searchIS3_S5_SG_SB_SG_NS1_21lower_bound_search_opENSC_16wrapped_functionINS0_4lessIvEEbEEEE10hipError_tPvRmT1_T2_T3_mmT4_T5_P12ihipStream_tbEUlRKjE_EESN_SR_SS_mST_SW_bEUlT_E_NS1_11comp_targetILNS1_3genE4ELNS1_11target_archE910ELNS1_3gpuE8ELNS1_3repE0EEENS1_30default_config_static_selectorELNS0_4arch9wavefront6targetE0EEEvSQ_
                                        ; -- End function
	.set _ZN7rocprim17ROCPRIM_400000_NS6detail17trampoline_kernelINS0_14default_configENS1_27lower_bound_config_selectorIjjEEZNS1_14transform_implILb0ES3_S5_N6thrust23THRUST_200600_302600_NS17counting_iteratorIjNS8_11use_defaultESA_SA_EENS8_6detail15normal_iteratorINS8_10device_ptrIjEEEEZNS1_13binary_searchIS3_S5_SG_SB_SG_NS1_21lower_bound_search_opENSC_16wrapped_functionINS0_4lessIvEEbEEEE10hipError_tPvRmT1_T2_T3_mmT4_T5_P12ihipStream_tbEUlRKjE_EESN_SR_SS_mST_SW_bEUlT_E_NS1_11comp_targetILNS1_3genE4ELNS1_11target_archE910ELNS1_3gpuE8ELNS1_3repE0EEENS1_30default_config_static_selectorELNS0_4arch9wavefront6targetE0EEEvSQ_.num_vgpr, 0
	.set _ZN7rocprim17ROCPRIM_400000_NS6detail17trampoline_kernelINS0_14default_configENS1_27lower_bound_config_selectorIjjEEZNS1_14transform_implILb0ES3_S5_N6thrust23THRUST_200600_302600_NS17counting_iteratorIjNS8_11use_defaultESA_SA_EENS8_6detail15normal_iteratorINS8_10device_ptrIjEEEEZNS1_13binary_searchIS3_S5_SG_SB_SG_NS1_21lower_bound_search_opENSC_16wrapped_functionINS0_4lessIvEEbEEEE10hipError_tPvRmT1_T2_T3_mmT4_T5_P12ihipStream_tbEUlRKjE_EESN_SR_SS_mST_SW_bEUlT_E_NS1_11comp_targetILNS1_3genE4ELNS1_11target_archE910ELNS1_3gpuE8ELNS1_3repE0EEENS1_30default_config_static_selectorELNS0_4arch9wavefront6targetE0EEEvSQ_.num_agpr, 0
	.set _ZN7rocprim17ROCPRIM_400000_NS6detail17trampoline_kernelINS0_14default_configENS1_27lower_bound_config_selectorIjjEEZNS1_14transform_implILb0ES3_S5_N6thrust23THRUST_200600_302600_NS17counting_iteratorIjNS8_11use_defaultESA_SA_EENS8_6detail15normal_iteratorINS8_10device_ptrIjEEEEZNS1_13binary_searchIS3_S5_SG_SB_SG_NS1_21lower_bound_search_opENSC_16wrapped_functionINS0_4lessIvEEbEEEE10hipError_tPvRmT1_T2_T3_mmT4_T5_P12ihipStream_tbEUlRKjE_EESN_SR_SS_mST_SW_bEUlT_E_NS1_11comp_targetILNS1_3genE4ELNS1_11target_archE910ELNS1_3gpuE8ELNS1_3repE0EEENS1_30default_config_static_selectorELNS0_4arch9wavefront6targetE0EEEvSQ_.numbered_sgpr, 0
	.set _ZN7rocprim17ROCPRIM_400000_NS6detail17trampoline_kernelINS0_14default_configENS1_27lower_bound_config_selectorIjjEEZNS1_14transform_implILb0ES3_S5_N6thrust23THRUST_200600_302600_NS17counting_iteratorIjNS8_11use_defaultESA_SA_EENS8_6detail15normal_iteratorINS8_10device_ptrIjEEEEZNS1_13binary_searchIS3_S5_SG_SB_SG_NS1_21lower_bound_search_opENSC_16wrapped_functionINS0_4lessIvEEbEEEE10hipError_tPvRmT1_T2_T3_mmT4_T5_P12ihipStream_tbEUlRKjE_EESN_SR_SS_mST_SW_bEUlT_E_NS1_11comp_targetILNS1_3genE4ELNS1_11target_archE910ELNS1_3gpuE8ELNS1_3repE0EEENS1_30default_config_static_selectorELNS0_4arch9wavefront6targetE0EEEvSQ_.num_named_barrier, 0
	.set _ZN7rocprim17ROCPRIM_400000_NS6detail17trampoline_kernelINS0_14default_configENS1_27lower_bound_config_selectorIjjEEZNS1_14transform_implILb0ES3_S5_N6thrust23THRUST_200600_302600_NS17counting_iteratorIjNS8_11use_defaultESA_SA_EENS8_6detail15normal_iteratorINS8_10device_ptrIjEEEEZNS1_13binary_searchIS3_S5_SG_SB_SG_NS1_21lower_bound_search_opENSC_16wrapped_functionINS0_4lessIvEEbEEEE10hipError_tPvRmT1_T2_T3_mmT4_T5_P12ihipStream_tbEUlRKjE_EESN_SR_SS_mST_SW_bEUlT_E_NS1_11comp_targetILNS1_3genE4ELNS1_11target_archE910ELNS1_3gpuE8ELNS1_3repE0EEENS1_30default_config_static_selectorELNS0_4arch9wavefront6targetE0EEEvSQ_.private_seg_size, 0
	.set _ZN7rocprim17ROCPRIM_400000_NS6detail17trampoline_kernelINS0_14default_configENS1_27lower_bound_config_selectorIjjEEZNS1_14transform_implILb0ES3_S5_N6thrust23THRUST_200600_302600_NS17counting_iteratorIjNS8_11use_defaultESA_SA_EENS8_6detail15normal_iteratorINS8_10device_ptrIjEEEEZNS1_13binary_searchIS3_S5_SG_SB_SG_NS1_21lower_bound_search_opENSC_16wrapped_functionINS0_4lessIvEEbEEEE10hipError_tPvRmT1_T2_T3_mmT4_T5_P12ihipStream_tbEUlRKjE_EESN_SR_SS_mST_SW_bEUlT_E_NS1_11comp_targetILNS1_3genE4ELNS1_11target_archE910ELNS1_3gpuE8ELNS1_3repE0EEENS1_30default_config_static_selectorELNS0_4arch9wavefront6targetE0EEEvSQ_.uses_vcc, 0
	.set _ZN7rocprim17ROCPRIM_400000_NS6detail17trampoline_kernelINS0_14default_configENS1_27lower_bound_config_selectorIjjEEZNS1_14transform_implILb0ES3_S5_N6thrust23THRUST_200600_302600_NS17counting_iteratorIjNS8_11use_defaultESA_SA_EENS8_6detail15normal_iteratorINS8_10device_ptrIjEEEEZNS1_13binary_searchIS3_S5_SG_SB_SG_NS1_21lower_bound_search_opENSC_16wrapped_functionINS0_4lessIvEEbEEEE10hipError_tPvRmT1_T2_T3_mmT4_T5_P12ihipStream_tbEUlRKjE_EESN_SR_SS_mST_SW_bEUlT_E_NS1_11comp_targetILNS1_3genE4ELNS1_11target_archE910ELNS1_3gpuE8ELNS1_3repE0EEENS1_30default_config_static_selectorELNS0_4arch9wavefront6targetE0EEEvSQ_.uses_flat_scratch, 0
	.set _ZN7rocprim17ROCPRIM_400000_NS6detail17trampoline_kernelINS0_14default_configENS1_27lower_bound_config_selectorIjjEEZNS1_14transform_implILb0ES3_S5_N6thrust23THRUST_200600_302600_NS17counting_iteratorIjNS8_11use_defaultESA_SA_EENS8_6detail15normal_iteratorINS8_10device_ptrIjEEEEZNS1_13binary_searchIS3_S5_SG_SB_SG_NS1_21lower_bound_search_opENSC_16wrapped_functionINS0_4lessIvEEbEEEE10hipError_tPvRmT1_T2_T3_mmT4_T5_P12ihipStream_tbEUlRKjE_EESN_SR_SS_mST_SW_bEUlT_E_NS1_11comp_targetILNS1_3genE4ELNS1_11target_archE910ELNS1_3gpuE8ELNS1_3repE0EEENS1_30default_config_static_selectorELNS0_4arch9wavefront6targetE0EEEvSQ_.has_dyn_sized_stack, 0
	.set _ZN7rocprim17ROCPRIM_400000_NS6detail17trampoline_kernelINS0_14default_configENS1_27lower_bound_config_selectorIjjEEZNS1_14transform_implILb0ES3_S5_N6thrust23THRUST_200600_302600_NS17counting_iteratorIjNS8_11use_defaultESA_SA_EENS8_6detail15normal_iteratorINS8_10device_ptrIjEEEEZNS1_13binary_searchIS3_S5_SG_SB_SG_NS1_21lower_bound_search_opENSC_16wrapped_functionINS0_4lessIvEEbEEEE10hipError_tPvRmT1_T2_T3_mmT4_T5_P12ihipStream_tbEUlRKjE_EESN_SR_SS_mST_SW_bEUlT_E_NS1_11comp_targetILNS1_3genE4ELNS1_11target_archE910ELNS1_3gpuE8ELNS1_3repE0EEENS1_30default_config_static_selectorELNS0_4arch9wavefront6targetE0EEEvSQ_.has_recursion, 0
	.set _ZN7rocprim17ROCPRIM_400000_NS6detail17trampoline_kernelINS0_14default_configENS1_27lower_bound_config_selectorIjjEEZNS1_14transform_implILb0ES3_S5_N6thrust23THRUST_200600_302600_NS17counting_iteratorIjNS8_11use_defaultESA_SA_EENS8_6detail15normal_iteratorINS8_10device_ptrIjEEEEZNS1_13binary_searchIS3_S5_SG_SB_SG_NS1_21lower_bound_search_opENSC_16wrapped_functionINS0_4lessIvEEbEEEE10hipError_tPvRmT1_T2_T3_mmT4_T5_P12ihipStream_tbEUlRKjE_EESN_SR_SS_mST_SW_bEUlT_E_NS1_11comp_targetILNS1_3genE4ELNS1_11target_archE910ELNS1_3gpuE8ELNS1_3repE0EEENS1_30default_config_static_selectorELNS0_4arch9wavefront6targetE0EEEvSQ_.has_indirect_call, 0
	.section	.AMDGPU.csdata,"",@progbits
; Kernel info:
; codeLenInByte = 0
; TotalNumSgprs: 0
; NumVgprs: 0
; ScratchSize: 0
; MemoryBound: 0
; FloatMode: 240
; IeeeMode: 1
; LDSByteSize: 0 bytes/workgroup (compile time only)
; SGPRBlocks: 0
; VGPRBlocks: 0
; NumSGPRsForWavesPerEU: 1
; NumVGPRsForWavesPerEU: 1
; Occupancy: 16
; WaveLimiterHint : 0
; COMPUTE_PGM_RSRC2:SCRATCH_EN: 0
; COMPUTE_PGM_RSRC2:USER_SGPR: 6
; COMPUTE_PGM_RSRC2:TRAP_HANDLER: 0
; COMPUTE_PGM_RSRC2:TGID_X_EN: 1
; COMPUTE_PGM_RSRC2:TGID_Y_EN: 0
; COMPUTE_PGM_RSRC2:TGID_Z_EN: 0
; COMPUTE_PGM_RSRC2:TIDIG_COMP_CNT: 0
	.section	.text._ZN7rocprim17ROCPRIM_400000_NS6detail17trampoline_kernelINS0_14default_configENS1_27lower_bound_config_selectorIjjEEZNS1_14transform_implILb0ES3_S5_N6thrust23THRUST_200600_302600_NS17counting_iteratorIjNS8_11use_defaultESA_SA_EENS8_6detail15normal_iteratorINS8_10device_ptrIjEEEEZNS1_13binary_searchIS3_S5_SG_SB_SG_NS1_21lower_bound_search_opENSC_16wrapped_functionINS0_4lessIvEEbEEEE10hipError_tPvRmT1_T2_T3_mmT4_T5_P12ihipStream_tbEUlRKjE_EESN_SR_SS_mST_SW_bEUlT_E_NS1_11comp_targetILNS1_3genE3ELNS1_11target_archE908ELNS1_3gpuE7ELNS1_3repE0EEENS1_30default_config_static_selectorELNS0_4arch9wavefront6targetE0EEEvSQ_,"axG",@progbits,_ZN7rocprim17ROCPRIM_400000_NS6detail17trampoline_kernelINS0_14default_configENS1_27lower_bound_config_selectorIjjEEZNS1_14transform_implILb0ES3_S5_N6thrust23THRUST_200600_302600_NS17counting_iteratorIjNS8_11use_defaultESA_SA_EENS8_6detail15normal_iteratorINS8_10device_ptrIjEEEEZNS1_13binary_searchIS3_S5_SG_SB_SG_NS1_21lower_bound_search_opENSC_16wrapped_functionINS0_4lessIvEEbEEEE10hipError_tPvRmT1_T2_T3_mmT4_T5_P12ihipStream_tbEUlRKjE_EESN_SR_SS_mST_SW_bEUlT_E_NS1_11comp_targetILNS1_3genE3ELNS1_11target_archE908ELNS1_3gpuE7ELNS1_3repE0EEENS1_30default_config_static_selectorELNS0_4arch9wavefront6targetE0EEEvSQ_,comdat
	.protected	_ZN7rocprim17ROCPRIM_400000_NS6detail17trampoline_kernelINS0_14default_configENS1_27lower_bound_config_selectorIjjEEZNS1_14transform_implILb0ES3_S5_N6thrust23THRUST_200600_302600_NS17counting_iteratorIjNS8_11use_defaultESA_SA_EENS8_6detail15normal_iteratorINS8_10device_ptrIjEEEEZNS1_13binary_searchIS3_S5_SG_SB_SG_NS1_21lower_bound_search_opENSC_16wrapped_functionINS0_4lessIvEEbEEEE10hipError_tPvRmT1_T2_T3_mmT4_T5_P12ihipStream_tbEUlRKjE_EESN_SR_SS_mST_SW_bEUlT_E_NS1_11comp_targetILNS1_3genE3ELNS1_11target_archE908ELNS1_3gpuE7ELNS1_3repE0EEENS1_30default_config_static_selectorELNS0_4arch9wavefront6targetE0EEEvSQ_ ; -- Begin function _ZN7rocprim17ROCPRIM_400000_NS6detail17trampoline_kernelINS0_14default_configENS1_27lower_bound_config_selectorIjjEEZNS1_14transform_implILb0ES3_S5_N6thrust23THRUST_200600_302600_NS17counting_iteratorIjNS8_11use_defaultESA_SA_EENS8_6detail15normal_iteratorINS8_10device_ptrIjEEEEZNS1_13binary_searchIS3_S5_SG_SB_SG_NS1_21lower_bound_search_opENSC_16wrapped_functionINS0_4lessIvEEbEEEE10hipError_tPvRmT1_T2_T3_mmT4_T5_P12ihipStream_tbEUlRKjE_EESN_SR_SS_mST_SW_bEUlT_E_NS1_11comp_targetILNS1_3genE3ELNS1_11target_archE908ELNS1_3gpuE7ELNS1_3repE0EEENS1_30default_config_static_selectorELNS0_4arch9wavefront6targetE0EEEvSQ_
	.globl	_ZN7rocprim17ROCPRIM_400000_NS6detail17trampoline_kernelINS0_14default_configENS1_27lower_bound_config_selectorIjjEEZNS1_14transform_implILb0ES3_S5_N6thrust23THRUST_200600_302600_NS17counting_iteratorIjNS8_11use_defaultESA_SA_EENS8_6detail15normal_iteratorINS8_10device_ptrIjEEEEZNS1_13binary_searchIS3_S5_SG_SB_SG_NS1_21lower_bound_search_opENSC_16wrapped_functionINS0_4lessIvEEbEEEE10hipError_tPvRmT1_T2_T3_mmT4_T5_P12ihipStream_tbEUlRKjE_EESN_SR_SS_mST_SW_bEUlT_E_NS1_11comp_targetILNS1_3genE3ELNS1_11target_archE908ELNS1_3gpuE7ELNS1_3repE0EEENS1_30default_config_static_selectorELNS0_4arch9wavefront6targetE0EEEvSQ_
	.p2align	8
	.type	_ZN7rocprim17ROCPRIM_400000_NS6detail17trampoline_kernelINS0_14default_configENS1_27lower_bound_config_selectorIjjEEZNS1_14transform_implILb0ES3_S5_N6thrust23THRUST_200600_302600_NS17counting_iteratorIjNS8_11use_defaultESA_SA_EENS8_6detail15normal_iteratorINS8_10device_ptrIjEEEEZNS1_13binary_searchIS3_S5_SG_SB_SG_NS1_21lower_bound_search_opENSC_16wrapped_functionINS0_4lessIvEEbEEEE10hipError_tPvRmT1_T2_T3_mmT4_T5_P12ihipStream_tbEUlRKjE_EESN_SR_SS_mST_SW_bEUlT_E_NS1_11comp_targetILNS1_3genE3ELNS1_11target_archE908ELNS1_3gpuE7ELNS1_3repE0EEENS1_30default_config_static_selectorELNS0_4arch9wavefront6targetE0EEEvSQ_,@function
_ZN7rocprim17ROCPRIM_400000_NS6detail17trampoline_kernelINS0_14default_configENS1_27lower_bound_config_selectorIjjEEZNS1_14transform_implILb0ES3_S5_N6thrust23THRUST_200600_302600_NS17counting_iteratorIjNS8_11use_defaultESA_SA_EENS8_6detail15normal_iteratorINS8_10device_ptrIjEEEEZNS1_13binary_searchIS3_S5_SG_SB_SG_NS1_21lower_bound_search_opENSC_16wrapped_functionINS0_4lessIvEEbEEEE10hipError_tPvRmT1_T2_T3_mmT4_T5_P12ihipStream_tbEUlRKjE_EESN_SR_SS_mST_SW_bEUlT_E_NS1_11comp_targetILNS1_3genE3ELNS1_11target_archE908ELNS1_3gpuE7ELNS1_3repE0EEENS1_30default_config_static_selectorELNS0_4arch9wavefront6targetE0EEEvSQ_: ; @_ZN7rocprim17ROCPRIM_400000_NS6detail17trampoline_kernelINS0_14default_configENS1_27lower_bound_config_selectorIjjEEZNS1_14transform_implILb0ES3_S5_N6thrust23THRUST_200600_302600_NS17counting_iteratorIjNS8_11use_defaultESA_SA_EENS8_6detail15normal_iteratorINS8_10device_ptrIjEEEEZNS1_13binary_searchIS3_S5_SG_SB_SG_NS1_21lower_bound_search_opENSC_16wrapped_functionINS0_4lessIvEEbEEEE10hipError_tPvRmT1_T2_T3_mmT4_T5_P12ihipStream_tbEUlRKjE_EESN_SR_SS_mST_SW_bEUlT_E_NS1_11comp_targetILNS1_3genE3ELNS1_11target_archE908ELNS1_3gpuE7ELNS1_3repE0EEENS1_30default_config_static_selectorELNS0_4arch9wavefront6targetE0EEEvSQ_
; %bb.0:
	.section	.rodata,"a",@progbits
	.p2align	6, 0x0
	.amdhsa_kernel _ZN7rocprim17ROCPRIM_400000_NS6detail17trampoline_kernelINS0_14default_configENS1_27lower_bound_config_selectorIjjEEZNS1_14transform_implILb0ES3_S5_N6thrust23THRUST_200600_302600_NS17counting_iteratorIjNS8_11use_defaultESA_SA_EENS8_6detail15normal_iteratorINS8_10device_ptrIjEEEEZNS1_13binary_searchIS3_S5_SG_SB_SG_NS1_21lower_bound_search_opENSC_16wrapped_functionINS0_4lessIvEEbEEEE10hipError_tPvRmT1_T2_T3_mmT4_T5_P12ihipStream_tbEUlRKjE_EESN_SR_SS_mST_SW_bEUlT_E_NS1_11comp_targetILNS1_3genE3ELNS1_11target_archE908ELNS1_3gpuE7ELNS1_3repE0EEENS1_30default_config_static_selectorELNS0_4arch9wavefront6targetE0EEEvSQ_
		.amdhsa_group_segment_fixed_size 0
		.amdhsa_private_segment_fixed_size 0
		.amdhsa_kernarg_size 56
		.amdhsa_user_sgpr_count 6
		.amdhsa_user_sgpr_private_segment_buffer 1
		.amdhsa_user_sgpr_dispatch_ptr 0
		.amdhsa_user_sgpr_queue_ptr 0
		.amdhsa_user_sgpr_kernarg_segment_ptr 1
		.amdhsa_user_sgpr_dispatch_id 0
		.amdhsa_user_sgpr_flat_scratch_init 0
		.amdhsa_user_sgpr_private_segment_size 0
		.amdhsa_wavefront_size32 1
		.amdhsa_uses_dynamic_stack 0
		.amdhsa_system_sgpr_private_segment_wavefront_offset 0
		.amdhsa_system_sgpr_workgroup_id_x 1
		.amdhsa_system_sgpr_workgroup_id_y 0
		.amdhsa_system_sgpr_workgroup_id_z 0
		.amdhsa_system_sgpr_workgroup_info 0
		.amdhsa_system_vgpr_workitem_id 0
		.amdhsa_next_free_vgpr 1
		.amdhsa_next_free_sgpr 1
		.amdhsa_reserve_vcc 0
		.amdhsa_reserve_flat_scratch 0
		.amdhsa_float_round_mode_32 0
		.amdhsa_float_round_mode_16_64 0
		.amdhsa_float_denorm_mode_32 3
		.amdhsa_float_denorm_mode_16_64 3
		.amdhsa_dx10_clamp 1
		.amdhsa_ieee_mode 1
		.amdhsa_fp16_overflow 0
		.amdhsa_workgroup_processor_mode 1
		.amdhsa_memory_ordered 1
		.amdhsa_forward_progress 1
		.amdhsa_shared_vgpr_count 0
		.amdhsa_exception_fp_ieee_invalid_op 0
		.amdhsa_exception_fp_denorm_src 0
		.amdhsa_exception_fp_ieee_div_zero 0
		.amdhsa_exception_fp_ieee_overflow 0
		.amdhsa_exception_fp_ieee_underflow 0
		.amdhsa_exception_fp_ieee_inexact 0
		.amdhsa_exception_int_div_zero 0
	.end_amdhsa_kernel
	.section	.text._ZN7rocprim17ROCPRIM_400000_NS6detail17trampoline_kernelINS0_14default_configENS1_27lower_bound_config_selectorIjjEEZNS1_14transform_implILb0ES3_S5_N6thrust23THRUST_200600_302600_NS17counting_iteratorIjNS8_11use_defaultESA_SA_EENS8_6detail15normal_iteratorINS8_10device_ptrIjEEEEZNS1_13binary_searchIS3_S5_SG_SB_SG_NS1_21lower_bound_search_opENSC_16wrapped_functionINS0_4lessIvEEbEEEE10hipError_tPvRmT1_T2_T3_mmT4_T5_P12ihipStream_tbEUlRKjE_EESN_SR_SS_mST_SW_bEUlT_E_NS1_11comp_targetILNS1_3genE3ELNS1_11target_archE908ELNS1_3gpuE7ELNS1_3repE0EEENS1_30default_config_static_selectorELNS0_4arch9wavefront6targetE0EEEvSQ_,"axG",@progbits,_ZN7rocprim17ROCPRIM_400000_NS6detail17trampoline_kernelINS0_14default_configENS1_27lower_bound_config_selectorIjjEEZNS1_14transform_implILb0ES3_S5_N6thrust23THRUST_200600_302600_NS17counting_iteratorIjNS8_11use_defaultESA_SA_EENS8_6detail15normal_iteratorINS8_10device_ptrIjEEEEZNS1_13binary_searchIS3_S5_SG_SB_SG_NS1_21lower_bound_search_opENSC_16wrapped_functionINS0_4lessIvEEbEEEE10hipError_tPvRmT1_T2_T3_mmT4_T5_P12ihipStream_tbEUlRKjE_EESN_SR_SS_mST_SW_bEUlT_E_NS1_11comp_targetILNS1_3genE3ELNS1_11target_archE908ELNS1_3gpuE7ELNS1_3repE0EEENS1_30default_config_static_selectorELNS0_4arch9wavefront6targetE0EEEvSQ_,comdat
.Lfunc_end233:
	.size	_ZN7rocprim17ROCPRIM_400000_NS6detail17trampoline_kernelINS0_14default_configENS1_27lower_bound_config_selectorIjjEEZNS1_14transform_implILb0ES3_S5_N6thrust23THRUST_200600_302600_NS17counting_iteratorIjNS8_11use_defaultESA_SA_EENS8_6detail15normal_iteratorINS8_10device_ptrIjEEEEZNS1_13binary_searchIS3_S5_SG_SB_SG_NS1_21lower_bound_search_opENSC_16wrapped_functionINS0_4lessIvEEbEEEE10hipError_tPvRmT1_T2_T3_mmT4_T5_P12ihipStream_tbEUlRKjE_EESN_SR_SS_mST_SW_bEUlT_E_NS1_11comp_targetILNS1_3genE3ELNS1_11target_archE908ELNS1_3gpuE7ELNS1_3repE0EEENS1_30default_config_static_selectorELNS0_4arch9wavefront6targetE0EEEvSQ_, .Lfunc_end233-_ZN7rocprim17ROCPRIM_400000_NS6detail17trampoline_kernelINS0_14default_configENS1_27lower_bound_config_selectorIjjEEZNS1_14transform_implILb0ES3_S5_N6thrust23THRUST_200600_302600_NS17counting_iteratorIjNS8_11use_defaultESA_SA_EENS8_6detail15normal_iteratorINS8_10device_ptrIjEEEEZNS1_13binary_searchIS3_S5_SG_SB_SG_NS1_21lower_bound_search_opENSC_16wrapped_functionINS0_4lessIvEEbEEEE10hipError_tPvRmT1_T2_T3_mmT4_T5_P12ihipStream_tbEUlRKjE_EESN_SR_SS_mST_SW_bEUlT_E_NS1_11comp_targetILNS1_3genE3ELNS1_11target_archE908ELNS1_3gpuE7ELNS1_3repE0EEENS1_30default_config_static_selectorELNS0_4arch9wavefront6targetE0EEEvSQ_
                                        ; -- End function
	.set _ZN7rocprim17ROCPRIM_400000_NS6detail17trampoline_kernelINS0_14default_configENS1_27lower_bound_config_selectorIjjEEZNS1_14transform_implILb0ES3_S5_N6thrust23THRUST_200600_302600_NS17counting_iteratorIjNS8_11use_defaultESA_SA_EENS8_6detail15normal_iteratorINS8_10device_ptrIjEEEEZNS1_13binary_searchIS3_S5_SG_SB_SG_NS1_21lower_bound_search_opENSC_16wrapped_functionINS0_4lessIvEEbEEEE10hipError_tPvRmT1_T2_T3_mmT4_T5_P12ihipStream_tbEUlRKjE_EESN_SR_SS_mST_SW_bEUlT_E_NS1_11comp_targetILNS1_3genE3ELNS1_11target_archE908ELNS1_3gpuE7ELNS1_3repE0EEENS1_30default_config_static_selectorELNS0_4arch9wavefront6targetE0EEEvSQ_.num_vgpr, 0
	.set _ZN7rocprim17ROCPRIM_400000_NS6detail17trampoline_kernelINS0_14default_configENS1_27lower_bound_config_selectorIjjEEZNS1_14transform_implILb0ES3_S5_N6thrust23THRUST_200600_302600_NS17counting_iteratorIjNS8_11use_defaultESA_SA_EENS8_6detail15normal_iteratorINS8_10device_ptrIjEEEEZNS1_13binary_searchIS3_S5_SG_SB_SG_NS1_21lower_bound_search_opENSC_16wrapped_functionINS0_4lessIvEEbEEEE10hipError_tPvRmT1_T2_T3_mmT4_T5_P12ihipStream_tbEUlRKjE_EESN_SR_SS_mST_SW_bEUlT_E_NS1_11comp_targetILNS1_3genE3ELNS1_11target_archE908ELNS1_3gpuE7ELNS1_3repE0EEENS1_30default_config_static_selectorELNS0_4arch9wavefront6targetE0EEEvSQ_.num_agpr, 0
	.set _ZN7rocprim17ROCPRIM_400000_NS6detail17trampoline_kernelINS0_14default_configENS1_27lower_bound_config_selectorIjjEEZNS1_14transform_implILb0ES3_S5_N6thrust23THRUST_200600_302600_NS17counting_iteratorIjNS8_11use_defaultESA_SA_EENS8_6detail15normal_iteratorINS8_10device_ptrIjEEEEZNS1_13binary_searchIS3_S5_SG_SB_SG_NS1_21lower_bound_search_opENSC_16wrapped_functionINS0_4lessIvEEbEEEE10hipError_tPvRmT1_T2_T3_mmT4_T5_P12ihipStream_tbEUlRKjE_EESN_SR_SS_mST_SW_bEUlT_E_NS1_11comp_targetILNS1_3genE3ELNS1_11target_archE908ELNS1_3gpuE7ELNS1_3repE0EEENS1_30default_config_static_selectorELNS0_4arch9wavefront6targetE0EEEvSQ_.numbered_sgpr, 0
	.set _ZN7rocprim17ROCPRIM_400000_NS6detail17trampoline_kernelINS0_14default_configENS1_27lower_bound_config_selectorIjjEEZNS1_14transform_implILb0ES3_S5_N6thrust23THRUST_200600_302600_NS17counting_iteratorIjNS8_11use_defaultESA_SA_EENS8_6detail15normal_iteratorINS8_10device_ptrIjEEEEZNS1_13binary_searchIS3_S5_SG_SB_SG_NS1_21lower_bound_search_opENSC_16wrapped_functionINS0_4lessIvEEbEEEE10hipError_tPvRmT1_T2_T3_mmT4_T5_P12ihipStream_tbEUlRKjE_EESN_SR_SS_mST_SW_bEUlT_E_NS1_11comp_targetILNS1_3genE3ELNS1_11target_archE908ELNS1_3gpuE7ELNS1_3repE0EEENS1_30default_config_static_selectorELNS0_4arch9wavefront6targetE0EEEvSQ_.num_named_barrier, 0
	.set _ZN7rocprim17ROCPRIM_400000_NS6detail17trampoline_kernelINS0_14default_configENS1_27lower_bound_config_selectorIjjEEZNS1_14transform_implILb0ES3_S5_N6thrust23THRUST_200600_302600_NS17counting_iteratorIjNS8_11use_defaultESA_SA_EENS8_6detail15normal_iteratorINS8_10device_ptrIjEEEEZNS1_13binary_searchIS3_S5_SG_SB_SG_NS1_21lower_bound_search_opENSC_16wrapped_functionINS0_4lessIvEEbEEEE10hipError_tPvRmT1_T2_T3_mmT4_T5_P12ihipStream_tbEUlRKjE_EESN_SR_SS_mST_SW_bEUlT_E_NS1_11comp_targetILNS1_3genE3ELNS1_11target_archE908ELNS1_3gpuE7ELNS1_3repE0EEENS1_30default_config_static_selectorELNS0_4arch9wavefront6targetE0EEEvSQ_.private_seg_size, 0
	.set _ZN7rocprim17ROCPRIM_400000_NS6detail17trampoline_kernelINS0_14default_configENS1_27lower_bound_config_selectorIjjEEZNS1_14transform_implILb0ES3_S5_N6thrust23THRUST_200600_302600_NS17counting_iteratorIjNS8_11use_defaultESA_SA_EENS8_6detail15normal_iteratorINS8_10device_ptrIjEEEEZNS1_13binary_searchIS3_S5_SG_SB_SG_NS1_21lower_bound_search_opENSC_16wrapped_functionINS0_4lessIvEEbEEEE10hipError_tPvRmT1_T2_T3_mmT4_T5_P12ihipStream_tbEUlRKjE_EESN_SR_SS_mST_SW_bEUlT_E_NS1_11comp_targetILNS1_3genE3ELNS1_11target_archE908ELNS1_3gpuE7ELNS1_3repE0EEENS1_30default_config_static_selectorELNS0_4arch9wavefront6targetE0EEEvSQ_.uses_vcc, 0
	.set _ZN7rocprim17ROCPRIM_400000_NS6detail17trampoline_kernelINS0_14default_configENS1_27lower_bound_config_selectorIjjEEZNS1_14transform_implILb0ES3_S5_N6thrust23THRUST_200600_302600_NS17counting_iteratorIjNS8_11use_defaultESA_SA_EENS8_6detail15normal_iteratorINS8_10device_ptrIjEEEEZNS1_13binary_searchIS3_S5_SG_SB_SG_NS1_21lower_bound_search_opENSC_16wrapped_functionINS0_4lessIvEEbEEEE10hipError_tPvRmT1_T2_T3_mmT4_T5_P12ihipStream_tbEUlRKjE_EESN_SR_SS_mST_SW_bEUlT_E_NS1_11comp_targetILNS1_3genE3ELNS1_11target_archE908ELNS1_3gpuE7ELNS1_3repE0EEENS1_30default_config_static_selectorELNS0_4arch9wavefront6targetE0EEEvSQ_.uses_flat_scratch, 0
	.set _ZN7rocprim17ROCPRIM_400000_NS6detail17trampoline_kernelINS0_14default_configENS1_27lower_bound_config_selectorIjjEEZNS1_14transform_implILb0ES3_S5_N6thrust23THRUST_200600_302600_NS17counting_iteratorIjNS8_11use_defaultESA_SA_EENS8_6detail15normal_iteratorINS8_10device_ptrIjEEEEZNS1_13binary_searchIS3_S5_SG_SB_SG_NS1_21lower_bound_search_opENSC_16wrapped_functionINS0_4lessIvEEbEEEE10hipError_tPvRmT1_T2_T3_mmT4_T5_P12ihipStream_tbEUlRKjE_EESN_SR_SS_mST_SW_bEUlT_E_NS1_11comp_targetILNS1_3genE3ELNS1_11target_archE908ELNS1_3gpuE7ELNS1_3repE0EEENS1_30default_config_static_selectorELNS0_4arch9wavefront6targetE0EEEvSQ_.has_dyn_sized_stack, 0
	.set _ZN7rocprim17ROCPRIM_400000_NS6detail17trampoline_kernelINS0_14default_configENS1_27lower_bound_config_selectorIjjEEZNS1_14transform_implILb0ES3_S5_N6thrust23THRUST_200600_302600_NS17counting_iteratorIjNS8_11use_defaultESA_SA_EENS8_6detail15normal_iteratorINS8_10device_ptrIjEEEEZNS1_13binary_searchIS3_S5_SG_SB_SG_NS1_21lower_bound_search_opENSC_16wrapped_functionINS0_4lessIvEEbEEEE10hipError_tPvRmT1_T2_T3_mmT4_T5_P12ihipStream_tbEUlRKjE_EESN_SR_SS_mST_SW_bEUlT_E_NS1_11comp_targetILNS1_3genE3ELNS1_11target_archE908ELNS1_3gpuE7ELNS1_3repE0EEENS1_30default_config_static_selectorELNS0_4arch9wavefront6targetE0EEEvSQ_.has_recursion, 0
	.set _ZN7rocprim17ROCPRIM_400000_NS6detail17trampoline_kernelINS0_14default_configENS1_27lower_bound_config_selectorIjjEEZNS1_14transform_implILb0ES3_S5_N6thrust23THRUST_200600_302600_NS17counting_iteratorIjNS8_11use_defaultESA_SA_EENS8_6detail15normal_iteratorINS8_10device_ptrIjEEEEZNS1_13binary_searchIS3_S5_SG_SB_SG_NS1_21lower_bound_search_opENSC_16wrapped_functionINS0_4lessIvEEbEEEE10hipError_tPvRmT1_T2_T3_mmT4_T5_P12ihipStream_tbEUlRKjE_EESN_SR_SS_mST_SW_bEUlT_E_NS1_11comp_targetILNS1_3genE3ELNS1_11target_archE908ELNS1_3gpuE7ELNS1_3repE0EEENS1_30default_config_static_selectorELNS0_4arch9wavefront6targetE0EEEvSQ_.has_indirect_call, 0
	.section	.AMDGPU.csdata,"",@progbits
; Kernel info:
; codeLenInByte = 0
; TotalNumSgprs: 0
; NumVgprs: 0
; ScratchSize: 0
; MemoryBound: 0
; FloatMode: 240
; IeeeMode: 1
; LDSByteSize: 0 bytes/workgroup (compile time only)
; SGPRBlocks: 0
; VGPRBlocks: 0
; NumSGPRsForWavesPerEU: 1
; NumVGPRsForWavesPerEU: 1
; Occupancy: 16
; WaveLimiterHint : 0
; COMPUTE_PGM_RSRC2:SCRATCH_EN: 0
; COMPUTE_PGM_RSRC2:USER_SGPR: 6
; COMPUTE_PGM_RSRC2:TRAP_HANDLER: 0
; COMPUTE_PGM_RSRC2:TGID_X_EN: 1
; COMPUTE_PGM_RSRC2:TGID_Y_EN: 0
; COMPUTE_PGM_RSRC2:TGID_Z_EN: 0
; COMPUTE_PGM_RSRC2:TIDIG_COMP_CNT: 0
	.section	.text._ZN7rocprim17ROCPRIM_400000_NS6detail17trampoline_kernelINS0_14default_configENS1_27lower_bound_config_selectorIjjEEZNS1_14transform_implILb0ES3_S5_N6thrust23THRUST_200600_302600_NS17counting_iteratorIjNS8_11use_defaultESA_SA_EENS8_6detail15normal_iteratorINS8_10device_ptrIjEEEEZNS1_13binary_searchIS3_S5_SG_SB_SG_NS1_21lower_bound_search_opENSC_16wrapped_functionINS0_4lessIvEEbEEEE10hipError_tPvRmT1_T2_T3_mmT4_T5_P12ihipStream_tbEUlRKjE_EESN_SR_SS_mST_SW_bEUlT_E_NS1_11comp_targetILNS1_3genE2ELNS1_11target_archE906ELNS1_3gpuE6ELNS1_3repE0EEENS1_30default_config_static_selectorELNS0_4arch9wavefront6targetE0EEEvSQ_,"axG",@progbits,_ZN7rocprim17ROCPRIM_400000_NS6detail17trampoline_kernelINS0_14default_configENS1_27lower_bound_config_selectorIjjEEZNS1_14transform_implILb0ES3_S5_N6thrust23THRUST_200600_302600_NS17counting_iteratorIjNS8_11use_defaultESA_SA_EENS8_6detail15normal_iteratorINS8_10device_ptrIjEEEEZNS1_13binary_searchIS3_S5_SG_SB_SG_NS1_21lower_bound_search_opENSC_16wrapped_functionINS0_4lessIvEEbEEEE10hipError_tPvRmT1_T2_T3_mmT4_T5_P12ihipStream_tbEUlRKjE_EESN_SR_SS_mST_SW_bEUlT_E_NS1_11comp_targetILNS1_3genE2ELNS1_11target_archE906ELNS1_3gpuE6ELNS1_3repE0EEENS1_30default_config_static_selectorELNS0_4arch9wavefront6targetE0EEEvSQ_,comdat
	.protected	_ZN7rocprim17ROCPRIM_400000_NS6detail17trampoline_kernelINS0_14default_configENS1_27lower_bound_config_selectorIjjEEZNS1_14transform_implILb0ES3_S5_N6thrust23THRUST_200600_302600_NS17counting_iteratorIjNS8_11use_defaultESA_SA_EENS8_6detail15normal_iteratorINS8_10device_ptrIjEEEEZNS1_13binary_searchIS3_S5_SG_SB_SG_NS1_21lower_bound_search_opENSC_16wrapped_functionINS0_4lessIvEEbEEEE10hipError_tPvRmT1_T2_T3_mmT4_T5_P12ihipStream_tbEUlRKjE_EESN_SR_SS_mST_SW_bEUlT_E_NS1_11comp_targetILNS1_3genE2ELNS1_11target_archE906ELNS1_3gpuE6ELNS1_3repE0EEENS1_30default_config_static_selectorELNS0_4arch9wavefront6targetE0EEEvSQ_ ; -- Begin function _ZN7rocprim17ROCPRIM_400000_NS6detail17trampoline_kernelINS0_14default_configENS1_27lower_bound_config_selectorIjjEEZNS1_14transform_implILb0ES3_S5_N6thrust23THRUST_200600_302600_NS17counting_iteratorIjNS8_11use_defaultESA_SA_EENS8_6detail15normal_iteratorINS8_10device_ptrIjEEEEZNS1_13binary_searchIS3_S5_SG_SB_SG_NS1_21lower_bound_search_opENSC_16wrapped_functionINS0_4lessIvEEbEEEE10hipError_tPvRmT1_T2_T3_mmT4_T5_P12ihipStream_tbEUlRKjE_EESN_SR_SS_mST_SW_bEUlT_E_NS1_11comp_targetILNS1_3genE2ELNS1_11target_archE906ELNS1_3gpuE6ELNS1_3repE0EEENS1_30default_config_static_selectorELNS0_4arch9wavefront6targetE0EEEvSQ_
	.globl	_ZN7rocprim17ROCPRIM_400000_NS6detail17trampoline_kernelINS0_14default_configENS1_27lower_bound_config_selectorIjjEEZNS1_14transform_implILb0ES3_S5_N6thrust23THRUST_200600_302600_NS17counting_iteratorIjNS8_11use_defaultESA_SA_EENS8_6detail15normal_iteratorINS8_10device_ptrIjEEEEZNS1_13binary_searchIS3_S5_SG_SB_SG_NS1_21lower_bound_search_opENSC_16wrapped_functionINS0_4lessIvEEbEEEE10hipError_tPvRmT1_T2_T3_mmT4_T5_P12ihipStream_tbEUlRKjE_EESN_SR_SS_mST_SW_bEUlT_E_NS1_11comp_targetILNS1_3genE2ELNS1_11target_archE906ELNS1_3gpuE6ELNS1_3repE0EEENS1_30default_config_static_selectorELNS0_4arch9wavefront6targetE0EEEvSQ_
	.p2align	8
	.type	_ZN7rocprim17ROCPRIM_400000_NS6detail17trampoline_kernelINS0_14default_configENS1_27lower_bound_config_selectorIjjEEZNS1_14transform_implILb0ES3_S5_N6thrust23THRUST_200600_302600_NS17counting_iteratorIjNS8_11use_defaultESA_SA_EENS8_6detail15normal_iteratorINS8_10device_ptrIjEEEEZNS1_13binary_searchIS3_S5_SG_SB_SG_NS1_21lower_bound_search_opENSC_16wrapped_functionINS0_4lessIvEEbEEEE10hipError_tPvRmT1_T2_T3_mmT4_T5_P12ihipStream_tbEUlRKjE_EESN_SR_SS_mST_SW_bEUlT_E_NS1_11comp_targetILNS1_3genE2ELNS1_11target_archE906ELNS1_3gpuE6ELNS1_3repE0EEENS1_30default_config_static_selectorELNS0_4arch9wavefront6targetE0EEEvSQ_,@function
_ZN7rocprim17ROCPRIM_400000_NS6detail17trampoline_kernelINS0_14default_configENS1_27lower_bound_config_selectorIjjEEZNS1_14transform_implILb0ES3_S5_N6thrust23THRUST_200600_302600_NS17counting_iteratorIjNS8_11use_defaultESA_SA_EENS8_6detail15normal_iteratorINS8_10device_ptrIjEEEEZNS1_13binary_searchIS3_S5_SG_SB_SG_NS1_21lower_bound_search_opENSC_16wrapped_functionINS0_4lessIvEEbEEEE10hipError_tPvRmT1_T2_T3_mmT4_T5_P12ihipStream_tbEUlRKjE_EESN_SR_SS_mST_SW_bEUlT_E_NS1_11comp_targetILNS1_3genE2ELNS1_11target_archE906ELNS1_3gpuE6ELNS1_3repE0EEENS1_30default_config_static_selectorELNS0_4arch9wavefront6targetE0EEEvSQ_: ; @_ZN7rocprim17ROCPRIM_400000_NS6detail17trampoline_kernelINS0_14default_configENS1_27lower_bound_config_selectorIjjEEZNS1_14transform_implILb0ES3_S5_N6thrust23THRUST_200600_302600_NS17counting_iteratorIjNS8_11use_defaultESA_SA_EENS8_6detail15normal_iteratorINS8_10device_ptrIjEEEEZNS1_13binary_searchIS3_S5_SG_SB_SG_NS1_21lower_bound_search_opENSC_16wrapped_functionINS0_4lessIvEEbEEEE10hipError_tPvRmT1_T2_T3_mmT4_T5_P12ihipStream_tbEUlRKjE_EESN_SR_SS_mST_SW_bEUlT_E_NS1_11comp_targetILNS1_3genE2ELNS1_11target_archE906ELNS1_3gpuE6ELNS1_3repE0EEENS1_30default_config_static_selectorELNS0_4arch9wavefront6targetE0EEEvSQ_
; %bb.0:
	.section	.rodata,"a",@progbits
	.p2align	6, 0x0
	.amdhsa_kernel _ZN7rocprim17ROCPRIM_400000_NS6detail17trampoline_kernelINS0_14default_configENS1_27lower_bound_config_selectorIjjEEZNS1_14transform_implILb0ES3_S5_N6thrust23THRUST_200600_302600_NS17counting_iteratorIjNS8_11use_defaultESA_SA_EENS8_6detail15normal_iteratorINS8_10device_ptrIjEEEEZNS1_13binary_searchIS3_S5_SG_SB_SG_NS1_21lower_bound_search_opENSC_16wrapped_functionINS0_4lessIvEEbEEEE10hipError_tPvRmT1_T2_T3_mmT4_T5_P12ihipStream_tbEUlRKjE_EESN_SR_SS_mST_SW_bEUlT_E_NS1_11comp_targetILNS1_3genE2ELNS1_11target_archE906ELNS1_3gpuE6ELNS1_3repE0EEENS1_30default_config_static_selectorELNS0_4arch9wavefront6targetE0EEEvSQ_
		.amdhsa_group_segment_fixed_size 0
		.amdhsa_private_segment_fixed_size 0
		.amdhsa_kernarg_size 56
		.amdhsa_user_sgpr_count 6
		.amdhsa_user_sgpr_private_segment_buffer 1
		.amdhsa_user_sgpr_dispatch_ptr 0
		.amdhsa_user_sgpr_queue_ptr 0
		.amdhsa_user_sgpr_kernarg_segment_ptr 1
		.amdhsa_user_sgpr_dispatch_id 0
		.amdhsa_user_sgpr_flat_scratch_init 0
		.amdhsa_user_sgpr_private_segment_size 0
		.amdhsa_wavefront_size32 1
		.amdhsa_uses_dynamic_stack 0
		.amdhsa_system_sgpr_private_segment_wavefront_offset 0
		.amdhsa_system_sgpr_workgroup_id_x 1
		.amdhsa_system_sgpr_workgroup_id_y 0
		.amdhsa_system_sgpr_workgroup_id_z 0
		.amdhsa_system_sgpr_workgroup_info 0
		.amdhsa_system_vgpr_workitem_id 0
		.amdhsa_next_free_vgpr 1
		.amdhsa_next_free_sgpr 1
		.amdhsa_reserve_vcc 0
		.amdhsa_reserve_flat_scratch 0
		.amdhsa_float_round_mode_32 0
		.amdhsa_float_round_mode_16_64 0
		.amdhsa_float_denorm_mode_32 3
		.amdhsa_float_denorm_mode_16_64 3
		.amdhsa_dx10_clamp 1
		.amdhsa_ieee_mode 1
		.amdhsa_fp16_overflow 0
		.amdhsa_workgroup_processor_mode 1
		.amdhsa_memory_ordered 1
		.amdhsa_forward_progress 1
		.amdhsa_shared_vgpr_count 0
		.amdhsa_exception_fp_ieee_invalid_op 0
		.amdhsa_exception_fp_denorm_src 0
		.amdhsa_exception_fp_ieee_div_zero 0
		.amdhsa_exception_fp_ieee_overflow 0
		.amdhsa_exception_fp_ieee_underflow 0
		.amdhsa_exception_fp_ieee_inexact 0
		.amdhsa_exception_int_div_zero 0
	.end_amdhsa_kernel
	.section	.text._ZN7rocprim17ROCPRIM_400000_NS6detail17trampoline_kernelINS0_14default_configENS1_27lower_bound_config_selectorIjjEEZNS1_14transform_implILb0ES3_S5_N6thrust23THRUST_200600_302600_NS17counting_iteratorIjNS8_11use_defaultESA_SA_EENS8_6detail15normal_iteratorINS8_10device_ptrIjEEEEZNS1_13binary_searchIS3_S5_SG_SB_SG_NS1_21lower_bound_search_opENSC_16wrapped_functionINS0_4lessIvEEbEEEE10hipError_tPvRmT1_T2_T3_mmT4_T5_P12ihipStream_tbEUlRKjE_EESN_SR_SS_mST_SW_bEUlT_E_NS1_11comp_targetILNS1_3genE2ELNS1_11target_archE906ELNS1_3gpuE6ELNS1_3repE0EEENS1_30default_config_static_selectorELNS0_4arch9wavefront6targetE0EEEvSQ_,"axG",@progbits,_ZN7rocprim17ROCPRIM_400000_NS6detail17trampoline_kernelINS0_14default_configENS1_27lower_bound_config_selectorIjjEEZNS1_14transform_implILb0ES3_S5_N6thrust23THRUST_200600_302600_NS17counting_iteratorIjNS8_11use_defaultESA_SA_EENS8_6detail15normal_iteratorINS8_10device_ptrIjEEEEZNS1_13binary_searchIS3_S5_SG_SB_SG_NS1_21lower_bound_search_opENSC_16wrapped_functionINS0_4lessIvEEbEEEE10hipError_tPvRmT1_T2_T3_mmT4_T5_P12ihipStream_tbEUlRKjE_EESN_SR_SS_mST_SW_bEUlT_E_NS1_11comp_targetILNS1_3genE2ELNS1_11target_archE906ELNS1_3gpuE6ELNS1_3repE0EEENS1_30default_config_static_selectorELNS0_4arch9wavefront6targetE0EEEvSQ_,comdat
.Lfunc_end234:
	.size	_ZN7rocprim17ROCPRIM_400000_NS6detail17trampoline_kernelINS0_14default_configENS1_27lower_bound_config_selectorIjjEEZNS1_14transform_implILb0ES3_S5_N6thrust23THRUST_200600_302600_NS17counting_iteratorIjNS8_11use_defaultESA_SA_EENS8_6detail15normal_iteratorINS8_10device_ptrIjEEEEZNS1_13binary_searchIS3_S5_SG_SB_SG_NS1_21lower_bound_search_opENSC_16wrapped_functionINS0_4lessIvEEbEEEE10hipError_tPvRmT1_T2_T3_mmT4_T5_P12ihipStream_tbEUlRKjE_EESN_SR_SS_mST_SW_bEUlT_E_NS1_11comp_targetILNS1_3genE2ELNS1_11target_archE906ELNS1_3gpuE6ELNS1_3repE0EEENS1_30default_config_static_selectorELNS0_4arch9wavefront6targetE0EEEvSQ_, .Lfunc_end234-_ZN7rocprim17ROCPRIM_400000_NS6detail17trampoline_kernelINS0_14default_configENS1_27lower_bound_config_selectorIjjEEZNS1_14transform_implILb0ES3_S5_N6thrust23THRUST_200600_302600_NS17counting_iteratorIjNS8_11use_defaultESA_SA_EENS8_6detail15normal_iteratorINS8_10device_ptrIjEEEEZNS1_13binary_searchIS3_S5_SG_SB_SG_NS1_21lower_bound_search_opENSC_16wrapped_functionINS0_4lessIvEEbEEEE10hipError_tPvRmT1_T2_T3_mmT4_T5_P12ihipStream_tbEUlRKjE_EESN_SR_SS_mST_SW_bEUlT_E_NS1_11comp_targetILNS1_3genE2ELNS1_11target_archE906ELNS1_3gpuE6ELNS1_3repE0EEENS1_30default_config_static_selectorELNS0_4arch9wavefront6targetE0EEEvSQ_
                                        ; -- End function
	.set _ZN7rocprim17ROCPRIM_400000_NS6detail17trampoline_kernelINS0_14default_configENS1_27lower_bound_config_selectorIjjEEZNS1_14transform_implILb0ES3_S5_N6thrust23THRUST_200600_302600_NS17counting_iteratorIjNS8_11use_defaultESA_SA_EENS8_6detail15normal_iteratorINS8_10device_ptrIjEEEEZNS1_13binary_searchIS3_S5_SG_SB_SG_NS1_21lower_bound_search_opENSC_16wrapped_functionINS0_4lessIvEEbEEEE10hipError_tPvRmT1_T2_T3_mmT4_T5_P12ihipStream_tbEUlRKjE_EESN_SR_SS_mST_SW_bEUlT_E_NS1_11comp_targetILNS1_3genE2ELNS1_11target_archE906ELNS1_3gpuE6ELNS1_3repE0EEENS1_30default_config_static_selectorELNS0_4arch9wavefront6targetE0EEEvSQ_.num_vgpr, 0
	.set _ZN7rocprim17ROCPRIM_400000_NS6detail17trampoline_kernelINS0_14default_configENS1_27lower_bound_config_selectorIjjEEZNS1_14transform_implILb0ES3_S5_N6thrust23THRUST_200600_302600_NS17counting_iteratorIjNS8_11use_defaultESA_SA_EENS8_6detail15normal_iteratorINS8_10device_ptrIjEEEEZNS1_13binary_searchIS3_S5_SG_SB_SG_NS1_21lower_bound_search_opENSC_16wrapped_functionINS0_4lessIvEEbEEEE10hipError_tPvRmT1_T2_T3_mmT4_T5_P12ihipStream_tbEUlRKjE_EESN_SR_SS_mST_SW_bEUlT_E_NS1_11comp_targetILNS1_3genE2ELNS1_11target_archE906ELNS1_3gpuE6ELNS1_3repE0EEENS1_30default_config_static_selectorELNS0_4arch9wavefront6targetE0EEEvSQ_.num_agpr, 0
	.set _ZN7rocprim17ROCPRIM_400000_NS6detail17trampoline_kernelINS0_14default_configENS1_27lower_bound_config_selectorIjjEEZNS1_14transform_implILb0ES3_S5_N6thrust23THRUST_200600_302600_NS17counting_iteratorIjNS8_11use_defaultESA_SA_EENS8_6detail15normal_iteratorINS8_10device_ptrIjEEEEZNS1_13binary_searchIS3_S5_SG_SB_SG_NS1_21lower_bound_search_opENSC_16wrapped_functionINS0_4lessIvEEbEEEE10hipError_tPvRmT1_T2_T3_mmT4_T5_P12ihipStream_tbEUlRKjE_EESN_SR_SS_mST_SW_bEUlT_E_NS1_11comp_targetILNS1_3genE2ELNS1_11target_archE906ELNS1_3gpuE6ELNS1_3repE0EEENS1_30default_config_static_selectorELNS0_4arch9wavefront6targetE0EEEvSQ_.numbered_sgpr, 0
	.set _ZN7rocprim17ROCPRIM_400000_NS6detail17trampoline_kernelINS0_14default_configENS1_27lower_bound_config_selectorIjjEEZNS1_14transform_implILb0ES3_S5_N6thrust23THRUST_200600_302600_NS17counting_iteratorIjNS8_11use_defaultESA_SA_EENS8_6detail15normal_iteratorINS8_10device_ptrIjEEEEZNS1_13binary_searchIS3_S5_SG_SB_SG_NS1_21lower_bound_search_opENSC_16wrapped_functionINS0_4lessIvEEbEEEE10hipError_tPvRmT1_T2_T3_mmT4_T5_P12ihipStream_tbEUlRKjE_EESN_SR_SS_mST_SW_bEUlT_E_NS1_11comp_targetILNS1_3genE2ELNS1_11target_archE906ELNS1_3gpuE6ELNS1_3repE0EEENS1_30default_config_static_selectorELNS0_4arch9wavefront6targetE0EEEvSQ_.num_named_barrier, 0
	.set _ZN7rocprim17ROCPRIM_400000_NS6detail17trampoline_kernelINS0_14default_configENS1_27lower_bound_config_selectorIjjEEZNS1_14transform_implILb0ES3_S5_N6thrust23THRUST_200600_302600_NS17counting_iteratorIjNS8_11use_defaultESA_SA_EENS8_6detail15normal_iteratorINS8_10device_ptrIjEEEEZNS1_13binary_searchIS3_S5_SG_SB_SG_NS1_21lower_bound_search_opENSC_16wrapped_functionINS0_4lessIvEEbEEEE10hipError_tPvRmT1_T2_T3_mmT4_T5_P12ihipStream_tbEUlRKjE_EESN_SR_SS_mST_SW_bEUlT_E_NS1_11comp_targetILNS1_3genE2ELNS1_11target_archE906ELNS1_3gpuE6ELNS1_3repE0EEENS1_30default_config_static_selectorELNS0_4arch9wavefront6targetE0EEEvSQ_.private_seg_size, 0
	.set _ZN7rocprim17ROCPRIM_400000_NS6detail17trampoline_kernelINS0_14default_configENS1_27lower_bound_config_selectorIjjEEZNS1_14transform_implILb0ES3_S5_N6thrust23THRUST_200600_302600_NS17counting_iteratorIjNS8_11use_defaultESA_SA_EENS8_6detail15normal_iteratorINS8_10device_ptrIjEEEEZNS1_13binary_searchIS3_S5_SG_SB_SG_NS1_21lower_bound_search_opENSC_16wrapped_functionINS0_4lessIvEEbEEEE10hipError_tPvRmT1_T2_T3_mmT4_T5_P12ihipStream_tbEUlRKjE_EESN_SR_SS_mST_SW_bEUlT_E_NS1_11comp_targetILNS1_3genE2ELNS1_11target_archE906ELNS1_3gpuE6ELNS1_3repE0EEENS1_30default_config_static_selectorELNS0_4arch9wavefront6targetE0EEEvSQ_.uses_vcc, 0
	.set _ZN7rocprim17ROCPRIM_400000_NS6detail17trampoline_kernelINS0_14default_configENS1_27lower_bound_config_selectorIjjEEZNS1_14transform_implILb0ES3_S5_N6thrust23THRUST_200600_302600_NS17counting_iteratorIjNS8_11use_defaultESA_SA_EENS8_6detail15normal_iteratorINS8_10device_ptrIjEEEEZNS1_13binary_searchIS3_S5_SG_SB_SG_NS1_21lower_bound_search_opENSC_16wrapped_functionINS0_4lessIvEEbEEEE10hipError_tPvRmT1_T2_T3_mmT4_T5_P12ihipStream_tbEUlRKjE_EESN_SR_SS_mST_SW_bEUlT_E_NS1_11comp_targetILNS1_3genE2ELNS1_11target_archE906ELNS1_3gpuE6ELNS1_3repE0EEENS1_30default_config_static_selectorELNS0_4arch9wavefront6targetE0EEEvSQ_.uses_flat_scratch, 0
	.set _ZN7rocprim17ROCPRIM_400000_NS6detail17trampoline_kernelINS0_14default_configENS1_27lower_bound_config_selectorIjjEEZNS1_14transform_implILb0ES3_S5_N6thrust23THRUST_200600_302600_NS17counting_iteratorIjNS8_11use_defaultESA_SA_EENS8_6detail15normal_iteratorINS8_10device_ptrIjEEEEZNS1_13binary_searchIS3_S5_SG_SB_SG_NS1_21lower_bound_search_opENSC_16wrapped_functionINS0_4lessIvEEbEEEE10hipError_tPvRmT1_T2_T3_mmT4_T5_P12ihipStream_tbEUlRKjE_EESN_SR_SS_mST_SW_bEUlT_E_NS1_11comp_targetILNS1_3genE2ELNS1_11target_archE906ELNS1_3gpuE6ELNS1_3repE0EEENS1_30default_config_static_selectorELNS0_4arch9wavefront6targetE0EEEvSQ_.has_dyn_sized_stack, 0
	.set _ZN7rocprim17ROCPRIM_400000_NS6detail17trampoline_kernelINS0_14default_configENS1_27lower_bound_config_selectorIjjEEZNS1_14transform_implILb0ES3_S5_N6thrust23THRUST_200600_302600_NS17counting_iteratorIjNS8_11use_defaultESA_SA_EENS8_6detail15normal_iteratorINS8_10device_ptrIjEEEEZNS1_13binary_searchIS3_S5_SG_SB_SG_NS1_21lower_bound_search_opENSC_16wrapped_functionINS0_4lessIvEEbEEEE10hipError_tPvRmT1_T2_T3_mmT4_T5_P12ihipStream_tbEUlRKjE_EESN_SR_SS_mST_SW_bEUlT_E_NS1_11comp_targetILNS1_3genE2ELNS1_11target_archE906ELNS1_3gpuE6ELNS1_3repE0EEENS1_30default_config_static_selectorELNS0_4arch9wavefront6targetE0EEEvSQ_.has_recursion, 0
	.set _ZN7rocprim17ROCPRIM_400000_NS6detail17trampoline_kernelINS0_14default_configENS1_27lower_bound_config_selectorIjjEEZNS1_14transform_implILb0ES3_S5_N6thrust23THRUST_200600_302600_NS17counting_iteratorIjNS8_11use_defaultESA_SA_EENS8_6detail15normal_iteratorINS8_10device_ptrIjEEEEZNS1_13binary_searchIS3_S5_SG_SB_SG_NS1_21lower_bound_search_opENSC_16wrapped_functionINS0_4lessIvEEbEEEE10hipError_tPvRmT1_T2_T3_mmT4_T5_P12ihipStream_tbEUlRKjE_EESN_SR_SS_mST_SW_bEUlT_E_NS1_11comp_targetILNS1_3genE2ELNS1_11target_archE906ELNS1_3gpuE6ELNS1_3repE0EEENS1_30default_config_static_selectorELNS0_4arch9wavefront6targetE0EEEvSQ_.has_indirect_call, 0
	.section	.AMDGPU.csdata,"",@progbits
; Kernel info:
; codeLenInByte = 0
; TotalNumSgprs: 0
; NumVgprs: 0
; ScratchSize: 0
; MemoryBound: 0
; FloatMode: 240
; IeeeMode: 1
; LDSByteSize: 0 bytes/workgroup (compile time only)
; SGPRBlocks: 0
; VGPRBlocks: 0
; NumSGPRsForWavesPerEU: 1
; NumVGPRsForWavesPerEU: 1
; Occupancy: 16
; WaveLimiterHint : 0
; COMPUTE_PGM_RSRC2:SCRATCH_EN: 0
; COMPUTE_PGM_RSRC2:USER_SGPR: 6
; COMPUTE_PGM_RSRC2:TRAP_HANDLER: 0
; COMPUTE_PGM_RSRC2:TGID_X_EN: 1
; COMPUTE_PGM_RSRC2:TGID_Y_EN: 0
; COMPUTE_PGM_RSRC2:TGID_Z_EN: 0
; COMPUTE_PGM_RSRC2:TIDIG_COMP_CNT: 0
	.section	.text._ZN7rocprim17ROCPRIM_400000_NS6detail17trampoline_kernelINS0_14default_configENS1_27lower_bound_config_selectorIjjEEZNS1_14transform_implILb0ES3_S5_N6thrust23THRUST_200600_302600_NS17counting_iteratorIjNS8_11use_defaultESA_SA_EENS8_6detail15normal_iteratorINS8_10device_ptrIjEEEEZNS1_13binary_searchIS3_S5_SG_SB_SG_NS1_21lower_bound_search_opENSC_16wrapped_functionINS0_4lessIvEEbEEEE10hipError_tPvRmT1_T2_T3_mmT4_T5_P12ihipStream_tbEUlRKjE_EESN_SR_SS_mST_SW_bEUlT_E_NS1_11comp_targetILNS1_3genE10ELNS1_11target_archE1201ELNS1_3gpuE5ELNS1_3repE0EEENS1_30default_config_static_selectorELNS0_4arch9wavefront6targetE0EEEvSQ_,"axG",@progbits,_ZN7rocprim17ROCPRIM_400000_NS6detail17trampoline_kernelINS0_14default_configENS1_27lower_bound_config_selectorIjjEEZNS1_14transform_implILb0ES3_S5_N6thrust23THRUST_200600_302600_NS17counting_iteratorIjNS8_11use_defaultESA_SA_EENS8_6detail15normal_iteratorINS8_10device_ptrIjEEEEZNS1_13binary_searchIS3_S5_SG_SB_SG_NS1_21lower_bound_search_opENSC_16wrapped_functionINS0_4lessIvEEbEEEE10hipError_tPvRmT1_T2_T3_mmT4_T5_P12ihipStream_tbEUlRKjE_EESN_SR_SS_mST_SW_bEUlT_E_NS1_11comp_targetILNS1_3genE10ELNS1_11target_archE1201ELNS1_3gpuE5ELNS1_3repE0EEENS1_30default_config_static_selectorELNS0_4arch9wavefront6targetE0EEEvSQ_,comdat
	.protected	_ZN7rocprim17ROCPRIM_400000_NS6detail17trampoline_kernelINS0_14default_configENS1_27lower_bound_config_selectorIjjEEZNS1_14transform_implILb0ES3_S5_N6thrust23THRUST_200600_302600_NS17counting_iteratorIjNS8_11use_defaultESA_SA_EENS8_6detail15normal_iteratorINS8_10device_ptrIjEEEEZNS1_13binary_searchIS3_S5_SG_SB_SG_NS1_21lower_bound_search_opENSC_16wrapped_functionINS0_4lessIvEEbEEEE10hipError_tPvRmT1_T2_T3_mmT4_T5_P12ihipStream_tbEUlRKjE_EESN_SR_SS_mST_SW_bEUlT_E_NS1_11comp_targetILNS1_3genE10ELNS1_11target_archE1201ELNS1_3gpuE5ELNS1_3repE0EEENS1_30default_config_static_selectorELNS0_4arch9wavefront6targetE0EEEvSQ_ ; -- Begin function _ZN7rocprim17ROCPRIM_400000_NS6detail17trampoline_kernelINS0_14default_configENS1_27lower_bound_config_selectorIjjEEZNS1_14transform_implILb0ES3_S5_N6thrust23THRUST_200600_302600_NS17counting_iteratorIjNS8_11use_defaultESA_SA_EENS8_6detail15normal_iteratorINS8_10device_ptrIjEEEEZNS1_13binary_searchIS3_S5_SG_SB_SG_NS1_21lower_bound_search_opENSC_16wrapped_functionINS0_4lessIvEEbEEEE10hipError_tPvRmT1_T2_T3_mmT4_T5_P12ihipStream_tbEUlRKjE_EESN_SR_SS_mST_SW_bEUlT_E_NS1_11comp_targetILNS1_3genE10ELNS1_11target_archE1201ELNS1_3gpuE5ELNS1_3repE0EEENS1_30default_config_static_selectorELNS0_4arch9wavefront6targetE0EEEvSQ_
	.globl	_ZN7rocprim17ROCPRIM_400000_NS6detail17trampoline_kernelINS0_14default_configENS1_27lower_bound_config_selectorIjjEEZNS1_14transform_implILb0ES3_S5_N6thrust23THRUST_200600_302600_NS17counting_iteratorIjNS8_11use_defaultESA_SA_EENS8_6detail15normal_iteratorINS8_10device_ptrIjEEEEZNS1_13binary_searchIS3_S5_SG_SB_SG_NS1_21lower_bound_search_opENSC_16wrapped_functionINS0_4lessIvEEbEEEE10hipError_tPvRmT1_T2_T3_mmT4_T5_P12ihipStream_tbEUlRKjE_EESN_SR_SS_mST_SW_bEUlT_E_NS1_11comp_targetILNS1_3genE10ELNS1_11target_archE1201ELNS1_3gpuE5ELNS1_3repE0EEENS1_30default_config_static_selectorELNS0_4arch9wavefront6targetE0EEEvSQ_
	.p2align	8
	.type	_ZN7rocprim17ROCPRIM_400000_NS6detail17trampoline_kernelINS0_14default_configENS1_27lower_bound_config_selectorIjjEEZNS1_14transform_implILb0ES3_S5_N6thrust23THRUST_200600_302600_NS17counting_iteratorIjNS8_11use_defaultESA_SA_EENS8_6detail15normal_iteratorINS8_10device_ptrIjEEEEZNS1_13binary_searchIS3_S5_SG_SB_SG_NS1_21lower_bound_search_opENSC_16wrapped_functionINS0_4lessIvEEbEEEE10hipError_tPvRmT1_T2_T3_mmT4_T5_P12ihipStream_tbEUlRKjE_EESN_SR_SS_mST_SW_bEUlT_E_NS1_11comp_targetILNS1_3genE10ELNS1_11target_archE1201ELNS1_3gpuE5ELNS1_3repE0EEENS1_30default_config_static_selectorELNS0_4arch9wavefront6targetE0EEEvSQ_,@function
_ZN7rocprim17ROCPRIM_400000_NS6detail17trampoline_kernelINS0_14default_configENS1_27lower_bound_config_selectorIjjEEZNS1_14transform_implILb0ES3_S5_N6thrust23THRUST_200600_302600_NS17counting_iteratorIjNS8_11use_defaultESA_SA_EENS8_6detail15normal_iteratorINS8_10device_ptrIjEEEEZNS1_13binary_searchIS3_S5_SG_SB_SG_NS1_21lower_bound_search_opENSC_16wrapped_functionINS0_4lessIvEEbEEEE10hipError_tPvRmT1_T2_T3_mmT4_T5_P12ihipStream_tbEUlRKjE_EESN_SR_SS_mST_SW_bEUlT_E_NS1_11comp_targetILNS1_3genE10ELNS1_11target_archE1201ELNS1_3gpuE5ELNS1_3repE0EEENS1_30default_config_static_selectorELNS0_4arch9wavefront6targetE0EEEvSQ_: ; @_ZN7rocprim17ROCPRIM_400000_NS6detail17trampoline_kernelINS0_14default_configENS1_27lower_bound_config_selectorIjjEEZNS1_14transform_implILb0ES3_S5_N6thrust23THRUST_200600_302600_NS17counting_iteratorIjNS8_11use_defaultESA_SA_EENS8_6detail15normal_iteratorINS8_10device_ptrIjEEEEZNS1_13binary_searchIS3_S5_SG_SB_SG_NS1_21lower_bound_search_opENSC_16wrapped_functionINS0_4lessIvEEbEEEE10hipError_tPvRmT1_T2_T3_mmT4_T5_P12ihipStream_tbEUlRKjE_EESN_SR_SS_mST_SW_bEUlT_E_NS1_11comp_targetILNS1_3genE10ELNS1_11target_archE1201ELNS1_3gpuE5ELNS1_3repE0EEENS1_30default_config_static_selectorELNS0_4arch9wavefront6targetE0EEEvSQ_
; %bb.0:
	.section	.rodata,"a",@progbits
	.p2align	6, 0x0
	.amdhsa_kernel _ZN7rocprim17ROCPRIM_400000_NS6detail17trampoline_kernelINS0_14default_configENS1_27lower_bound_config_selectorIjjEEZNS1_14transform_implILb0ES3_S5_N6thrust23THRUST_200600_302600_NS17counting_iteratorIjNS8_11use_defaultESA_SA_EENS8_6detail15normal_iteratorINS8_10device_ptrIjEEEEZNS1_13binary_searchIS3_S5_SG_SB_SG_NS1_21lower_bound_search_opENSC_16wrapped_functionINS0_4lessIvEEbEEEE10hipError_tPvRmT1_T2_T3_mmT4_T5_P12ihipStream_tbEUlRKjE_EESN_SR_SS_mST_SW_bEUlT_E_NS1_11comp_targetILNS1_3genE10ELNS1_11target_archE1201ELNS1_3gpuE5ELNS1_3repE0EEENS1_30default_config_static_selectorELNS0_4arch9wavefront6targetE0EEEvSQ_
		.amdhsa_group_segment_fixed_size 0
		.amdhsa_private_segment_fixed_size 0
		.amdhsa_kernarg_size 56
		.amdhsa_user_sgpr_count 6
		.amdhsa_user_sgpr_private_segment_buffer 1
		.amdhsa_user_sgpr_dispatch_ptr 0
		.amdhsa_user_sgpr_queue_ptr 0
		.amdhsa_user_sgpr_kernarg_segment_ptr 1
		.amdhsa_user_sgpr_dispatch_id 0
		.amdhsa_user_sgpr_flat_scratch_init 0
		.amdhsa_user_sgpr_private_segment_size 0
		.amdhsa_wavefront_size32 1
		.amdhsa_uses_dynamic_stack 0
		.amdhsa_system_sgpr_private_segment_wavefront_offset 0
		.amdhsa_system_sgpr_workgroup_id_x 1
		.amdhsa_system_sgpr_workgroup_id_y 0
		.amdhsa_system_sgpr_workgroup_id_z 0
		.amdhsa_system_sgpr_workgroup_info 0
		.amdhsa_system_vgpr_workitem_id 0
		.amdhsa_next_free_vgpr 1
		.amdhsa_next_free_sgpr 1
		.amdhsa_reserve_vcc 0
		.amdhsa_reserve_flat_scratch 0
		.amdhsa_float_round_mode_32 0
		.amdhsa_float_round_mode_16_64 0
		.amdhsa_float_denorm_mode_32 3
		.amdhsa_float_denorm_mode_16_64 3
		.amdhsa_dx10_clamp 1
		.amdhsa_ieee_mode 1
		.amdhsa_fp16_overflow 0
		.amdhsa_workgroup_processor_mode 1
		.amdhsa_memory_ordered 1
		.amdhsa_forward_progress 1
		.amdhsa_shared_vgpr_count 0
		.amdhsa_exception_fp_ieee_invalid_op 0
		.amdhsa_exception_fp_denorm_src 0
		.amdhsa_exception_fp_ieee_div_zero 0
		.amdhsa_exception_fp_ieee_overflow 0
		.amdhsa_exception_fp_ieee_underflow 0
		.amdhsa_exception_fp_ieee_inexact 0
		.amdhsa_exception_int_div_zero 0
	.end_amdhsa_kernel
	.section	.text._ZN7rocprim17ROCPRIM_400000_NS6detail17trampoline_kernelINS0_14default_configENS1_27lower_bound_config_selectorIjjEEZNS1_14transform_implILb0ES3_S5_N6thrust23THRUST_200600_302600_NS17counting_iteratorIjNS8_11use_defaultESA_SA_EENS8_6detail15normal_iteratorINS8_10device_ptrIjEEEEZNS1_13binary_searchIS3_S5_SG_SB_SG_NS1_21lower_bound_search_opENSC_16wrapped_functionINS0_4lessIvEEbEEEE10hipError_tPvRmT1_T2_T3_mmT4_T5_P12ihipStream_tbEUlRKjE_EESN_SR_SS_mST_SW_bEUlT_E_NS1_11comp_targetILNS1_3genE10ELNS1_11target_archE1201ELNS1_3gpuE5ELNS1_3repE0EEENS1_30default_config_static_selectorELNS0_4arch9wavefront6targetE0EEEvSQ_,"axG",@progbits,_ZN7rocprim17ROCPRIM_400000_NS6detail17trampoline_kernelINS0_14default_configENS1_27lower_bound_config_selectorIjjEEZNS1_14transform_implILb0ES3_S5_N6thrust23THRUST_200600_302600_NS17counting_iteratorIjNS8_11use_defaultESA_SA_EENS8_6detail15normal_iteratorINS8_10device_ptrIjEEEEZNS1_13binary_searchIS3_S5_SG_SB_SG_NS1_21lower_bound_search_opENSC_16wrapped_functionINS0_4lessIvEEbEEEE10hipError_tPvRmT1_T2_T3_mmT4_T5_P12ihipStream_tbEUlRKjE_EESN_SR_SS_mST_SW_bEUlT_E_NS1_11comp_targetILNS1_3genE10ELNS1_11target_archE1201ELNS1_3gpuE5ELNS1_3repE0EEENS1_30default_config_static_selectorELNS0_4arch9wavefront6targetE0EEEvSQ_,comdat
.Lfunc_end235:
	.size	_ZN7rocprim17ROCPRIM_400000_NS6detail17trampoline_kernelINS0_14default_configENS1_27lower_bound_config_selectorIjjEEZNS1_14transform_implILb0ES3_S5_N6thrust23THRUST_200600_302600_NS17counting_iteratorIjNS8_11use_defaultESA_SA_EENS8_6detail15normal_iteratorINS8_10device_ptrIjEEEEZNS1_13binary_searchIS3_S5_SG_SB_SG_NS1_21lower_bound_search_opENSC_16wrapped_functionINS0_4lessIvEEbEEEE10hipError_tPvRmT1_T2_T3_mmT4_T5_P12ihipStream_tbEUlRKjE_EESN_SR_SS_mST_SW_bEUlT_E_NS1_11comp_targetILNS1_3genE10ELNS1_11target_archE1201ELNS1_3gpuE5ELNS1_3repE0EEENS1_30default_config_static_selectorELNS0_4arch9wavefront6targetE0EEEvSQ_, .Lfunc_end235-_ZN7rocprim17ROCPRIM_400000_NS6detail17trampoline_kernelINS0_14default_configENS1_27lower_bound_config_selectorIjjEEZNS1_14transform_implILb0ES3_S5_N6thrust23THRUST_200600_302600_NS17counting_iteratorIjNS8_11use_defaultESA_SA_EENS8_6detail15normal_iteratorINS8_10device_ptrIjEEEEZNS1_13binary_searchIS3_S5_SG_SB_SG_NS1_21lower_bound_search_opENSC_16wrapped_functionINS0_4lessIvEEbEEEE10hipError_tPvRmT1_T2_T3_mmT4_T5_P12ihipStream_tbEUlRKjE_EESN_SR_SS_mST_SW_bEUlT_E_NS1_11comp_targetILNS1_3genE10ELNS1_11target_archE1201ELNS1_3gpuE5ELNS1_3repE0EEENS1_30default_config_static_selectorELNS0_4arch9wavefront6targetE0EEEvSQ_
                                        ; -- End function
	.set _ZN7rocprim17ROCPRIM_400000_NS6detail17trampoline_kernelINS0_14default_configENS1_27lower_bound_config_selectorIjjEEZNS1_14transform_implILb0ES3_S5_N6thrust23THRUST_200600_302600_NS17counting_iteratorIjNS8_11use_defaultESA_SA_EENS8_6detail15normal_iteratorINS8_10device_ptrIjEEEEZNS1_13binary_searchIS3_S5_SG_SB_SG_NS1_21lower_bound_search_opENSC_16wrapped_functionINS0_4lessIvEEbEEEE10hipError_tPvRmT1_T2_T3_mmT4_T5_P12ihipStream_tbEUlRKjE_EESN_SR_SS_mST_SW_bEUlT_E_NS1_11comp_targetILNS1_3genE10ELNS1_11target_archE1201ELNS1_3gpuE5ELNS1_3repE0EEENS1_30default_config_static_selectorELNS0_4arch9wavefront6targetE0EEEvSQ_.num_vgpr, 0
	.set _ZN7rocprim17ROCPRIM_400000_NS6detail17trampoline_kernelINS0_14default_configENS1_27lower_bound_config_selectorIjjEEZNS1_14transform_implILb0ES3_S5_N6thrust23THRUST_200600_302600_NS17counting_iteratorIjNS8_11use_defaultESA_SA_EENS8_6detail15normal_iteratorINS8_10device_ptrIjEEEEZNS1_13binary_searchIS3_S5_SG_SB_SG_NS1_21lower_bound_search_opENSC_16wrapped_functionINS0_4lessIvEEbEEEE10hipError_tPvRmT1_T2_T3_mmT4_T5_P12ihipStream_tbEUlRKjE_EESN_SR_SS_mST_SW_bEUlT_E_NS1_11comp_targetILNS1_3genE10ELNS1_11target_archE1201ELNS1_3gpuE5ELNS1_3repE0EEENS1_30default_config_static_selectorELNS0_4arch9wavefront6targetE0EEEvSQ_.num_agpr, 0
	.set _ZN7rocprim17ROCPRIM_400000_NS6detail17trampoline_kernelINS0_14default_configENS1_27lower_bound_config_selectorIjjEEZNS1_14transform_implILb0ES3_S5_N6thrust23THRUST_200600_302600_NS17counting_iteratorIjNS8_11use_defaultESA_SA_EENS8_6detail15normal_iteratorINS8_10device_ptrIjEEEEZNS1_13binary_searchIS3_S5_SG_SB_SG_NS1_21lower_bound_search_opENSC_16wrapped_functionINS0_4lessIvEEbEEEE10hipError_tPvRmT1_T2_T3_mmT4_T5_P12ihipStream_tbEUlRKjE_EESN_SR_SS_mST_SW_bEUlT_E_NS1_11comp_targetILNS1_3genE10ELNS1_11target_archE1201ELNS1_3gpuE5ELNS1_3repE0EEENS1_30default_config_static_selectorELNS0_4arch9wavefront6targetE0EEEvSQ_.numbered_sgpr, 0
	.set _ZN7rocprim17ROCPRIM_400000_NS6detail17trampoline_kernelINS0_14default_configENS1_27lower_bound_config_selectorIjjEEZNS1_14transform_implILb0ES3_S5_N6thrust23THRUST_200600_302600_NS17counting_iteratorIjNS8_11use_defaultESA_SA_EENS8_6detail15normal_iteratorINS8_10device_ptrIjEEEEZNS1_13binary_searchIS3_S5_SG_SB_SG_NS1_21lower_bound_search_opENSC_16wrapped_functionINS0_4lessIvEEbEEEE10hipError_tPvRmT1_T2_T3_mmT4_T5_P12ihipStream_tbEUlRKjE_EESN_SR_SS_mST_SW_bEUlT_E_NS1_11comp_targetILNS1_3genE10ELNS1_11target_archE1201ELNS1_3gpuE5ELNS1_3repE0EEENS1_30default_config_static_selectorELNS0_4arch9wavefront6targetE0EEEvSQ_.num_named_barrier, 0
	.set _ZN7rocprim17ROCPRIM_400000_NS6detail17trampoline_kernelINS0_14default_configENS1_27lower_bound_config_selectorIjjEEZNS1_14transform_implILb0ES3_S5_N6thrust23THRUST_200600_302600_NS17counting_iteratorIjNS8_11use_defaultESA_SA_EENS8_6detail15normal_iteratorINS8_10device_ptrIjEEEEZNS1_13binary_searchIS3_S5_SG_SB_SG_NS1_21lower_bound_search_opENSC_16wrapped_functionINS0_4lessIvEEbEEEE10hipError_tPvRmT1_T2_T3_mmT4_T5_P12ihipStream_tbEUlRKjE_EESN_SR_SS_mST_SW_bEUlT_E_NS1_11comp_targetILNS1_3genE10ELNS1_11target_archE1201ELNS1_3gpuE5ELNS1_3repE0EEENS1_30default_config_static_selectorELNS0_4arch9wavefront6targetE0EEEvSQ_.private_seg_size, 0
	.set _ZN7rocprim17ROCPRIM_400000_NS6detail17trampoline_kernelINS0_14default_configENS1_27lower_bound_config_selectorIjjEEZNS1_14transform_implILb0ES3_S5_N6thrust23THRUST_200600_302600_NS17counting_iteratorIjNS8_11use_defaultESA_SA_EENS8_6detail15normal_iteratorINS8_10device_ptrIjEEEEZNS1_13binary_searchIS3_S5_SG_SB_SG_NS1_21lower_bound_search_opENSC_16wrapped_functionINS0_4lessIvEEbEEEE10hipError_tPvRmT1_T2_T3_mmT4_T5_P12ihipStream_tbEUlRKjE_EESN_SR_SS_mST_SW_bEUlT_E_NS1_11comp_targetILNS1_3genE10ELNS1_11target_archE1201ELNS1_3gpuE5ELNS1_3repE0EEENS1_30default_config_static_selectorELNS0_4arch9wavefront6targetE0EEEvSQ_.uses_vcc, 0
	.set _ZN7rocprim17ROCPRIM_400000_NS6detail17trampoline_kernelINS0_14default_configENS1_27lower_bound_config_selectorIjjEEZNS1_14transform_implILb0ES3_S5_N6thrust23THRUST_200600_302600_NS17counting_iteratorIjNS8_11use_defaultESA_SA_EENS8_6detail15normal_iteratorINS8_10device_ptrIjEEEEZNS1_13binary_searchIS3_S5_SG_SB_SG_NS1_21lower_bound_search_opENSC_16wrapped_functionINS0_4lessIvEEbEEEE10hipError_tPvRmT1_T2_T3_mmT4_T5_P12ihipStream_tbEUlRKjE_EESN_SR_SS_mST_SW_bEUlT_E_NS1_11comp_targetILNS1_3genE10ELNS1_11target_archE1201ELNS1_3gpuE5ELNS1_3repE0EEENS1_30default_config_static_selectorELNS0_4arch9wavefront6targetE0EEEvSQ_.uses_flat_scratch, 0
	.set _ZN7rocprim17ROCPRIM_400000_NS6detail17trampoline_kernelINS0_14default_configENS1_27lower_bound_config_selectorIjjEEZNS1_14transform_implILb0ES3_S5_N6thrust23THRUST_200600_302600_NS17counting_iteratorIjNS8_11use_defaultESA_SA_EENS8_6detail15normal_iteratorINS8_10device_ptrIjEEEEZNS1_13binary_searchIS3_S5_SG_SB_SG_NS1_21lower_bound_search_opENSC_16wrapped_functionINS0_4lessIvEEbEEEE10hipError_tPvRmT1_T2_T3_mmT4_T5_P12ihipStream_tbEUlRKjE_EESN_SR_SS_mST_SW_bEUlT_E_NS1_11comp_targetILNS1_3genE10ELNS1_11target_archE1201ELNS1_3gpuE5ELNS1_3repE0EEENS1_30default_config_static_selectorELNS0_4arch9wavefront6targetE0EEEvSQ_.has_dyn_sized_stack, 0
	.set _ZN7rocprim17ROCPRIM_400000_NS6detail17trampoline_kernelINS0_14default_configENS1_27lower_bound_config_selectorIjjEEZNS1_14transform_implILb0ES3_S5_N6thrust23THRUST_200600_302600_NS17counting_iteratorIjNS8_11use_defaultESA_SA_EENS8_6detail15normal_iteratorINS8_10device_ptrIjEEEEZNS1_13binary_searchIS3_S5_SG_SB_SG_NS1_21lower_bound_search_opENSC_16wrapped_functionINS0_4lessIvEEbEEEE10hipError_tPvRmT1_T2_T3_mmT4_T5_P12ihipStream_tbEUlRKjE_EESN_SR_SS_mST_SW_bEUlT_E_NS1_11comp_targetILNS1_3genE10ELNS1_11target_archE1201ELNS1_3gpuE5ELNS1_3repE0EEENS1_30default_config_static_selectorELNS0_4arch9wavefront6targetE0EEEvSQ_.has_recursion, 0
	.set _ZN7rocprim17ROCPRIM_400000_NS6detail17trampoline_kernelINS0_14default_configENS1_27lower_bound_config_selectorIjjEEZNS1_14transform_implILb0ES3_S5_N6thrust23THRUST_200600_302600_NS17counting_iteratorIjNS8_11use_defaultESA_SA_EENS8_6detail15normal_iteratorINS8_10device_ptrIjEEEEZNS1_13binary_searchIS3_S5_SG_SB_SG_NS1_21lower_bound_search_opENSC_16wrapped_functionINS0_4lessIvEEbEEEE10hipError_tPvRmT1_T2_T3_mmT4_T5_P12ihipStream_tbEUlRKjE_EESN_SR_SS_mST_SW_bEUlT_E_NS1_11comp_targetILNS1_3genE10ELNS1_11target_archE1201ELNS1_3gpuE5ELNS1_3repE0EEENS1_30default_config_static_selectorELNS0_4arch9wavefront6targetE0EEEvSQ_.has_indirect_call, 0
	.section	.AMDGPU.csdata,"",@progbits
; Kernel info:
; codeLenInByte = 0
; TotalNumSgprs: 0
; NumVgprs: 0
; ScratchSize: 0
; MemoryBound: 0
; FloatMode: 240
; IeeeMode: 1
; LDSByteSize: 0 bytes/workgroup (compile time only)
; SGPRBlocks: 0
; VGPRBlocks: 0
; NumSGPRsForWavesPerEU: 1
; NumVGPRsForWavesPerEU: 1
; Occupancy: 16
; WaveLimiterHint : 0
; COMPUTE_PGM_RSRC2:SCRATCH_EN: 0
; COMPUTE_PGM_RSRC2:USER_SGPR: 6
; COMPUTE_PGM_RSRC2:TRAP_HANDLER: 0
; COMPUTE_PGM_RSRC2:TGID_X_EN: 1
; COMPUTE_PGM_RSRC2:TGID_Y_EN: 0
; COMPUTE_PGM_RSRC2:TGID_Z_EN: 0
; COMPUTE_PGM_RSRC2:TIDIG_COMP_CNT: 0
	.section	.text._ZN7rocprim17ROCPRIM_400000_NS6detail17trampoline_kernelINS0_14default_configENS1_27lower_bound_config_selectorIjjEEZNS1_14transform_implILb0ES3_S5_N6thrust23THRUST_200600_302600_NS17counting_iteratorIjNS8_11use_defaultESA_SA_EENS8_6detail15normal_iteratorINS8_10device_ptrIjEEEEZNS1_13binary_searchIS3_S5_SG_SB_SG_NS1_21lower_bound_search_opENSC_16wrapped_functionINS0_4lessIvEEbEEEE10hipError_tPvRmT1_T2_T3_mmT4_T5_P12ihipStream_tbEUlRKjE_EESN_SR_SS_mST_SW_bEUlT_E_NS1_11comp_targetILNS1_3genE10ELNS1_11target_archE1200ELNS1_3gpuE4ELNS1_3repE0EEENS1_30default_config_static_selectorELNS0_4arch9wavefront6targetE0EEEvSQ_,"axG",@progbits,_ZN7rocprim17ROCPRIM_400000_NS6detail17trampoline_kernelINS0_14default_configENS1_27lower_bound_config_selectorIjjEEZNS1_14transform_implILb0ES3_S5_N6thrust23THRUST_200600_302600_NS17counting_iteratorIjNS8_11use_defaultESA_SA_EENS8_6detail15normal_iteratorINS8_10device_ptrIjEEEEZNS1_13binary_searchIS3_S5_SG_SB_SG_NS1_21lower_bound_search_opENSC_16wrapped_functionINS0_4lessIvEEbEEEE10hipError_tPvRmT1_T2_T3_mmT4_T5_P12ihipStream_tbEUlRKjE_EESN_SR_SS_mST_SW_bEUlT_E_NS1_11comp_targetILNS1_3genE10ELNS1_11target_archE1200ELNS1_3gpuE4ELNS1_3repE0EEENS1_30default_config_static_selectorELNS0_4arch9wavefront6targetE0EEEvSQ_,comdat
	.protected	_ZN7rocprim17ROCPRIM_400000_NS6detail17trampoline_kernelINS0_14default_configENS1_27lower_bound_config_selectorIjjEEZNS1_14transform_implILb0ES3_S5_N6thrust23THRUST_200600_302600_NS17counting_iteratorIjNS8_11use_defaultESA_SA_EENS8_6detail15normal_iteratorINS8_10device_ptrIjEEEEZNS1_13binary_searchIS3_S5_SG_SB_SG_NS1_21lower_bound_search_opENSC_16wrapped_functionINS0_4lessIvEEbEEEE10hipError_tPvRmT1_T2_T3_mmT4_T5_P12ihipStream_tbEUlRKjE_EESN_SR_SS_mST_SW_bEUlT_E_NS1_11comp_targetILNS1_3genE10ELNS1_11target_archE1200ELNS1_3gpuE4ELNS1_3repE0EEENS1_30default_config_static_selectorELNS0_4arch9wavefront6targetE0EEEvSQ_ ; -- Begin function _ZN7rocprim17ROCPRIM_400000_NS6detail17trampoline_kernelINS0_14default_configENS1_27lower_bound_config_selectorIjjEEZNS1_14transform_implILb0ES3_S5_N6thrust23THRUST_200600_302600_NS17counting_iteratorIjNS8_11use_defaultESA_SA_EENS8_6detail15normal_iteratorINS8_10device_ptrIjEEEEZNS1_13binary_searchIS3_S5_SG_SB_SG_NS1_21lower_bound_search_opENSC_16wrapped_functionINS0_4lessIvEEbEEEE10hipError_tPvRmT1_T2_T3_mmT4_T5_P12ihipStream_tbEUlRKjE_EESN_SR_SS_mST_SW_bEUlT_E_NS1_11comp_targetILNS1_3genE10ELNS1_11target_archE1200ELNS1_3gpuE4ELNS1_3repE0EEENS1_30default_config_static_selectorELNS0_4arch9wavefront6targetE0EEEvSQ_
	.globl	_ZN7rocprim17ROCPRIM_400000_NS6detail17trampoline_kernelINS0_14default_configENS1_27lower_bound_config_selectorIjjEEZNS1_14transform_implILb0ES3_S5_N6thrust23THRUST_200600_302600_NS17counting_iteratorIjNS8_11use_defaultESA_SA_EENS8_6detail15normal_iteratorINS8_10device_ptrIjEEEEZNS1_13binary_searchIS3_S5_SG_SB_SG_NS1_21lower_bound_search_opENSC_16wrapped_functionINS0_4lessIvEEbEEEE10hipError_tPvRmT1_T2_T3_mmT4_T5_P12ihipStream_tbEUlRKjE_EESN_SR_SS_mST_SW_bEUlT_E_NS1_11comp_targetILNS1_3genE10ELNS1_11target_archE1200ELNS1_3gpuE4ELNS1_3repE0EEENS1_30default_config_static_selectorELNS0_4arch9wavefront6targetE0EEEvSQ_
	.p2align	8
	.type	_ZN7rocprim17ROCPRIM_400000_NS6detail17trampoline_kernelINS0_14default_configENS1_27lower_bound_config_selectorIjjEEZNS1_14transform_implILb0ES3_S5_N6thrust23THRUST_200600_302600_NS17counting_iteratorIjNS8_11use_defaultESA_SA_EENS8_6detail15normal_iteratorINS8_10device_ptrIjEEEEZNS1_13binary_searchIS3_S5_SG_SB_SG_NS1_21lower_bound_search_opENSC_16wrapped_functionINS0_4lessIvEEbEEEE10hipError_tPvRmT1_T2_T3_mmT4_T5_P12ihipStream_tbEUlRKjE_EESN_SR_SS_mST_SW_bEUlT_E_NS1_11comp_targetILNS1_3genE10ELNS1_11target_archE1200ELNS1_3gpuE4ELNS1_3repE0EEENS1_30default_config_static_selectorELNS0_4arch9wavefront6targetE0EEEvSQ_,@function
_ZN7rocprim17ROCPRIM_400000_NS6detail17trampoline_kernelINS0_14default_configENS1_27lower_bound_config_selectorIjjEEZNS1_14transform_implILb0ES3_S5_N6thrust23THRUST_200600_302600_NS17counting_iteratorIjNS8_11use_defaultESA_SA_EENS8_6detail15normal_iteratorINS8_10device_ptrIjEEEEZNS1_13binary_searchIS3_S5_SG_SB_SG_NS1_21lower_bound_search_opENSC_16wrapped_functionINS0_4lessIvEEbEEEE10hipError_tPvRmT1_T2_T3_mmT4_T5_P12ihipStream_tbEUlRKjE_EESN_SR_SS_mST_SW_bEUlT_E_NS1_11comp_targetILNS1_3genE10ELNS1_11target_archE1200ELNS1_3gpuE4ELNS1_3repE0EEENS1_30default_config_static_selectorELNS0_4arch9wavefront6targetE0EEEvSQ_: ; @_ZN7rocprim17ROCPRIM_400000_NS6detail17trampoline_kernelINS0_14default_configENS1_27lower_bound_config_selectorIjjEEZNS1_14transform_implILb0ES3_S5_N6thrust23THRUST_200600_302600_NS17counting_iteratorIjNS8_11use_defaultESA_SA_EENS8_6detail15normal_iteratorINS8_10device_ptrIjEEEEZNS1_13binary_searchIS3_S5_SG_SB_SG_NS1_21lower_bound_search_opENSC_16wrapped_functionINS0_4lessIvEEbEEEE10hipError_tPvRmT1_T2_T3_mmT4_T5_P12ihipStream_tbEUlRKjE_EESN_SR_SS_mST_SW_bEUlT_E_NS1_11comp_targetILNS1_3genE10ELNS1_11target_archE1200ELNS1_3gpuE4ELNS1_3repE0EEENS1_30default_config_static_selectorELNS0_4arch9wavefront6targetE0EEEvSQ_
; %bb.0:
	.section	.rodata,"a",@progbits
	.p2align	6, 0x0
	.amdhsa_kernel _ZN7rocprim17ROCPRIM_400000_NS6detail17trampoline_kernelINS0_14default_configENS1_27lower_bound_config_selectorIjjEEZNS1_14transform_implILb0ES3_S5_N6thrust23THRUST_200600_302600_NS17counting_iteratorIjNS8_11use_defaultESA_SA_EENS8_6detail15normal_iteratorINS8_10device_ptrIjEEEEZNS1_13binary_searchIS3_S5_SG_SB_SG_NS1_21lower_bound_search_opENSC_16wrapped_functionINS0_4lessIvEEbEEEE10hipError_tPvRmT1_T2_T3_mmT4_T5_P12ihipStream_tbEUlRKjE_EESN_SR_SS_mST_SW_bEUlT_E_NS1_11comp_targetILNS1_3genE10ELNS1_11target_archE1200ELNS1_3gpuE4ELNS1_3repE0EEENS1_30default_config_static_selectorELNS0_4arch9wavefront6targetE0EEEvSQ_
		.amdhsa_group_segment_fixed_size 0
		.amdhsa_private_segment_fixed_size 0
		.amdhsa_kernarg_size 56
		.amdhsa_user_sgpr_count 6
		.amdhsa_user_sgpr_private_segment_buffer 1
		.amdhsa_user_sgpr_dispatch_ptr 0
		.amdhsa_user_sgpr_queue_ptr 0
		.amdhsa_user_sgpr_kernarg_segment_ptr 1
		.amdhsa_user_sgpr_dispatch_id 0
		.amdhsa_user_sgpr_flat_scratch_init 0
		.amdhsa_user_sgpr_private_segment_size 0
		.amdhsa_wavefront_size32 1
		.amdhsa_uses_dynamic_stack 0
		.amdhsa_system_sgpr_private_segment_wavefront_offset 0
		.amdhsa_system_sgpr_workgroup_id_x 1
		.amdhsa_system_sgpr_workgroup_id_y 0
		.amdhsa_system_sgpr_workgroup_id_z 0
		.amdhsa_system_sgpr_workgroup_info 0
		.amdhsa_system_vgpr_workitem_id 0
		.amdhsa_next_free_vgpr 1
		.amdhsa_next_free_sgpr 1
		.amdhsa_reserve_vcc 0
		.amdhsa_reserve_flat_scratch 0
		.amdhsa_float_round_mode_32 0
		.amdhsa_float_round_mode_16_64 0
		.amdhsa_float_denorm_mode_32 3
		.amdhsa_float_denorm_mode_16_64 3
		.amdhsa_dx10_clamp 1
		.amdhsa_ieee_mode 1
		.amdhsa_fp16_overflow 0
		.amdhsa_workgroup_processor_mode 1
		.amdhsa_memory_ordered 1
		.amdhsa_forward_progress 1
		.amdhsa_shared_vgpr_count 0
		.amdhsa_exception_fp_ieee_invalid_op 0
		.amdhsa_exception_fp_denorm_src 0
		.amdhsa_exception_fp_ieee_div_zero 0
		.amdhsa_exception_fp_ieee_overflow 0
		.amdhsa_exception_fp_ieee_underflow 0
		.amdhsa_exception_fp_ieee_inexact 0
		.amdhsa_exception_int_div_zero 0
	.end_amdhsa_kernel
	.section	.text._ZN7rocprim17ROCPRIM_400000_NS6detail17trampoline_kernelINS0_14default_configENS1_27lower_bound_config_selectorIjjEEZNS1_14transform_implILb0ES3_S5_N6thrust23THRUST_200600_302600_NS17counting_iteratorIjNS8_11use_defaultESA_SA_EENS8_6detail15normal_iteratorINS8_10device_ptrIjEEEEZNS1_13binary_searchIS3_S5_SG_SB_SG_NS1_21lower_bound_search_opENSC_16wrapped_functionINS0_4lessIvEEbEEEE10hipError_tPvRmT1_T2_T3_mmT4_T5_P12ihipStream_tbEUlRKjE_EESN_SR_SS_mST_SW_bEUlT_E_NS1_11comp_targetILNS1_3genE10ELNS1_11target_archE1200ELNS1_3gpuE4ELNS1_3repE0EEENS1_30default_config_static_selectorELNS0_4arch9wavefront6targetE0EEEvSQ_,"axG",@progbits,_ZN7rocprim17ROCPRIM_400000_NS6detail17trampoline_kernelINS0_14default_configENS1_27lower_bound_config_selectorIjjEEZNS1_14transform_implILb0ES3_S5_N6thrust23THRUST_200600_302600_NS17counting_iteratorIjNS8_11use_defaultESA_SA_EENS8_6detail15normal_iteratorINS8_10device_ptrIjEEEEZNS1_13binary_searchIS3_S5_SG_SB_SG_NS1_21lower_bound_search_opENSC_16wrapped_functionINS0_4lessIvEEbEEEE10hipError_tPvRmT1_T2_T3_mmT4_T5_P12ihipStream_tbEUlRKjE_EESN_SR_SS_mST_SW_bEUlT_E_NS1_11comp_targetILNS1_3genE10ELNS1_11target_archE1200ELNS1_3gpuE4ELNS1_3repE0EEENS1_30default_config_static_selectorELNS0_4arch9wavefront6targetE0EEEvSQ_,comdat
.Lfunc_end236:
	.size	_ZN7rocprim17ROCPRIM_400000_NS6detail17trampoline_kernelINS0_14default_configENS1_27lower_bound_config_selectorIjjEEZNS1_14transform_implILb0ES3_S5_N6thrust23THRUST_200600_302600_NS17counting_iteratorIjNS8_11use_defaultESA_SA_EENS8_6detail15normal_iteratorINS8_10device_ptrIjEEEEZNS1_13binary_searchIS3_S5_SG_SB_SG_NS1_21lower_bound_search_opENSC_16wrapped_functionINS0_4lessIvEEbEEEE10hipError_tPvRmT1_T2_T3_mmT4_T5_P12ihipStream_tbEUlRKjE_EESN_SR_SS_mST_SW_bEUlT_E_NS1_11comp_targetILNS1_3genE10ELNS1_11target_archE1200ELNS1_3gpuE4ELNS1_3repE0EEENS1_30default_config_static_selectorELNS0_4arch9wavefront6targetE0EEEvSQ_, .Lfunc_end236-_ZN7rocprim17ROCPRIM_400000_NS6detail17trampoline_kernelINS0_14default_configENS1_27lower_bound_config_selectorIjjEEZNS1_14transform_implILb0ES3_S5_N6thrust23THRUST_200600_302600_NS17counting_iteratorIjNS8_11use_defaultESA_SA_EENS8_6detail15normal_iteratorINS8_10device_ptrIjEEEEZNS1_13binary_searchIS3_S5_SG_SB_SG_NS1_21lower_bound_search_opENSC_16wrapped_functionINS0_4lessIvEEbEEEE10hipError_tPvRmT1_T2_T3_mmT4_T5_P12ihipStream_tbEUlRKjE_EESN_SR_SS_mST_SW_bEUlT_E_NS1_11comp_targetILNS1_3genE10ELNS1_11target_archE1200ELNS1_3gpuE4ELNS1_3repE0EEENS1_30default_config_static_selectorELNS0_4arch9wavefront6targetE0EEEvSQ_
                                        ; -- End function
	.set _ZN7rocprim17ROCPRIM_400000_NS6detail17trampoline_kernelINS0_14default_configENS1_27lower_bound_config_selectorIjjEEZNS1_14transform_implILb0ES3_S5_N6thrust23THRUST_200600_302600_NS17counting_iteratorIjNS8_11use_defaultESA_SA_EENS8_6detail15normal_iteratorINS8_10device_ptrIjEEEEZNS1_13binary_searchIS3_S5_SG_SB_SG_NS1_21lower_bound_search_opENSC_16wrapped_functionINS0_4lessIvEEbEEEE10hipError_tPvRmT1_T2_T3_mmT4_T5_P12ihipStream_tbEUlRKjE_EESN_SR_SS_mST_SW_bEUlT_E_NS1_11comp_targetILNS1_3genE10ELNS1_11target_archE1200ELNS1_3gpuE4ELNS1_3repE0EEENS1_30default_config_static_selectorELNS0_4arch9wavefront6targetE0EEEvSQ_.num_vgpr, 0
	.set _ZN7rocprim17ROCPRIM_400000_NS6detail17trampoline_kernelINS0_14default_configENS1_27lower_bound_config_selectorIjjEEZNS1_14transform_implILb0ES3_S5_N6thrust23THRUST_200600_302600_NS17counting_iteratorIjNS8_11use_defaultESA_SA_EENS8_6detail15normal_iteratorINS8_10device_ptrIjEEEEZNS1_13binary_searchIS3_S5_SG_SB_SG_NS1_21lower_bound_search_opENSC_16wrapped_functionINS0_4lessIvEEbEEEE10hipError_tPvRmT1_T2_T3_mmT4_T5_P12ihipStream_tbEUlRKjE_EESN_SR_SS_mST_SW_bEUlT_E_NS1_11comp_targetILNS1_3genE10ELNS1_11target_archE1200ELNS1_3gpuE4ELNS1_3repE0EEENS1_30default_config_static_selectorELNS0_4arch9wavefront6targetE0EEEvSQ_.num_agpr, 0
	.set _ZN7rocprim17ROCPRIM_400000_NS6detail17trampoline_kernelINS0_14default_configENS1_27lower_bound_config_selectorIjjEEZNS1_14transform_implILb0ES3_S5_N6thrust23THRUST_200600_302600_NS17counting_iteratorIjNS8_11use_defaultESA_SA_EENS8_6detail15normal_iteratorINS8_10device_ptrIjEEEEZNS1_13binary_searchIS3_S5_SG_SB_SG_NS1_21lower_bound_search_opENSC_16wrapped_functionINS0_4lessIvEEbEEEE10hipError_tPvRmT1_T2_T3_mmT4_T5_P12ihipStream_tbEUlRKjE_EESN_SR_SS_mST_SW_bEUlT_E_NS1_11comp_targetILNS1_3genE10ELNS1_11target_archE1200ELNS1_3gpuE4ELNS1_3repE0EEENS1_30default_config_static_selectorELNS0_4arch9wavefront6targetE0EEEvSQ_.numbered_sgpr, 0
	.set _ZN7rocprim17ROCPRIM_400000_NS6detail17trampoline_kernelINS0_14default_configENS1_27lower_bound_config_selectorIjjEEZNS1_14transform_implILb0ES3_S5_N6thrust23THRUST_200600_302600_NS17counting_iteratorIjNS8_11use_defaultESA_SA_EENS8_6detail15normal_iteratorINS8_10device_ptrIjEEEEZNS1_13binary_searchIS3_S5_SG_SB_SG_NS1_21lower_bound_search_opENSC_16wrapped_functionINS0_4lessIvEEbEEEE10hipError_tPvRmT1_T2_T3_mmT4_T5_P12ihipStream_tbEUlRKjE_EESN_SR_SS_mST_SW_bEUlT_E_NS1_11comp_targetILNS1_3genE10ELNS1_11target_archE1200ELNS1_3gpuE4ELNS1_3repE0EEENS1_30default_config_static_selectorELNS0_4arch9wavefront6targetE0EEEvSQ_.num_named_barrier, 0
	.set _ZN7rocprim17ROCPRIM_400000_NS6detail17trampoline_kernelINS0_14default_configENS1_27lower_bound_config_selectorIjjEEZNS1_14transform_implILb0ES3_S5_N6thrust23THRUST_200600_302600_NS17counting_iteratorIjNS8_11use_defaultESA_SA_EENS8_6detail15normal_iteratorINS8_10device_ptrIjEEEEZNS1_13binary_searchIS3_S5_SG_SB_SG_NS1_21lower_bound_search_opENSC_16wrapped_functionINS0_4lessIvEEbEEEE10hipError_tPvRmT1_T2_T3_mmT4_T5_P12ihipStream_tbEUlRKjE_EESN_SR_SS_mST_SW_bEUlT_E_NS1_11comp_targetILNS1_3genE10ELNS1_11target_archE1200ELNS1_3gpuE4ELNS1_3repE0EEENS1_30default_config_static_selectorELNS0_4arch9wavefront6targetE0EEEvSQ_.private_seg_size, 0
	.set _ZN7rocprim17ROCPRIM_400000_NS6detail17trampoline_kernelINS0_14default_configENS1_27lower_bound_config_selectorIjjEEZNS1_14transform_implILb0ES3_S5_N6thrust23THRUST_200600_302600_NS17counting_iteratorIjNS8_11use_defaultESA_SA_EENS8_6detail15normal_iteratorINS8_10device_ptrIjEEEEZNS1_13binary_searchIS3_S5_SG_SB_SG_NS1_21lower_bound_search_opENSC_16wrapped_functionINS0_4lessIvEEbEEEE10hipError_tPvRmT1_T2_T3_mmT4_T5_P12ihipStream_tbEUlRKjE_EESN_SR_SS_mST_SW_bEUlT_E_NS1_11comp_targetILNS1_3genE10ELNS1_11target_archE1200ELNS1_3gpuE4ELNS1_3repE0EEENS1_30default_config_static_selectorELNS0_4arch9wavefront6targetE0EEEvSQ_.uses_vcc, 0
	.set _ZN7rocprim17ROCPRIM_400000_NS6detail17trampoline_kernelINS0_14default_configENS1_27lower_bound_config_selectorIjjEEZNS1_14transform_implILb0ES3_S5_N6thrust23THRUST_200600_302600_NS17counting_iteratorIjNS8_11use_defaultESA_SA_EENS8_6detail15normal_iteratorINS8_10device_ptrIjEEEEZNS1_13binary_searchIS3_S5_SG_SB_SG_NS1_21lower_bound_search_opENSC_16wrapped_functionINS0_4lessIvEEbEEEE10hipError_tPvRmT1_T2_T3_mmT4_T5_P12ihipStream_tbEUlRKjE_EESN_SR_SS_mST_SW_bEUlT_E_NS1_11comp_targetILNS1_3genE10ELNS1_11target_archE1200ELNS1_3gpuE4ELNS1_3repE0EEENS1_30default_config_static_selectorELNS0_4arch9wavefront6targetE0EEEvSQ_.uses_flat_scratch, 0
	.set _ZN7rocprim17ROCPRIM_400000_NS6detail17trampoline_kernelINS0_14default_configENS1_27lower_bound_config_selectorIjjEEZNS1_14transform_implILb0ES3_S5_N6thrust23THRUST_200600_302600_NS17counting_iteratorIjNS8_11use_defaultESA_SA_EENS8_6detail15normal_iteratorINS8_10device_ptrIjEEEEZNS1_13binary_searchIS3_S5_SG_SB_SG_NS1_21lower_bound_search_opENSC_16wrapped_functionINS0_4lessIvEEbEEEE10hipError_tPvRmT1_T2_T3_mmT4_T5_P12ihipStream_tbEUlRKjE_EESN_SR_SS_mST_SW_bEUlT_E_NS1_11comp_targetILNS1_3genE10ELNS1_11target_archE1200ELNS1_3gpuE4ELNS1_3repE0EEENS1_30default_config_static_selectorELNS0_4arch9wavefront6targetE0EEEvSQ_.has_dyn_sized_stack, 0
	.set _ZN7rocprim17ROCPRIM_400000_NS6detail17trampoline_kernelINS0_14default_configENS1_27lower_bound_config_selectorIjjEEZNS1_14transform_implILb0ES3_S5_N6thrust23THRUST_200600_302600_NS17counting_iteratorIjNS8_11use_defaultESA_SA_EENS8_6detail15normal_iteratorINS8_10device_ptrIjEEEEZNS1_13binary_searchIS3_S5_SG_SB_SG_NS1_21lower_bound_search_opENSC_16wrapped_functionINS0_4lessIvEEbEEEE10hipError_tPvRmT1_T2_T3_mmT4_T5_P12ihipStream_tbEUlRKjE_EESN_SR_SS_mST_SW_bEUlT_E_NS1_11comp_targetILNS1_3genE10ELNS1_11target_archE1200ELNS1_3gpuE4ELNS1_3repE0EEENS1_30default_config_static_selectorELNS0_4arch9wavefront6targetE0EEEvSQ_.has_recursion, 0
	.set _ZN7rocprim17ROCPRIM_400000_NS6detail17trampoline_kernelINS0_14default_configENS1_27lower_bound_config_selectorIjjEEZNS1_14transform_implILb0ES3_S5_N6thrust23THRUST_200600_302600_NS17counting_iteratorIjNS8_11use_defaultESA_SA_EENS8_6detail15normal_iteratorINS8_10device_ptrIjEEEEZNS1_13binary_searchIS3_S5_SG_SB_SG_NS1_21lower_bound_search_opENSC_16wrapped_functionINS0_4lessIvEEbEEEE10hipError_tPvRmT1_T2_T3_mmT4_T5_P12ihipStream_tbEUlRKjE_EESN_SR_SS_mST_SW_bEUlT_E_NS1_11comp_targetILNS1_3genE10ELNS1_11target_archE1200ELNS1_3gpuE4ELNS1_3repE0EEENS1_30default_config_static_selectorELNS0_4arch9wavefront6targetE0EEEvSQ_.has_indirect_call, 0
	.section	.AMDGPU.csdata,"",@progbits
; Kernel info:
; codeLenInByte = 0
; TotalNumSgprs: 0
; NumVgprs: 0
; ScratchSize: 0
; MemoryBound: 0
; FloatMode: 240
; IeeeMode: 1
; LDSByteSize: 0 bytes/workgroup (compile time only)
; SGPRBlocks: 0
; VGPRBlocks: 0
; NumSGPRsForWavesPerEU: 1
; NumVGPRsForWavesPerEU: 1
; Occupancy: 16
; WaveLimiterHint : 0
; COMPUTE_PGM_RSRC2:SCRATCH_EN: 0
; COMPUTE_PGM_RSRC2:USER_SGPR: 6
; COMPUTE_PGM_RSRC2:TRAP_HANDLER: 0
; COMPUTE_PGM_RSRC2:TGID_X_EN: 1
; COMPUTE_PGM_RSRC2:TGID_Y_EN: 0
; COMPUTE_PGM_RSRC2:TGID_Z_EN: 0
; COMPUTE_PGM_RSRC2:TIDIG_COMP_CNT: 0
	.section	.text._ZN7rocprim17ROCPRIM_400000_NS6detail17trampoline_kernelINS0_14default_configENS1_27lower_bound_config_selectorIjjEEZNS1_14transform_implILb0ES3_S5_N6thrust23THRUST_200600_302600_NS17counting_iteratorIjNS8_11use_defaultESA_SA_EENS8_6detail15normal_iteratorINS8_10device_ptrIjEEEEZNS1_13binary_searchIS3_S5_SG_SB_SG_NS1_21lower_bound_search_opENSC_16wrapped_functionINS0_4lessIvEEbEEEE10hipError_tPvRmT1_T2_T3_mmT4_T5_P12ihipStream_tbEUlRKjE_EESN_SR_SS_mST_SW_bEUlT_E_NS1_11comp_targetILNS1_3genE9ELNS1_11target_archE1100ELNS1_3gpuE3ELNS1_3repE0EEENS1_30default_config_static_selectorELNS0_4arch9wavefront6targetE0EEEvSQ_,"axG",@progbits,_ZN7rocprim17ROCPRIM_400000_NS6detail17trampoline_kernelINS0_14default_configENS1_27lower_bound_config_selectorIjjEEZNS1_14transform_implILb0ES3_S5_N6thrust23THRUST_200600_302600_NS17counting_iteratorIjNS8_11use_defaultESA_SA_EENS8_6detail15normal_iteratorINS8_10device_ptrIjEEEEZNS1_13binary_searchIS3_S5_SG_SB_SG_NS1_21lower_bound_search_opENSC_16wrapped_functionINS0_4lessIvEEbEEEE10hipError_tPvRmT1_T2_T3_mmT4_T5_P12ihipStream_tbEUlRKjE_EESN_SR_SS_mST_SW_bEUlT_E_NS1_11comp_targetILNS1_3genE9ELNS1_11target_archE1100ELNS1_3gpuE3ELNS1_3repE0EEENS1_30default_config_static_selectorELNS0_4arch9wavefront6targetE0EEEvSQ_,comdat
	.protected	_ZN7rocprim17ROCPRIM_400000_NS6detail17trampoline_kernelINS0_14default_configENS1_27lower_bound_config_selectorIjjEEZNS1_14transform_implILb0ES3_S5_N6thrust23THRUST_200600_302600_NS17counting_iteratorIjNS8_11use_defaultESA_SA_EENS8_6detail15normal_iteratorINS8_10device_ptrIjEEEEZNS1_13binary_searchIS3_S5_SG_SB_SG_NS1_21lower_bound_search_opENSC_16wrapped_functionINS0_4lessIvEEbEEEE10hipError_tPvRmT1_T2_T3_mmT4_T5_P12ihipStream_tbEUlRKjE_EESN_SR_SS_mST_SW_bEUlT_E_NS1_11comp_targetILNS1_3genE9ELNS1_11target_archE1100ELNS1_3gpuE3ELNS1_3repE0EEENS1_30default_config_static_selectorELNS0_4arch9wavefront6targetE0EEEvSQ_ ; -- Begin function _ZN7rocprim17ROCPRIM_400000_NS6detail17trampoline_kernelINS0_14default_configENS1_27lower_bound_config_selectorIjjEEZNS1_14transform_implILb0ES3_S5_N6thrust23THRUST_200600_302600_NS17counting_iteratorIjNS8_11use_defaultESA_SA_EENS8_6detail15normal_iteratorINS8_10device_ptrIjEEEEZNS1_13binary_searchIS3_S5_SG_SB_SG_NS1_21lower_bound_search_opENSC_16wrapped_functionINS0_4lessIvEEbEEEE10hipError_tPvRmT1_T2_T3_mmT4_T5_P12ihipStream_tbEUlRKjE_EESN_SR_SS_mST_SW_bEUlT_E_NS1_11comp_targetILNS1_3genE9ELNS1_11target_archE1100ELNS1_3gpuE3ELNS1_3repE0EEENS1_30default_config_static_selectorELNS0_4arch9wavefront6targetE0EEEvSQ_
	.globl	_ZN7rocprim17ROCPRIM_400000_NS6detail17trampoline_kernelINS0_14default_configENS1_27lower_bound_config_selectorIjjEEZNS1_14transform_implILb0ES3_S5_N6thrust23THRUST_200600_302600_NS17counting_iteratorIjNS8_11use_defaultESA_SA_EENS8_6detail15normal_iteratorINS8_10device_ptrIjEEEEZNS1_13binary_searchIS3_S5_SG_SB_SG_NS1_21lower_bound_search_opENSC_16wrapped_functionINS0_4lessIvEEbEEEE10hipError_tPvRmT1_T2_T3_mmT4_T5_P12ihipStream_tbEUlRKjE_EESN_SR_SS_mST_SW_bEUlT_E_NS1_11comp_targetILNS1_3genE9ELNS1_11target_archE1100ELNS1_3gpuE3ELNS1_3repE0EEENS1_30default_config_static_selectorELNS0_4arch9wavefront6targetE0EEEvSQ_
	.p2align	8
	.type	_ZN7rocprim17ROCPRIM_400000_NS6detail17trampoline_kernelINS0_14default_configENS1_27lower_bound_config_selectorIjjEEZNS1_14transform_implILb0ES3_S5_N6thrust23THRUST_200600_302600_NS17counting_iteratorIjNS8_11use_defaultESA_SA_EENS8_6detail15normal_iteratorINS8_10device_ptrIjEEEEZNS1_13binary_searchIS3_S5_SG_SB_SG_NS1_21lower_bound_search_opENSC_16wrapped_functionINS0_4lessIvEEbEEEE10hipError_tPvRmT1_T2_T3_mmT4_T5_P12ihipStream_tbEUlRKjE_EESN_SR_SS_mST_SW_bEUlT_E_NS1_11comp_targetILNS1_3genE9ELNS1_11target_archE1100ELNS1_3gpuE3ELNS1_3repE0EEENS1_30default_config_static_selectorELNS0_4arch9wavefront6targetE0EEEvSQ_,@function
_ZN7rocprim17ROCPRIM_400000_NS6detail17trampoline_kernelINS0_14default_configENS1_27lower_bound_config_selectorIjjEEZNS1_14transform_implILb0ES3_S5_N6thrust23THRUST_200600_302600_NS17counting_iteratorIjNS8_11use_defaultESA_SA_EENS8_6detail15normal_iteratorINS8_10device_ptrIjEEEEZNS1_13binary_searchIS3_S5_SG_SB_SG_NS1_21lower_bound_search_opENSC_16wrapped_functionINS0_4lessIvEEbEEEE10hipError_tPvRmT1_T2_T3_mmT4_T5_P12ihipStream_tbEUlRKjE_EESN_SR_SS_mST_SW_bEUlT_E_NS1_11comp_targetILNS1_3genE9ELNS1_11target_archE1100ELNS1_3gpuE3ELNS1_3repE0EEENS1_30default_config_static_selectorELNS0_4arch9wavefront6targetE0EEEvSQ_: ; @_ZN7rocprim17ROCPRIM_400000_NS6detail17trampoline_kernelINS0_14default_configENS1_27lower_bound_config_selectorIjjEEZNS1_14transform_implILb0ES3_S5_N6thrust23THRUST_200600_302600_NS17counting_iteratorIjNS8_11use_defaultESA_SA_EENS8_6detail15normal_iteratorINS8_10device_ptrIjEEEEZNS1_13binary_searchIS3_S5_SG_SB_SG_NS1_21lower_bound_search_opENSC_16wrapped_functionINS0_4lessIvEEbEEEE10hipError_tPvRmT1_T2_T3_mmT4_T5_P12ihipStream_tbEUlRKjE_EESN_SR_SS_mST_SW_bEUlT_E_NS1_11comp_targetILNS1_3genE9ELNS1_11target_archE1100ELNS1_3gpuE3ELNS1_3repE0EEENS1_30default_config_static_selectorELNS0_4arch9wavefront6targetE0EEEvSQ_
; %bb.0:
	.section	.rodata,"a",@progbits
	.p2align	6, 0x0
	.amdhsa_kernel _ZN7rocprim17ROCPRIM_400000_NS6detail17trampoline_kernelINS0_14default_configENS1_27lower_bound_config_selectorIjjEEZNS1_14transform_implILb0ES3_S5_N6thrust23THRUST_200600_302600_NS17counting_iteratorIjNS8_11use_defaultESA_SA_EENS8_6detail15normal_iteratorINS8_10device_ptrIjEEEEZNS1_13binary_searchIS3_S5_SG_SB_SG_NS1_21lower_bound_search_opENSC_16wrapped_functionINS0_4lessIvEEbEEEE10hipError_tPvRmT1_T2_T3_mmT4_T5_P12ihipStream_tbEUlRKjE_EESN_SR_SS_mST_SW_bEUlT_E_NS1_11comp_targetILNS1_3genE9ELNS1_11target_archE1100ELNS1_3gpuE3ELNS1_3repE0EEENS1_30default_config_static_selectorELNS0_4arch9wavefront6targetE0EEEvSQ_
		.amdhsa_group_segment_fixed_size 0
		.amdhsa_private_segment_fixed_size 0
		.amdhsa_kernarg_size 56
		.amdhsa_user_sgpr_count 6
		.amdhsa_user_sgpr_private_segment_buffer 1
		.amdhsa_user_sgpr_dispatch_ptr 0
		.amdhsa_user_sgpr_queue_ptr 0
		.amdhsa_user_sgpr_kernarg_segment_ptr 1
		.amdhsa_user_sgpr_dispatch_id 0
		.amdhsa_user_sgpr_flat_scratch_init 0
		.amdhsa_user_sgpr_private_segment_size 0
		.amdhsa_wavefront_size32 1
		.amdhsa_uses_dynamic_stack 0
		.amdhsa_system_sgpr_private_segment_wavefront_offset 0
		.amdhsa_system_sgpr_workgroup_id_x 1
		.amdhsa_system_sgpr_workgroup_id_y 0
		.amdhsa_system_sgpr_workgroup_id_z 0
		.amdhsa_system_sgpr_workgroup_info 0
		.amdhsa_system_vgpr_workitem_id 0
		.amdhsa_next_free_vgpr 1
		.amdhsa_next_free_sgpr 1
		.amdhsa_reserve_vcc 0
		.amdhsa_reserve_flat_scratch 0
		.amdhsa_float_round_mode_32 0
		.amdhsa_float_round_mode_16_64 0
		.amdhsa_float_denorm_mode_32 3
		.amdhsa_float_denorm_mode_16_64 3
		.amdhsa_dx10_clamp 1
		.amdhsa_ieee_mode 1
		.amdhsa_fp16_overflow 0
		.amdhsa_workgroup_processor_mode 1
		.amdhsa_memory_ordered 1
		.amdhsa_forward_progress 1
		.amdhsa_shared_vgpr_count 0
		.amdhsa_exception_fp_ieee_invalid_op 0
		.amdhsa_exception_fp_denorm_src 0
		.amdhsa_exception_fp_ieee_div_zero 0
		.amdhsa_exception_fp_ieee_overflow 0
		.amdhsa_exception_fp_ieee_underflow 0
		.amdhsa_exception_fp_ieee_inexact 0
		.amdhsa_exception_int_div_zero 0
	.end_amdhsa_kernel
	.section	.text._ZN7rocprim17ROCPRIM_400000_NS6detail17trampoline_kernelINS0_14default_configENS1_27lower_bound_config_selectorIjjEEZNS1_14transform_implILb0ES3_S5_N6thrust23THRUST_200600_302600_NS17counting_iteratorIjNS8_11use_defaultESA_SA_EENS8_6detail15normal_iteratorINS8_10device_ptrIjEEEEZNS1_13binary_searchIS3_S5_SG_SB_SG_NS1_21lower_bound_search_opENSC_16wrapped_functionINS0_4lessIvEEbEEEE10hipError_tPvRmT1_T2_T3_mmT4_T5_P12ihipStream_tbEUlRKjE_EESN_SR_SS_mST_SW_bEUlT_E_NS1_11comp_targetILNS1_3genE9ELNS1_11target_archE1100ELNS1_3gpuE3ELNS1_3repE0EEENS1_30default_config_static_selectorELNS0_4arch9wavefront6targetE0EEEvSQ_,"axG",@progbits,_ZN7rocprim17ROCPRIM_400000_NS6detail17trampoline_kernelINS0_14default_configENS1_27lower_bound_config_selectorIjjEEZNS1_14transform_implILb0ES3_S5_N6thrust23THRUST_200600_302600_NS17counting_iteratorIjNS8_11use_defaultESA_SA_EENS8_6detail15normal_iteratorINS8_10device_ptrIjEEEEZNS1_13binary_searchIS3_S5_SG_SB_SG_NS1_21lower_bound_search_opENSC_16wrapped_functionINS0_4lessIvEEbEEEE10hipError_tPvRmT1_T2_T3_mmT4_T5_P12ihipStream_tbEUlRKjE_EESN_SR_SS_mST_SW_bEUlT_E_NS1_11comp_targetILNS1_3genE9ELNS1_11target_archE1100ELNS1_3gpuE3ELNS1_3repE0EEENS1_30default_config_static_selectorELNS0_4arch9wavefront6targetE0EEEvSQ_,comdat
.Lfunc_end237:
	.size	_ZN7rocprim17ROCPRIM_400000_NS6detail17trampoline_kernelINS0_14default_configENS1_27lower_bound_config_selectorIjjEEZNS1_14transform_implILb0ES3_S5_N6thrust23THRUST_200600_302600_NS17counting_iteratorIjNS8_11use_defaultESA_SA_EENS8_6detail15normal_iteratorINS8_10device_ptrIjEEEEZNS1_13binary_searchIS3_S5_SG_SB_SG_NS1_21lower_bound_search_opENSC_16wrapped_functionINS0_4lessIvEEbEEEE10hipError_tPvRmT1_T2_T3_mmT4_T5_P12ihipStream_tbEUlRKjE_EESN_SR_SS_mST_SW_bEUlT_E_NS1_11comp_targetILNS1_3genE9ELNS1_11target_archE1100ELNS1_3gpuE3ELNS1_3repE0EEENS1_30default_config_static_selectorELNS0_4arch9wavefront6targetE0EEEvSQ_, .Lfunc_end237-_ZN7rocprim17ROCPRIM_400000_NS6detail17trampoline_kernelINS0_14default_configENS1_27lower_bound_config_selectorIjjEEZNS1_14transform_implILb0ES3_S5_N6thrust23THRUST_200600_302600_NS17counting_iteratorIjNS8_11use_defaultESA_SA_EENS8_6detail15normal_iteratorINS8_10device_ptrIjEEEEZNS1_13binary_searchIS3_S5_SG_SB_SG_NS1_21lower_bound_search_opENSC_16wrapped_functionINS0_4lessIvEEbEEEE10hipError_tPvRmT1_T2_T3_mmT4_T5_P12ihipStream_tbEUlRKjE_EESN_SR_SS_mST_SW_bEUlT_E_NS1_11comp_targetILNS1_3genE9ELNS1_11target_archE1100ELNS1_3gpuE3ELNS1_3repE0EEENS1_30default_config_static_selectorELNS0_4arch9wavefront6targetE0EEEvSQ_
                                        ; -- End function
	.set _ZN7rocprim17ROCPRIM_400000_NS6detail17trampoline_kernelINS0_14default_configENS1_27lower_bound_config_selectorIjjEEZNS1_14transform_implILb0ES3_S5_N6thrust23THRUST_200600_302600_NS17counting_iteratorIjNS8_11use_defaultESA_SA_EENS8_6detail15normal_iteratorINS8_10device_ptrIjEEEEZNS1_13binary_searchIS3_S5_SG_SB_SG_NS1_21lower_bound_search_opENSC_16wrapped_functionINS0_4lessIvEEbEEEE10hipError_tPvRmT1_T2_T3_mmT4_T5_P12ihipStream_tbEUlRKjE_EESN_SR_SS_mST_SW_bEUlT_E_NS1_11comp_targetILNS1_3genE9ELNS1_11target_archE1100ELNS1_3gpuE3ELNS1_3repE0EEENS1_30default_config_static_selectorELNS0_4arch9wavefront6targetE0EEEvSQ_.num_vgpr, 0
	.set _ZN7rocprim17ROCPRIM_400000_NS6detail17trampoline_kernelINS0_14default_configENS1_27lower_bound_config_selectorIjjEEZNS1_14transform_implILb0ES3_S5_N6thrust23THRUST_200600_302600_NS17counting_iteratorIjNS8_11use_defaultESA_SA_EENS8_6detail15normal_iteratorINS8_10device_ptrIjEEEEZNS1_13binary_searchIS3_S5_SG_SB_SG_NS1_21lower_bound_search_opENSC_16wrapped_functionINS0_4lessIvEEbEEEE10hipError_tPvRmT1_T2_T3_mmT4_T5_P12ihipStream_tbEUlRKjE_EESN_SR_SS_mST_SW_bEUlT_E_NS1_11comp_targetILNS1_3genE9ELNS1_11target_archE1100ELNS1_3gpuE3ELNS1_3repE0EEENS1_30default_config_static_selectorELNS0_4arch9wavefront6targetE0EEEvSQ_.num_agpr, 0
	.set _ZN7rocprim17ROCPRIM_400000_NS6detail17trampoline_kernelINS0_14default_configENS1_27lower_bound_config_selectorIjjEEZNS1_14transform_implILb0ES3_S5_N6thrust23THRUST_200600_302600_NS17counting_iteratorIjNS8_11use_defaultESA_SA_EENS8_6detail15normal_iteratorINS8_10device_ptrIjEEEEZNS1_13binary_searchIS3_S5_SG_SB_SG_NS1_21lower_bound_search_opENSC_16wrapped_functionINS0_4lessIvEEbEEEE10hipError_tPvRmT1_T2_T3_mmT4_T5_P12ihipStream_tbEUlRKjE_EESN_SR_SS_mST_SW_bEUlT_E_NS1_11comp_targetILNS1_3genE9ELNS1_11target_archE1100ELNS1_3gpuE3ELNS1_3repE0EEENS1_30default_config_static_selectorELNS0_4arch9wavefront6targetE0EEEvSQ_.numbered_sgpr, 0
	.set _ZN7rocprim17ROCPRIM_400000_NS6detail17trampoline_kernelINS0_14default_configENS1_27lower_bound_config_selectorIjjEEZNS1_14transform_implILb0ES3_S5_N6thrust23THRUST_200600_302600_NS17counting_iteratorIjNS8_11use_defaultESA_SA_EENS8_6detail15normal_iteratorINS8_10device_ptrIjEEEEZNS1_13binary_searchIS3_S5_SG_SB_SG_NS1_21lower_bound_search_opENSC_16wrapped_functionINS0_4lessIvEEbEEEE10hipError_tPvRmT1_T2_T3_mmT4_T5_P12ihipStream_tbEUlRKjE_EESN_SR_SS_mST_SW_bEUlT_E_NS1_11comp_targetILNS1_3genE9ELNS1_11target_archE1100ELNS1_3gpuE3ELNS1_3repE0EEENS1_30default_config_static_selectorELNS0_4arch9wavefront6targetE0EEEvSQ_.num_named_barrier, 0
	.set _ZN7rocprim17ROCPRIM_400000_NS6detail17trampoline_kernelINS0_14default_configENS1_27lower_bound_config_selectorIjjEEZNS1_14transform_implILb0ES3_S5_N6thrust23THRUST_200600_302600_NS17counting_iteratorIjNS8_11use_defaultESA_SA_EENS8_6detail15normal_iteratorINS8_10device_ptrIjEEEEZNS1_13binary_searchIS3_S5_SG_SB_SG_NS1_21lower_bound_search_opENSC_16wrapped_functionINS0_4lessIvEEbEEEE10hipError_tPvRmT1_T2_T3_mmT4_T5_P12ihipStream_tbEUlRKjE_EESN_SR_SS_mST_SW_bEUlT_E_NS1_11comp_targetILNS1_3genE9ELNS1_11target_archE1100ELNS1_3gpuE3ELNS1_3repE0EEENS1_30default_config_static_selectorELNS0_4arch9wavefront6targetE0EEEvSQ_.private_seg_size, 0
	.set _ZN7rocprim17ROCPRIM_400000_NS6detail17trampoline_kernelINS0_14default_configENS1_27lower_bound_config_selectorIjjEEZNS1_14transform_implILb0ES3_S5_N6thrust23THRUST_200600_302600_NS17counting_iteratorIjNS8_11use_defaultESA_SA_EENS8_6detail15normal_iteratorINS8_10device_ptrIjEEEEZNS1_13binary_searchIS3_S5_SG_SB_SG_NS1_21lower_bound_search_opENSC_16wrapped_functionINS0_4lessIvEEbEEEE10hipError_tPvRmT1_T2_T3_mmT4_T5_P12ihipStream_tbEUlRKjE_EESN_SR_SS_mST_SW_bEUlT_E_NS1_11comp_targetILNS1_3genE9ELNS1_11target_archE1100ELNS1_3gpuE3ELNS1_3repE0EEENS1_30default_config_static_selectorELNS0_4arch9wavefront6targetE0EEEvSQ_.uses_vcc, 0
	.set _ZN7rocprim17ROCPRIM_400000_NS6detail17trampoline_kernelINS0_14default_configENS1_27lower_bound_config_selectorIjjEEZNS1_14transform_implILb0ES3_S5_N6thrust23THRUST_200600_302600_NS17counting_iteratorIjNS8_11use_defaultESA_SA_EENS8_6detail15normal_iteratorINS8_10device_ptrIjEEEEZNS1_13binary_searchIS3_S5_SG_SB_SG_NS1_21lower_bound_search_opENSC_16wrapped_functionINS0_4lessIvEEbEEEE10hipError_tPvRmT1_T2_T3_mmT4_T5_P12ihipStream_tbEUlRKjE_EESN_SR_SS_mST_SW_bEUlT_E_NS1_11comp_targetILNS1_3genE9ELNS1_11target_archE1100ELNS1_3gpuE3ELNS1_3repE0EEENS1_30default_config_static_selectorELNS0_4arch9wavefront6targetE0EEEvSQ_.uses_flat_scratch, 0
	.set _ZN7rocprim17ROCPRIM_400000_NS6detail17trampoline_kernelINS0_14default_configENS1_27lower_bound_config_selectorIjjEEZNS1_14transform_implILb0ES3_S5_N6thrust23THRUST_200600_302600_NS17counting_iteratorIjNS8_11use_defaultESA_SA_EENS8_6detail15normal_iteratorINS8_10device_ptrIjEEEEZNS1_13binary_searchIS3_S5_SG_SB_SG_NS1_21lower_bound_search_opENSC_16wrapped_functionINS0_4lessIvEEbEEEE10hipError_tPvRmT1_T2_T3_mmT4_T5_P12ihipStream_tbEUlRKjE_EESN_SR_SS_mST_SW_bEUlT_E_NS1_11comp_targetILNS1_3genE9ELNS1_11target_archE1100ELNS1_3gpuE3ELNS1_3repE0EEENS1_30default_config_static_selectorELNS0_4arch9wavefront6targetE0EEEvSQ_.has_dyn_sized_stack, 0
	.set _ZN7rocprim17ROCPRIM_400000_NS6detail17trampoline_kernelINS0_14default_configENS1_27lower_bound_config_selectorIjjEEZNS1_14transform_implILb0ES3_S5_N6thrust23THRUST_200600_302600_NS17counting_iteratorIjNS8_11use_defaultESA_SA_EENS8_6detail15normal_iteratorINS8_10device_ptrIjEEEEZNS1_13binary_searchIS3_S5_SG_SB_SG_NS1_21lower_bound_search_opENSC_16wrapped_functionINS0_4lessIvEEbEEEE10hipError_tPvRmT1_T2_T3_mmT4_T5_P12ihipStream_tbEUlRKjE_EESN_SR_SS_mST_SW_bEUlT_E_NS1_11comp_targetILNS1_3genE9ELNS1_11target_archE1100ELNS1_3gpuE3ELNS1_3repE0EEENS1_30default_config_static_selectorELNS0_4arch9wavefront6targetE0EEEvSQ_.has_recursion, 0
	.set _ZN7rocprim17ROCPRIM_400000_NS6detail17trampoline_kernelINS0_14default_configENS1_27lower_bound_config_selectorIjjEEZNS1_14transform_implILb0ES3_S5_N6thrust23THRUST_200600_302600_NS17counting_iteratorIjNS8_11use_defaultESA_SA_EENS8_6detail15normal_iteratorINS8_10device_ptrIjEEEEZNS1_13binary_searchIS3_S5_SG_SB_SG_NS1_21lower_bound_search_opENSC_16wrapped_functionINS0_4lessIvEEbEEEE10hipError_tPvRmT1_T2_T3_mmT4_T5_P12ihipStream_tbEUlRKjE_EESN_SR_SS_mST_SW_bEUlT_E_NS1_11comp_targetILNS1_3genE9ELNS1_11target_archE1100ELNS1_3gpuE3ELNS1_3repE0EEENS1_30default_config_static_selectorELNS0_4arch9wavefront6targetE0EEEvSQ_.has_indirect_call, 0
	.section	.AMDGPU.csdata,"",@progbits
; Kernel info:
; codeLenInByte = 0
; TotalNumSgprs: 0
; NumVgprs: 0
; ScratchSize: 0
; MemoryBound: 0
; FloatMode: 240
; IeeeMode: 1
; LDSByteSize: 0 bytes/workgroup (compile time only)
; SGPRBlocks: 0
; VGPRBlocks: 0
; NumSGPRsForWavesPerEU: 1
; NumVGPRsForWavesPerEU: 1
; Occupancy: 16
; WaveLimiterHint : 0
; COMPUTE_PGM_RSRC2:SCRATCH_EN: 0
; COMPUTE_PGM_RSRC2:USER_SGPR: 6
; COMPUTE_PGM_RSRC2:TRAP_HANDLER: 0
; COMPUTE_PGM_RSRC2:TGID_X_EN: 1
; COMPUTE_PGM_RSRC2:TGID_Y_EN: 0
; COMPUTE_PGM_RSRC2:TGID_Z_EN: 0
; COMPUTE_PGM_RSRC2:TIDIG_COMP_CNT: 0
	.section	.text._ZN7rocprim17ROCPRIM_400000_NS6detail17trampoline_kernelINS0_14default_configENS1_27lower_bound_config_selectorIjjEEZNS1_14transform_implILb0ES3_S5_N6thrust23THRUST_200600_302600_NS17counting_iteratorIjNS8_11use_defaultESA_SA_EENS8_6detail15normal_iteratorINS8_10device_ptrIjEEEEZNS1_13binary_searchIS3_S5_SG_SB_SG_NS1_21lower_bound_search_opENSC_16wrapped_functionINS0_4lessIvEEbEEEE10hipError_tPvRmT1_T2_T3_mmT4_T5_P12ihipStream_tbEUlRKjE_EESN_SR_SS_mST_SW_bEUlT_E_NS1_11comp_targetILNS1_3genE8ELNS1_11target_archE1030ELNS1_3gpuE2ELNS1_3repE0EEENS1_30default_config_static_selectorELNS0_4arch9wavefront6targetE0EEEvSQ_,"axG",@progbits,_ZN7rocprim17ROCPRIM_400000_NS6detail17trampoline_kernelINS0_14default_configENS1_27lower_bound_config_selectorIjjEEZNS1_14transform_implILb0ES3_S5_N6thrust23THRUST_200600_302600_NS17counting_iteratorIjNS8_11use_defaultESA_SA_EENS8_6detail15normal_iteratorINS8_10device_ptrIjEEEEZNS1_13binary_searchIS3_S5_SG_SB_SG_NS1_21lower_bound_search_opENSC_16wrapped_functionINS0_4lessIvEEbEEEE10hipError_tPvRmT1_T2_T3_mmT4_T5_P12ihipStream_tbEUlRKjE_EESN_SR_SS_mST_SW_bEUlT_E_NS1_11comp_targetILNS1_3genE8ELNS1_11target_archE1030ELNS1_3gpuE2ELNS1_3repE0EEENS1_30default_config_static_selectorELNS0_4arch9wavefront6targetE0EEEvSQ_,comdat
	.protected	_ZN7rocprim17ROCPRIM_400000_NS6detail17trampoline_kernelINS0_14default_configENS1_27lower_bound_config_selectorIjjEEZNS1_14transform_implILb0ES3_S5_N6thrust23THRUST_200600_302600_NS17counting_iteratorIjNS8_11use_defaultESA_SA_EENS8_6detail15normal_iteratorINS8_10device_ptrIjEEEEZNS1_13binary_searchIS3_S5_SG_SB_SG_NS1_21lower_bound_search_opENSC_16wrapped_functionINS0_4lessIvEEbEEEE10hipError_tPvRmT1_T2_T3_mmT4_T5_P12ihipStream_tbEUlRKjE_EESN_SR_SS_mST_SW_bEUlT_E_NS1_11comp_targetILNS1_3genE8ELNS1_11target_archE1030ELNS1_3gpuE2ELNS1_3repE0EEENS1_30default_config_static_selectorELNS0_4arch9wavefront6targetE0EEEvSQ_ ; -- Begin function _ZN7rocprim17ROCPRIM_400000_NS6detail17trampoline_kernelINS0_14default_configENS1_27lower_bound_config_selectorIjjEEZNS1_14transform_implILb0ES3_S5_N6thrust23THRUST_200600_302600_NS17counting_iteratorIjNS8_11use_defaultESA_SA_EENS8_6detail15normal_iteratorINS8_10device_ptrIjEEEEZNS1_13binary_searchIS3_S5_SG_SB_SG_NS1_21lower_bound_search_opENSC_16wrapped_functionINS0_4lessIvEEbEEEE10hipError_tPvRmT1_T2_T3_mmT4_T5_P12ihipStream_tbEUlRKjE_EESN_SR_SS_mST_SW_bEUlT_E_NS1_11comp_targetILNS1_3genE8ELNS1_11target_archE1030ELNS1_3gpuE2ELNS1_3repE0EEENS1_30default_config_static_selectorELNS0_4arch9wavefront6targetE0EEEvSQ_
	.globl	_ZN7rocprim17ROCPRIM_400000_NS6detail17trampoline_kernelINS0_14default_configENS1_27lower_bound_config_selectorIjjEEZNS1_14transform_implILb0ES3_S5_N6thrust23THRUST_200600_302600_NS17counting_iteratorIjNS8_11use_defaultESA_SA_EENS8_6detail15normal_iteratorINS8_10device_ptrIjEEEEZNS1_13binary_searchIS3_S5_SG_SB_SG_NS1_21lower_bound_search_opENSC_16wrapped_functionINS0_4lessIvEEbEEEE10hipError_tPvRmT1_T2_T3_mmT4_T5_P12ihipStream_tbEUlRKjE_EESN_SR_SS_mST_SW_bEUlT_E_NS1_11comp_targetILNS1_3genE8ELNS1_11target_archE1030ELNS1_3gpuE2ELNS1_3repE0EEENS1_30default_config_static_selectorELNS0_4arch9wavefront6targetE0EEEvSQ_
	.p2align	8
	.type	_ZN7rocprim17ROCPRIM_400000_NS6detail17trampoline_kernelINS0_14default_configENS1_27lower_bound_config_selectorIjjEEZNS1_14transform_implILb0ES3_S5_N6thrust23THRUST_200600_302600_NS17counting_iteratorIjNS8_11use_defaultESA_SA_EENS8_6detail15normal_iteratorINS8_10device_ptrIjEEEEZNS1_13binary_searchIS3_S5_SG_SB_SG_NS1_21lower_bound_search_opENSC_16wrapped_functionINS0_4lessIvEEbEEEE10hipError_tPvRmT1_T2_T3_mmT4_T5_P12ihipStream_tbEUlRKjE_EESN_SR_SS_mST_SW_bEUlT_E_NS1_11comp_targetILNS1_3genE8ELNS1_11target_archE1030ELNS1_3gpuE2ELNS1_3repE0EEENS1_30default_config_static_selectorELNS0_4arch9wavefront6targetE0EEEvSQ_,@function
_ZN7rocprim17ROCPRIM_400000_NS6detail17trampoline_kernelINS0_14default_configENS1_27lower_bound_config_selectorIjjEEZNS1_14transform_implILb0ES3_S5_N6thrust23THRUST_200600_302600_NS17counting_iteratorIjNS8_11use_defaultESA_SA_EENS8_6detail15normal_iteratorINS8_10device_ptrIjEEEEZNS1_13binary_searchIS3_S5_SG_SB_SG_NS1_21lower_bound_search_opENSC_16wrapped_functionINS0_4lessIvEEbEEEE10hipError_tPvRmT1_T2_T3_mmT4_T5_P12ihipStream_tbEUlRKjE_EESN_SR_SS_mST_SW_bEUlT_E_NS1_11comp_targetILNS1_3genE8ELNS1_11target_archE1030ELNS1_3gpuE2ELNS1_3repE0EEENS1_30default_config_static_selectorELNS0_4arch9wavefront6targetE0EEEvSQ_: ; @_ZN7rocprim17ROCPRIM_400000_NS6detail17trampoline_kernelINS0_14default_configENS1_27lower_bound_config_selectorIjjEEZNS1_14transform_implILb0ES3_S5_N6thrust23THRUST_200600_302600_NS17counting_iteratorIjNS8_11use_defaultESA_SA_EENS8_6detail15normal_iteratorINS8_10device_ptrIjEEEEZNS1_13binary_searchIS3_S5_SG_SB_SG_NS1_21lower_bound_search_opENSC_16wrapped_functionINS0_4lessIvEEbEEEE10hipError_tPvRmT1_T2_T3_mmT4_T5_P12ihipStream_tbEUlRKjE_EESN_SR_SS_mST_SW_bEUlT_E_NS1_11comp_targetILNS1_3genE8ELNS1_11target_archE1030ELNS1_3gpuE2ELNS1_3repE0EEENS1_30default_config_static_selectorELNS0_4arch9wavefront6targetE0EEEvSQ_
; %bb.0:
	s_clause 0x4
	s_load_dword s7, s[4:5], 0x0
	s_load_dwordx2 s[8:9], s[4:5], 0x8
	s_load_dword s14, s[4:5], 0x38
	s_load_dwordx4 s[0:3], s[4:5], 0x18
	s_load_dwordx2 s[12:13], s[4:5], 0x28
	s_mov_b32 s11, 0
	s_lshl_b32 s10, s6, 8
                                        ; implicit-def: $vgpr1
	s_waitcnt lgkmcnt(0)
	s_add_i32 s7, s7, s8
	s_add_i32 s15, s14, -1
	s_mov_b32 s14, -1
	s_cmp_lg_u32 s6, s15
	s_mov_b32 s6, s11
	s_cbranch_scc1 .LBB238_4
; %bb.1:
	s_andn2_b32 vcc_lo, exec_lo, s14
	s_cbranch_vccz .LBB238_10
.LBB238_2:
	s_and_saveexec_b32 s2, s6
	s_cbranch_execnz .LBB238_18
.LBB238_3:
	s_endpgm
.LBB238_4:
	s_cmp_eq_u64 s[12:13], 0
	s_cbranch_scc1 .LBB238_8
; %bb.5:
	v_mov_b32_e32 v1, 0
	v_mov_b32_e32 v3, s12
	v_add3_u32 v5, s7, s10, v0
	v_mov_b32_e32 v2, 0
	v_mov_b32_e32 v4, s13
	s_mov_b32 s6, 0
	s_inst_prefetch 0x1
	.p2align	6
.LBB238_6:                              ; =>This Inner Loop Header: Depth=1
	v_sub_co_u32 v6, vcc_lo, v3, v1
	v_sub_co_ci_u32_e64 v7, null, v4, v2, vcc_lo
	v_lshrrev_b64 v[8:9], 1, v[6:7]
	v_lshrrev_b64 v[6:7], 6, v[6:7]
	v_add_co_u32 v8, vcc_lo, v8, v1
	v_add_co_ci_u32_e64 v9, null, v9, v2, vcc_lo
	v_add_co_u32 v6, vcc_lo, v8, v6
	v_add_co_ci_u32_e64 v7, null, v9, v7, vcc_lo
	v_lshlrev_b64 v[8:9], 2, v[6:7]
	v_add_co_u32 v8, vcc_lo, s2, v8
	v_add_co_ci_u32_e64 v9, null, s3, v9, vcc_lo
	global_load_dword v8, v[8:9], off
	v_add_co_u32 v9, vcc_lo, v6, 1
	v_add_co_ci_u32_e64 v10, null, 0, v7, vcc_lo
	s_waitcnt vmcnt(0)
	v_cmp_lt_u32_e32 vcc_lo, v8, v5
	v_cndmask_b32_e32 v4, v7, v4, vcc_lo
	v_cndmask_b32_e32 v3, v6, v3, vcc_lo
	v_cndmask_b32_e32 v2, v2, v10, vcc_lo
	v_cndmask_b32_e32 v1, v1, v9, vcc_lo
	v_cmp_ge_u64_e32 vcc_lo, v[1:2], v[3:4]
	s_or_b32 s6, vcc_lo, s6
	s_andn2_b32 exec_lo, exec_lo, s6
	s_cbranch_execnz .LBB238_6
; %bb.7:
	s_inst_prefetch 0x2
	s_or_b32 exec_lo, exec_lo, s6
	s_branch .LBB238_9
.LBB238_8:
	v_mov_b32_e32 v1, 0
.LBB238_9:
	s_mov_b32 s6, -1
	s_cbranch_execnz .LBB238_2
.LBB238_10:
	s_load_dword s4, s[4:5], 0x10
                                        ; implicit-def: $vgpr1
	s_waitcnt lgkmcnt(0)
	s_sub_i32 s4, s4, s10
	v_cmp_gt_u32_e32 vcc_lo, s4, v0
	s_and_saveexec_b32 s4, vcc_lo
	s_cbranch_execz .LBB238_17
; %bb.11:
	s_cmp_eq_u64 s[12:13], 0
	s_cbranch_scc1 .LBB238_15
; %bb.12:
	v_mov_b32_e32 v1, 0
	v_mov_b32_e32 v3, s12
	v_add3_u32 v5, s7, s10, v0
	v_mov_b32_e32 v2, 0
	v_mov_b32_e32 v4, s13
	s_mov_b32 s5, 0
	s_inst_prefetch 0x1
	.p2align	6
.LBB238_13:                             ; =>This Inner Loop Header: Depth=1
	v_sub_co_u32 v6, vcc_lo, v3, v1
	v_sub_co_ci_u32_e64 v7, null, v4, v2, vcc_lo
	v_lshrrev_b64 v[8:9], 1, v[6:7]
	v_lshrrev_b64 v[6:7], 6, v[6:7]
	v_add_co_u32 v8, vcc_lo, v8, v1
	v_add_co_ci_u32_e64 v9, null, v9, v2, vcc_lo
	v_add_co_u32 v6, vcc_lo, v8, v6
	v_add_co_ci_u32_e64 v7, null, v9, v7, vcc_lo
	v_lshlrev_b64 v[8:9], 2, v[6:7]
	v_add_co_u32 v8, vcc_lo, s2, v8
	v_add_co_ci_u32_e64 v9, null, s3, v9, vcc_lo
	global_load_dword v8, v[8:9], off
	v_add_co_u32 v9, vcc_lo, v6, 1
	v_add_co_ci_u32_e64 v10, null, 0, v7, vcc_lo
	s_waitcnt vmcnt(0)
	v_cmp_gt_u32_e32 vcc_lo, v5, v8
	v_cndmask_b32_e32 v4, v7, v4, vcc_lo
	v_cndmask_b32_e32 v3, v6, v3, vcc_lo
	;; [unrolled: 1-line block ×4, first 2 shown]
	v_cmp_ge_u64_e32 vcc_lo, v[1:2], v[3:4]
	s_or_b32 s5, vcc_lo, s5
	s_andn2_b32 exec_lo, exec_lo, s5
	s_cbranch_execnz .LBB238_13
; %bb.14:
	s_inst_prefetch 0x2
	s_or_b32 exec_lo, exec_lo, s5
	s_branch .LBB238_16
.LBB238_15:
	v_mov_b32_e32 v1, 0
.LBB238_16:
	s_or_b32 s6, s6, exec_lo
.LBB238_17:
	s_or_b32 exec_lo, exec_lo, s4
	s_and_saveexec_b32 s2, s6
	s_cbranch_execz .LBB238_3
.LBB238_18:
	s_lshl_b64 s[2:3], s[8:9], 2
	v_lshlrev_b32_e32 v0, 2, v0
	s_add_u32 s2, s0, s2
	s_addc_u32 s3, s1, s3
	s_lshl_b64 s[0:1], s[10:11], 2
	s_add_u32 s0, s2, s0
	s_addc_u32 s1, s3, s1
	v_add_co_u32 v2, s0, s0, v0
	v_add_co_ci_u32_e64 v3, null, s1, 0, s0
	flat_store_dword v[2:3], v1
	s_endpgm
	.section	.rodata,"a",@progbits
	.p2align	6, 0x0
	.amdhsa_kernel _ZN7rocprim17ROCPRIM_400000_NS6detail17trampoline_kernelINS0_14default_configENS1_27lower_bound_config_selectorIjjEEZNS1_14transform_implILb0ES3_S5_N6thrust23THRUST_200600_302600_NS17counting_iteratorIjNS8_11use_defaultESA_SA_EENS8_6detail15normal_iteratorINS8_10device_ptrIjEEEEZNS1_13binary_searchIS3_S5_SG_SB_SG_NS1_21lower_bound_search_opENSC_16wrapped_functionINS0_4lessIvEEbEEEE10hipError_tPvRmT1_T2_T3_mmT4_T5_P12ihipStream_tbEUlRKjE_EESN_SR_SS_mST_SW_bEUlT_E_NS1_11comp_targetILNS1_3genE8ELNS1_11target_archE1030ELNS1_3gpuE2ELNS1_3repE0EEENS1_30default_config_static_selectorELNS0_4arch9wavefront6targetE0EEEvSQ_
		.amdhsa_group_segment_fixed_size 0
		.amdhsa_private_segment_fixed_size 0
		.amdhsa_kernarg_size 312
		.amdhsa_user_sgpr_count 6
		.amdhsa_user_sgpr_private_segment_buffer 1
		.amdhsa_user_sgpr_dispatch_ptr 0
		.amdhsa_user_sgpr_queue_ptr 0
		.amdhsa_user_sgpr_kernarg_segment_ptr 1
		.amdhsa_user_sgpr_dispatch_id 0
		.amdhsa_user_sgpr_flat_scratch_init 0
		.amdhsa_user_sgpr_private_segment_size 0
		.amdhsa_wavefront_size32 1
		.amdhsa_uses_dynamic_stack 0
		.amdhsa_system_sgpr_private_segment_wavefront_offset 0
		.amdhsa_system_sgpr_workgroup_id_x 1
		.amdhsa_system_sgpr_workgroup_id_y 0
		.amdhsa_system_sgpr_workgroup_id_z 0
		.amdhsa_system_sgpr_workgroup_info 0
		.amdhsa_system_vgpr_workitem_id 0
		.amdhsa_next_free_vgpr 11
		.amdhsa_next_free_sgpr 16
		.amdhsa_reserve_vcc 1
		.amdhsa_reserve_flat_scratch 0
		.amdhsa_float_round_mode_32 0
		.amdhsa_float_round_mode_16_64 0
		.amdhsa_float_denorm_mode_32 3
		.amdhsa_float_denorm_mode_16_64 3
		.amdhsa_dx10_clamp 1
		.amdhsa_ieee_mode 1
		.amdhsa_fp16_overflow 0
		.amdhsa_workgroup_processor_mode 1
		.amdhsa_memory_ordered 1
		.amdhsa_forward_progress 1
		.amdhsa_shared_vgpr_count 0
		.amdhsa_exception_fp_ieee_invalid_op 0
		.amdhsa_exception_fp_denorm_src 0
		.amdhsa_exception_fp_ieee_div_zero 0
		.amdhsa_exception_fp_ieee_overflow 0
		.amdhsa_exception_fp_ieee_underflow 0
		.amdhsa_exception_fp_ieee_inexact 0
		.amdhsa_exception_int_div_zero 0
	.end_amdhsa_kernel
	.section	.text._ZN7rocprim17ROCPRIM_400000_NS6detail17trampoline_kernelINS0_14default_configENS1_27lower_bound_config_selectorIjjEEZNS1_14transform_implILb0ES3_S5_N6thrust23THRUST_200600_302600_NS17counting_iteratorIjNS8_11use_defaultESA_SA_EENS8_6detail15normal_iteratorINS8_10device_ptrIjEEEEZNS1_13binary_searchIS3_S5_SG_SB_SG_NS1_21lower_bound_search_opENSC_16wrapped_functionINS0_4lessIvEEbEEEE10hipError_tPvRmT1_T2_T3_mmT4_T5_P12ihipStream_tbEUlRKjE_EESN_SR_SS_mST_SW_bEUlT_E_NS1_11comp_targetILNS1_3genE8ELNS1_11target_archE1030ELNS1_3gpuE2ELNS1_3repE0EEENS1_30default_config_static_selectorELNS0_4arch9wavefront6targetE0EEEvSQ_,"axG",@progbits,_ZN7rocprim17ROCPRIM_400000_NS6detail17trampoline_kernelINS0_14default_configENS1_27lower_bound_config_selectorIjjEEZNS1_14transform_implILb0ES3_S5_N6thrust23THRUST_200600_302600_NS17counting_iteratorIjNS8_11use_defaultESA_SA_EENS8_6detail15normal_iteratorINS8_10device_ptrIjEEEEZNS1_13binary_searchIS3_S5_SG_SB_SG_NS1_21lower_bound_search_opENSC_16wrapped_functionINS0_4lessIvEEbEEEE10hipError_tPvRmT1_T2_T3_mmT4_T5_P12ihipStream_tbEUlRKjE_EESN_SR_SS_mST_SW_bEUlT_E_NS1_11comp_targetILNS1_3genE8ELNS1_11target_archE1030ELNS1_3gpuE2ELNS1_3repE0EEENS1_30default_config_static_selectorELNS0_4arch9wavefront6targetE0EEEvSQ_,comdat
.Lfunc_end238:
	.size	_ZN7rocprim17ROCPRIM_400000_NS6detail17trampoline_kernelINS0_14default_configENS1_27lower_bound_config_selectorIjjEEZNS1_14transform_implILb0ES3_S5_N6thrust23THRUST_200600_302600_NS17counting_iteratorIjNS8_11use_defaultESA_SA_EENS8_6detail15normal_iteratorINS8_10device_ptrIjEEEEZNS1_13binary_searchIS3_S5_SG_SB_SG_NS1_21lower_bound_search_opENSC_16wrapped_functionINS0_4lessIvEEbEEEE10hipError_tPvRmT1_T2_T3_mmT4_T5_P12ihipStream_tbEUlRKjE_EESN_SR_SS_mST_SW_bEUlT_E_NS1_11comp_targetILNS1_3genE8ELNS1_11target_archE1030ELNS1_3gpuE2ELNS1_3repE0EEENS1_30default_config_static_selectorELNS0_4arch9wavefront6targetE0EEEvSQ_, .Lfunc_end238-_ZN7rocprim17ROCPRIM_400000_NS6detail17trampoline_kernelINS0_14default_configENS1_27lower_bound_config_selectorIjjEEZNS1_14transform_implILb0ES3_S5_N6thrust23THRUST_200600_302600_NS17counting_iteratorIjNS8_11use_defaultESA_SA_EENS8_6detail15normal_iteratorINS8_10device_ptrIjEEEEZNS1_13binary_searchIS3_S5_SG_SB_SG_NS1_21lower_bound_search_opENSC_16wrapped_functionINS0_4lessIvEEbEEEE10hipError_tPvRmT1_T2_T3_mmT4_T5_P12ihipStream_tbEUlRKjE_EESN_SR_SS_mST_SW_bEUlT_E_NS1_11comp_targetILNS1_3genE8ELNS1_11target_archE1030ELNS1_3gpuE2ELNS1_3repE0EEENS1_30default_config_static_selectorELNS0_4arch9wavefront6targetE0EEEvSQ_
                                        ; -- End function
	.set _ZN7rocprim17ROCPRIM_400000_NS6detail17trampoline_kernelINS0_14default_configENS1_27lower_bound_config_selectorIjjEEZNS1_14transform_implILb0ES3_S5_N6thrust23THRUST_200600_302600_NS17counting_iteratorIjNS8_11use_defaultESA_SA_EENS8_6detail15normal_iteratorINS8_10device_ptrIjEEEEZNS1_13binary_searchIS3_S5_SG_SB_SG_NS1_21lower_bound_search_opENSC_16wrapped_functionINS0_4lessIvEEbEEEE10hipError_tPvRmT1_T2_T3_mmT4_T5_P12ihipStream_tbEUlRKjE_EESN_SR_SS_mST_SW_bEUlT_E_NS1_11comp_targetILNS1_3genE8ELNS1_11target_archE1030ELNS1_3gpuE2ELNS1_3repE0EEENS1_30default_config_static_selectorELNS0_4arch9wavefront6targetE0EEEvSQ_.num_vgpr, 11
	.set _ZN7rocprim17ROCPRIM_400000_NS6detail17trampoline_kernelINS0_14default_configENS1_27lower_bound_config_selectorIjjEEZNS1_14transform_implILb0ES3_S5_N6thrust23THRUST_200600_302600_NS17counting_iteratorIjNS8_11use_defaultESA_SA_EENS8_6detail15normal_iteratorINS8_10device_ptrIjEEEEZNS1_13binary_searchIS3_S5_SG_SB_SG_NS1_21lower_bound_search_opENSC_16wrapped_functionINS0_4lessIvEEbEEEE10hipError_tPvRmT1_T2_T3_mmT4_T5_P12ihipStream_tbEUlRKjE_EESN_SR_SS_mST_SW_bEUlT_E_NS1_11comp_targetILNS1_3genE8ELNS1_11target_archE1030ELNS1_3gpuE2ELNS1_3repE0EEENS1_30default_config_static_selectorELNS0_4arch9wavefront6targetE0EEEvSQ_.num_agpr, 0
	.set _ZN7rocprim17ROCPRIM_400000_NS6detail17trampoline_kernelINS0_14default_configENS1_27lower_bound_config_selectorIjjEEZNS1_14transform_implILb0ES3_S5_N6thrust23THRUST_200600_302600_NS17counting_iteratorIjNS8_11use_defaultESA_SA_EENS8_6detail15normal_iteratorINS8_10device_ptrIjEEEEZNS1_13binary_searchIS3_S5_SG_SB_SG_NS1_21lower_bound_search_opENSC_16wrapped_functionINS0_4lessIvEEbEEEE10hipError_tPvRmT1_T2_T3_mmT4_T5_P12ihipStream_tbEUlRKjE_EESN_SR_SS_mST_SW_bEUlT_E_NS1_11comp_targetILNS1_3genE8ELNS1_11target_archE1030ELNS1_3gpuE2ELNS1_3repE0EEENS1_30default_config_static_selectorELNS0_4arch9wavefront6targetE0EEEvSQ_.numbered_sgpr, 16
	.set _ZN7rocprim17ROCPRIM_400000_NS6detail17trampoline_kernelINS0_14default_configENS1_27lower_bound_config_selectorIjjEEZNS1_14transform_implILb0ES3_S5_N6thrust23THRUST_200600_302600_NS17counting_iteratorIjNS8_11use_defaultESA_SA_EENS8_6detail15normal_iteratorINS8_10device_ptrIjEEEEZNS1_13binary_searchIS3_S5_SG_SB_SG_NS1_21lower_bound_search_opENSC_16wrapped_functionINS0_4lessIvEEbEEEE10hipError_tPvRmT1_T2_T3_mmT4_T5_P12ihipStream_tbEUlRKjE_EESN_SR_SS_mST_SW_bEUlT_E_NS1_11comp_targetILNS1_3genE8ELNS1_11target_archE1030ELNS1_3gpuE2ELNS1_3repE0EEENS1_30default_config_static_selectorELNS0_4arch9wavefront6targetE0EEEvSQ_.num_named_barrier, 0
	.set _ZN7rocprim17ROCPRIM_400000_NS6detail17trampoline_kernelINS0_14default_configENS1_27lower_bound_config_selectorIjjEEZNS1_14transform_implILb0ES3_S5_N6thrust23THRUST_200600_302600_NS17counting_iteratorIjNS8_11use_defaultESA_SA_EENS8_6detail15normal_iteratorINS8_10device_ptrIjEEEEZNS1_13binary_searchIS3_S5_SG_SB_SG_NS1_21lower_bound_search_opENSC_16wrapped_functionINS0_4lessIvEEbEEEE10hipError_tPvRmT1_T2_T3_mmT4_T5_P12ihipStream_tbEUlRKjE_EESN_SR_SS_mST_SW_bEUlT_E_NS1_11comp_targetILNS1_3genE8ELNS1_11target_archE1030ELNS1_3gpuE2ELNS1_3repE0EEENS1_30default_config_static_selectorELNS0_4arch9wavefront6targetE0EEEvSQ_.private_seg_size, 0
	.set _ZN7rocprim17ROCPRIM_400000_NS6detail17trampoline_kernelINS0_14default_configENS1_27lower_bound_config_selectorIjjEEZNS1_14transform_implILb0ES3_S5_N6thrust23THRUST_200600_302600_NS17counting_iteratorIjNS8_11use_defaultESA_SA_EENS8_6detail15normal_iteratorINS8_10device_ptrIjEEEEZNS1_13binary_searchIS3_S5_SG_SB_SG_NS1_21lower_bound_search_opENSC_16wrapped_functionINS0_4lessIvEEbEEEE10hipError_tPvRmT1_T2_T3_mmT4_T5_P12ihipStream_tbEUlRKjE_EESN_SR_SS_mST_SW_bEUlT_E_NS1_11comp_targetILNS1_3genE8ELNS1_11target_archE1030ELNS1_3gpuE2ELNS1_3repE0EEENS1_30default_config_static_selectorELNS0_4arch9wavefront6targetE0EEEvSQ_.uses_vcc, 1
	.set _ZN7rocprim17ROCPRIM_400000_NS6detail17trampoline_kernelINS0_14default_configENS1_27lower_bound_config_selectorIjjEEZNS1_14transform_implILb0ES3_S5_N6thrust23THRUST_200600_302600_NS17counting_iteratorIjNS8_11use_defaultESA_SA_EENS8_6detail15normal_iteratorINS8_10device_ptrIjEEEEZNS1_13binary_searchIS3_S5_SG_SB_SG_NS1_21lower_bound_search_opENSC_16wrapped_functionINS0_4lessIvEEbEEEE10hipError_tPvRmT1_T2_T3_mmT4_T5_P12ihipStream_tbEUlRKjE_EESN_SR_SS_mST_SW_bEUlT_E_NS1_11comp_targetILNS1_3genE8ELNS1_11target_archE1030ELNS1_3gpuE2ELNS1_3repE0EEENS1_30default_config_static_selectorELNS0_4arch9wavefront6targetE0EEEvSQ_.uses_flat_scratch, 0
	.set _ZN7rocprim17ROCPRIM_400000_NS6detail17trampoline_kernelINS0_14default_configENS1_27lower_bound_config_selectorIjjEEZNS1_14transform_implILb0ES3_S5_N6thrust23THRUST_200600_302600_NS17counting_iteratorIjNS8_11use_defaultESA_SA_EENS8_6detail15normal_iteratorINS8_10device_ptrIjEEEEZNS1_13binary_searchIS3_S5_SG_SB_SG_NS1_21lower_bound_search_opENSC_16wrapped_functionINS0_4lessIvEEbEEEE10hipError_tPvRmT1_T2_T3_mmT4_T5_P12ihipStream_tbEUlRKjE_EESN_SR_SS_mST_SW_bEUlT_E_NS1_11comp_targetILNS1_3genE8ELNS1_11target_archE1030ELNS1_3gpuE2ELNS1_3repE0EEENS1_30default_config_static_selectorELNS0_4arch9wavefront6targetE0EEEvSQ_.has_dyn_sized_stack, 0
	.set _ZN7rocprim17ROCPRIM_400000_NS6detail17trampoline_kernelINS0_14default_configENS1_27lower_bound_config_selectorIjjEEZNS1_14transform_implILb0ES3_S5_N6thrust23THRUST_200600_302600_NS17counting_iteratorIjNS8_11use_defaultESA_SA_EENS8_6detail15normal_iteratorINS8_10device_ptrIjEEEEZNS1_13binary_searchIS3_S5_SG_SB_SG_NS1_21lower_bound_search_opENSC_16wrapped_functionINS0_4lessIvEEbEEEE10hipError_tPvRmT1_T2_T3_mmT4_T5_P12ihipStream_tbEUlRKjE_EESN_SR_SS_mST_SW_bEUlT_E_NS1_11comp_targetILNS1_3genE8ELNS1_11target_archE1030ELNS1_3gpuE2ELNS1_3repE0EEENS1_30default_config_static_selectorELNS0_4arch9wavefront6targetE0EEEvSQ_.has_recursion, 0
	.set _ZN7rocprim17ROCPRIM_400000_NS6detail17trampoline_kernelINS0_14default_configENS1_27lower_bound_config_selectorIjjEEZNS1_14transform_implILb0ES3_S5_N6thrust23THRUST_200600_302600_NS17counting_iteratorIjNS8_11use_defaultESA_SA_EENS8_6detail15normal_iteratorINS8_10device_ptrIjEEEEZNS1_13binary_searchIS3_S5_SG_SB_SG_NS1_21lower_bound_search_opENSC_16wrapped_functionINS0_4lessIvEEbEEEE10hipError_tPvRmT1_T2_T3_mmT4_T5_P12ihipStream_tbEUlRKjE_EESN_SR_SS_mST_SW_bEUlT_E_NS1_11comp_targetILNS1_3genE8ELNS1_11target_archE1030ELNS1_3gpuE2ELNS1_3repE0EEENS1_30default_config_static_selectorELNS0_4arch9wavefront6targetE0EEEvSQ_.has_indirect_call, 0
	.section	.AMDGPU.csdata,"",@progbits
; Kernel info:
; codeLenInByte = 688
; TotalNumSgprs: 18
; NumVgprs: 11
; ScratchSize: 0
; MemoryBound: 0
; FloatMode: 240
; IeeeMode: 1
; LDSByteSize: 0 bytes/workgroup (compile time only)
; SGPRBlocks: 0
; VGPRBlocks: 1
; NumSGPRsForWavesPerEU: 18
; NumVGPRsForWavesPerEU: 11
; Occupancy: 16
; WaveLimiterHint : 0
; COMPUTE_PGM_RSRC2:SCRATCH_EN: 0
; COMPUTE_PGM_RSRC2:USER_SGPR: 6
; COMPUTE_PGM_RSRC2:TRAP_HANDLER: 0
; COMPUTE_PGM_RSRC2:TGID_X_EN: 1
; COMPUTE_PGM_RSRC2:TGID_Y_EN: 0
; COMPUTE_PGM_RSRC2:TGID_Z_EN: 0
; COMPUTE_PGM_RSRC2:TIDIG_COMP_CNT: 0
	.section	.text._ZN7rocprim17ROCPRIM_400000_NS6detail17trampoline_kernelINS0_14default_configENS1_27upper_bound_config_selectorIjjEEZNS1_14transform_implILb0ES3_S5_N6thrust23THRUST_200600_302600_NS17counting_iteratorIjNS8_11use_defaultESA_SA_EENS8_6detail15normal_iteratorINS8_10device_ptrIjEEEEZNS1_13binary_searchIS3_S5_SG_SB_SG_NS1_21upper_bound_search_opENSC_16wrapped_functionINS0_4lessIvEEbEEEE10hipError_tPvRmT1_T2_T3_mmT4_T5_P12ihipStream_tbEUlRKjE_EESN_SR_SS_mST_SW_bEUlT_E_NS1_11comp_targetILNS1_3genE0ELNS1_11target_archE4294967295ELNS1_3gpuE0ELNS1_3repE0EEENS1_30default_config_static_selectorELNS0_4arch9wavefront6targetE0EEEvSQ_,"axG",@progbits,_ZN7rocprim17ROCPRIM_400000_NS6detail17trampoline_kernelINS0_14default_configENS1_27upper_bound_config_selectorIjjEEZNS1_14transform_implILb0ES3_S5_N6thrust23THRUST_200600_302600_NS17counting_iteratorIjNS8_11use_defaultESA_SA_EENS8_6detail15normal_iteratorINS8_10device_ptrIjEEEEZNS1_13binary_searchIS3_S5_SG_SB_SG_NS1_21upper_bound_search_opENSC_16wrapped_functionINS0_4lessIvEEbEEEE10hipError_tPvRmT1_T2_T3_mmT4_T5_P12ihipStream_tbEUlRKjE_EESN_SR_SS_mST_SW_bEUlT_E_NS1_11comp_targetILNS1_3genE0ELNS1_11target_archE4294967295ELNS1_3gpuE0ELNS1_3repE0EEENS1_30default_config_static_selectorELNS0_4arch9wavefront6targetE0EEEvSQ_,comdat
	.protected	_ZN7rocprim17ROCPRIM_400000_NS6detail17trampoline_kernelINS0_14default_configENS1_27upper_bound_config_selectorIjjEEZNS1_14transform_implILb0ES3_S5_N6thrust23THRUST_200600_302600_NS17counting_iteratorIjNS8_11use_defaultESA_SA_EENS8_6detail15normal_iteratorINS8_10device_ptrIjEEEEZNS1_13binary_searchIS3_S5_SG_SB_SG_NS1_21upper_bound_search_opENSC_16wrapped_functionINS0_4lessIvEEbEEEE10hipError_tPvRmT1_T2_T3_mmT4_T5_P12ihipStream_tbEUlRKjE_EESN_SR_SS_mST_SW_bEUlT_E_NS1_11comp_targetILNS1_3genE0ELNS1_11target_archE4294967295ELNS1_3gpuE0ELNS1_3repE0EEENS1_30default_config_static_selectorELNS0_4arch9wavefront6targetE0EEEvSQ_ ; -- Begin function _ZN7rocprim17ROCPRIM_400000_NS6detail17trampoline_kernelINS0_14default_configENS1_27upper_bound_config_selectorIjjEEZNS1_14transform_implILb0ES3_S5_N6thrust23THRUST_200600_302600_NS17counting_iteratorIjNS8_11use_defaultESA_SA_EENS8_6detail15normal_iteratorINS8_10device_ptrIjEEEEZNS1_13binary_searchIS3_S5_SG_SB_SG_NS1_21upper_bound_search_opENSC_16wrapped_functionINS0_4lessIvEEbEEEE10hipError_tPvRmT1_T2_T3_mmT4_T5_P12ihipStream_tbEUlRKjE_EESN_SR_SS_mST_SW_bEUlT_E_NS1_11comp_targetILNS1_3genE0ELNS1_11target_archE4294967295ELNS1_3gpuE0ELNS1_3repE0EEENS1_30default_config_static_selectorELNS0_4arch9wavefront6targetE0EEEvSQ_
	.globl	_ZN7rocprim17ROCPRIM_400000_NS6detail17trampoline_kernelINS0_14default_configENS1_27upper_bound_config_selectorIjjEEZNS1_14transform_implILb0ES3_S5_N6thrust23THRUST_200600_302600_NS17counting_iteratorIjNS8_11use_defaultESA_SA_EENS8_6detail15normal_iteratorINS8_10device_ptrIjEEEEZNS1_13binary_searchIS3_S5_SG_SB_SG_NS1_21upper_bound_search_opENSC_16wrapped_functionINS0_4lessIvEEbEEEE10hipError_tPvRmT1_T2_T3_mmT4_T5_P12ihipStream_tbEUlRKjE_EESN_SR_SS_mST_SW_bEUlT_E_NS1_11comp_targetILNS1_3genE0ELNS1_11target_archE4294967295ELNS1_3gpuE0ELNS1_3repE0EEENS1_30default_config_static_selectorELNS0_4arch9wavefront6targetE0EEEvSQ_
	.p2align	8
	.type	_ZN7rocprim17ROCPRIM_400000_NS6detail17trampoline_kernelINS0_14default_configENS1_27upper_bound_config_selectorIjjEEZNS1_14transform_implILb0ES3_S5_N6thrust23THRUST_200600_302600_NS17counting_iteratorIjNS8_11use_defaultESA_SA_EENS8_6detail15normal_iteratorINS8_10device_ptrIjEEEEZNS1_13binary_searchIS3_S5_SG_SB_SG_NS1_21upper_bound_search_opENSC_16wrapped_functionINS0_4lessIvEEbEEEE10hipError_tPvRmT1_T2_T3_mmT4_T5_P12ihipStream_tbEUlRKjE_EESN_SR_SS_mST_SW_bEUlT_E_NS1_11comp_targetILNS1_3genE0ELNS1_11target_archE4294967295ELNS1_3gpuE0ELNS1_3repE0EEENS1_30default_config_static_selectorELNS0_4arch9wavefront6targetE0EEEvSQ_,@function
_ZN7rocprim17ROCPRIM_400000_NS6detail17trampoline_kernelINS0_14default_configENS1_27upper_bound_config_selectorIjjEEZNS1_14transform_implILb0ES3_S5_N6thrust23THRUST_200600_302600_NS17counting_iteratorIjNS8_11use_defaultESA_SA_EENS8_6detail15normal_iteratorINS8_10device_ptrIjEEEEZNS1_13binary_searchIS3_S5_SG_SB_SG_NS1_21upper_bound_search_opENSC_16wrapped_functionINS0_4lessIvEEbEEEE10hipError_tPvRmT1_T2_T3_mmT4_T5_P12ihipStream_tbEUlRKjE_EESN_SR_SS_mST_SW_bEUlT_E_NS1_11comp_targetILNS1_3genE0ELNS1_11target_archE4294967295ELNS1_3gpuE0ELNS1_3repE0EEENS1_30default_config_static_selectorELNS0_4arch9wavefront6targetE0EEEvSQ_: ; @_ZN7rocprim17ROCPRIM_400000_NS6detail17trampoline_kernelINS0_14default_configENS1_27upper_bound_config_selectorIjjEEZNS1_14transform_implILb0ES3_S5_N6thrust23THRUST_200600_302600_NS17counting_iteratorIjNS8_11use_defaultESA_SA_EENS8_6detail15normal_iteratorINS8_10device_ptrIjEEEEZNS1_13binary_searchIS3_S5_SG_SB_SG_NS1_21upper_bound_search_opENSC_16wrapped_functionINS0_4lessIvEEbEEEE10hipError_tPvRmT1_T2_T3_mmT4_T5_P12ihipStream_tbEUlRKjE_EESN_SR_SS_mST_SW_bEUlT_E_NS1_11comp_targetILNS1_3genE0ELNS1_11target_archE4294967295ELNS1_3gpuE0ELNS1_3repE0EEENS1_30default_config_static_selectorELNS0_4arch9wavefront6targetE0EEEvSQ_
; %bb.0:
	.section	.rodata,"a",@progbits
	.p2align	6, 0x0
	.amdhsa_kernel _ZN7rocprim17ROCPRIM_400000_NS6detail17trampoline_kernelINS0_14default_configENS1_27upper_bound_config_selectorIjjEEZNS1_14transform_implILb0ES3_S5_N6thrust23THRUST_200600_302600_NS17counting_iteratorIjNS8_11use_defaultESA_SA_EENS8_6detail15normal_iteratorINS8_10device_ptrIjEEEEZNS1_13binary_searchIS3_S5_SG_SB_SG_NS1_21upper_bound_search_opENSC_16wrapped_functionINS0_4lessIvEEbEEEE10hipError_tPvRmT1_T2_T3_mmT4_T5_P12ihipStream_tbEUlRKjE_EESN_SR_SS_mST_SW_bEUlT_E_NS1_11comp_targetILNS1_3genE0ELNS1_11target_archE4294967295ELNS1_3gpuE0ELNS1_3repE0EEENS1_30default_config_static_selectorELNS0_4arch9wavefront6targetE0EEEvSQ_
		.amdhsa_group_segment_fixed_size 0
		.amdhsa_private_segment_fixed_size 0
		.amdhsa_kernarg_size 56
		.amdhsa_user_sgpr_count 6
		.amdhsa_user_sgpr_private_segment_buffer 1
		.amdhsa_user_sgpr_dispatch_ptr 0
		.amdhsa_user_sgpr_queue_ptr 0
		.amdhsa_user_sgpr_kernarg_segment_ptr 1
		.amdhsa_user_sgpr_dispatch_id 0
		.amdhsa_user_sgpr_flat_scratch_init 0
		.amdhsa_user_sgpr_private_segment_size 0
		.amdhsa_wavefront_size32 1
		.amdhsa_uses_dynamic_stack 0
		.amdhsa_system_sgpr_private_segment_wavefront_offset 0
		.amdhsa_system_sgpr_workgroup_id_x 1
		.amdhsa_system_sgpr_workgroup_id_y 0
		.amdhsa_system_sgpr_workgroup_id_z 0
		.amdhsa_system_sgpr_workgroup_info 0
		.amdhsa_system_vgpr_workitem_id 0
		.amdhsa_next_free_vgpr 1
		.amdhsa_next_free_sgpr 1
		.amdhsa_reserve_vcc 0
		.amdhsa_reserve_flat_scratch 0
		.amdhsa_float_round_mode_32 0
		.amdhsa_float_round_mode_16_64 0
		.amdhsa_float_denorm_mode_32 3
		.amdhsa_float_denorm_mode_16_64 3
		.amdhsa_dx10_clamp 1
		.amdhsa_ieee_mode 1
		.amdhsa_fp16_overflow 0
		.amdhsa_workgroup_processor_mode 1
		.amdhsa_memory_ordered 1
		.amdhsa_forward_progress 1
		.amdhsa_shared_vgpr_count 0
		.amdhsa_exception_fp_ieee_invalid_op 0
		.amdhsa_exception_fp_denorm_src 0
		.amdhsa_exception_fp_ieee_div_zero 0
		.amdhsa_exception_fp_ieee_overflow 0
		.amdhsa_exception_fp_ieee_underflow 0
		.amdhsa_exception_fp_ieee_inexact 0
		.amdhsa_exception_int_div_zero 0
	.end_amdhsa_kernel
	.section	.text._ZN7rocprim17ROCPRIM_400000_NS6detail17trampoline_kernelINS0_14default_configENS1_27upper_bound_config_selectorIjjEEZNS1_14transform_implILb0ES3_S5_N6thrust23THRUST_200600_302600_NS17counting_iteratorIjNS8_11use_defaultESA_SA_EENS8_6detail15normal_iteratorINS8_10device_ptrIjEEEEZNS1_13binary_searchIS3_S5_SG_SB_SG_NS1_21upper_bound_search_opENSC_16wrapped_functionINS0_4lessIvEEbEEEE10hipError_tPvRmT1_T2_T3_mmT4_T5_P12ihipStream_tbEUlRKjE_EESN_SR_SS_mST_SW_bEUlT_E_NS1_11comp_targetILNS1_3genE0ELNS1_11target_archE4294967295ELNS1_3gpuE0ELNS1_3repE0EEENS1_30default_config_static_selectorELNS0_4arch9wavefront6targetE0EEEvSQ_,"axG",@progbits,_ZN7rocprim17ROCPRIM_400000_NS6detail17trampoline_kernelINS0_14default_configENS1_27upper_bound_config_selectorIjjEEZNS1_14transform_implILb0ES3_S5_N6thrust23THRUST_200600_302600_NS17counting_iteratorIjNS8_11use_defaultESA_SA_EENS8_6detail15normal_iteratorINS8_10device_ptrIjEEEEZNS1_13binary_searchIS3_S5_SG_SB_SG_NS1_21upper_bound_search_opENSC_16wrapped_functionINS0_4lessIvEEbEEEE10hipError_tPvRmT1_T2_T3_mmT4_T5_P12ihipStream_tbEUlRKjE_EESN_SR_SS_mST_SW_bEUlT_E_NS1_11comp_targetILNS1_3genE0ELNS1_11target_archE4294967295ELNS1_3gpuE0ELNS1_3repE0EEENS1_30default_config_static_selectorELNS0_4arch9wavefront6targetE0EEEvSQ_,comdat
.Lfunc_end239:
	.size	_ZN7rocprim17ROCPRIM_400000_NS6detail17trampoline_kernelINS0_14default_configENS1_27upper_bound_config_selectorIjjEEZNS1_14transform_implILb0ES3_S5_N6thrust23THRUST_200600_302600_NS17counting_iteratorIjNS8_11use_defaultESA_SA_EENS8_6detail15normal_iteratorINS8_10device_ptrIjEEEEZNS1_13binary_searchIS3_S5_SG_SB_SG_NS1_21upper_bound_search_opENSC_16wrapped_functionINS0_4lessIvEEbEEEE10hipError_tPvRmT1_T2_T3_mmT4_T5_P12ihipStream_tbEUlRKjE_EESN_SR_SS_mST_SW_bEUlT_E_NS1_11comp_targetILNS1_3genE0ELNS1_11target_archE4294967295ELNS1_3gpuE0ELNS1_3repE0EEENS1_30default_config_static_selectorELNS0_4arch9wavefront6targetE0EEEvSQ_, .Lfunc_end239-_ZN7rocprim17ROCPRIM_400000_NS6detail17trampoline_kernelINS0_14default_configENS1_27upper_bound_config_selectorIjjEEZNS1_14transform_implILb0ES3_S5_N6thrust23THRUST_200600_302600_NS17counting_iteratorIjNS8_11use_defaultESA_SA_EENS8_6detail15normal_iteratorINS8_10device_ptrIjEEEEZNS1_13binary_searchIS3_S5_SG_SB_SG_NS1_21upper_bound_search_opENSC_16wrapped_functionINS0_4lessIvEEbEEEE10hipError_tPvRmT1_T2_T3_mmT4_T5_P12ihipStream_tbEUlRKjE_EESN_SR_SS_mST_SW_bEUlT_E_NS1_11comp_targetILNS1_3genE0ELNS1_11target_archE4294967295ELNS1_3gpuE0ELNS1_3repE0EEENS1_30default_config_static_selectorELNS0_4arch9wavefront6targetE0EEEvSQ_
                                        ; -- End function
	.set _ZN7rocprim17ROCPRIM_400000_NS6detail17trampoline_kernelINS0_14default_configENS1_27upper_bound_config_selectorIjjEEZNS1_14transform_implILb0ES3_S5_N6thrust23THRUST_200600_302600_NS17counting_iteratorIjNS8_11use_defaultESA_SA_EENS8_6detail15normal_iteratorINS8_10device_ptrIjEEEEZNS1_13binary_searchIS3_S5_SG_SB_SG_NS1_21upper_bound_search_opENSC_16wrapped_functionINS0_4lessIvEEbEEEE10hipError_tPvRmT1_T2_T3_mmT4_T5_P12ihipStream_tbEUlRKjE_EESN_SR_SS_mST_SW_bEUlT_E_NS1_11comp_targetILNS1_3genE0ELNS1_11target_archE4294967295ELNS1_3gpuE0ELNS1_3repE0EEENS1_30default_config_static_selectorELNS0_4arch9wavefront6targetE0EEEvSQ_.num_vgpr, 0
	.set _ZN7rocprim17ROCPRIM_400000_NS6detail17trampoline_kernelINS0_14default_configENS1_27upper_bound_config_selectorIjjEEZNS1_14transform_implILb0ES3_S5_N6thrust23THRUST_200600_302600_NS17counting_iteratorIjNS8_11use_defaultESA_SA_EENS8_6detail15normal_iteratorINS8_10device_ptrIjEEEEZNS1_13binary_searchIS3_S5_SG_SB_SG_NS1_21upper_bound_search_opENSC_16wrapped_functionINS0_4lessIvEEbEEEE10hipError_tPvRmT1_T2_T3_mmT4_T5_P12ihipStream_tbEUlRKjE_EESN_SR_SS_mST_SW_bEUlT_E_NS1_11comp_targetILNS1_3genE0ELNS1_11target_archE4294967295ELNS1_3gpuE0ELNS1_3repE0EEENS1_30default_config_static_selectorELNS0_4arch9wavefront6targetE0EEEvSQ_.num_agpr, 0
	.set _ZN7rocprim17ROCPRIM_400000_NS6detail17trampoline_kernelINS0_14default_configENS1_27upper_bound_config_selectorIjjEEZNS1_14transform_implILb0ES3_S5_N6thrust23THRUST_200600_302600_NS17counting_iteratorIjNS8_11use_defaultESA_SA_EENS8_6detail15normal_iteratorINS8_10device_ptrIjEEEEZNS1_13binary_searchIS3_S5_SG_SB_SG_NS1_21upper_bound_search_opENSC_16wrapped_functionINS0_4lessIvEEbEEEE10hipError_tPvRmT1_T2_T3_mmT4_T5_P12ihipStream_tbEUlRKjE_EESN_SR_SS_mST_SW_bEUlT_E_NS1_11comp_targetILNS1_3genE0ELNS1_11target_archE4294967295ELNS1_3gpuE0ELNS1_3repE0EEENS1_30default_config_static_selectorELNS0_4arch9wavefront6targetE0EEEvSQ_.numbered_sgpr, 0
	.set _ZN7rocprim17ROCPRIM_400000_NS6detail17trampoline_kernelINS0_14default_configENS1_27upper_bound_config_selectorIjjEEZNS1_14transform_implILb0ES3_S5_N6thrust23THRUST_200600_302600_NS17counting_iteratorIjNS8_11use_defaultESA_SA_EENS8_6detail15normal_iteratorINS8_10device_ptrIjEEEEZNS1_13binary_searchIS3_S5_SG_SB_SG_NS1_21upper_bound_search_opENSC_16wrapped_functionINS0_4lessIvEEbEEEE10hipError_tPvRmT1_T2_T3_mmT4_T5_P12ihipStream_tbEUlRKjE_EESN_SR_SS_mST_SW_bEUlT_E_NS1_11comp_targetILNS1_3genE0ELNS1_11target_archE4294967295ELNS1_3gpuE0ELNS1_3repE0EEENS1_30default_config_static_selectorELNS0_4arch9wavefront6targetE0EEEvSQ_.num_named_barrier, 0
	.set _ZN7rocprim17ROCPRIM_400000_NS6detail17trampoline_kernelINS0_14default_configENS1_27upper_bound_config_selectorIjjEEZNS1_14transform_implILb0ES3_S5_N6thrust23THRUST_200600_302600_NS17counting_iteratorIjNS8_11use_defaultESA_SA_EENS8_6detail15normal_iteratorINS8_10device_ptrIjEEEEZNS1_13binary_searchIS3_S5_SG_SB_SG_NS1_21upper_bound_search_opENSC_16wrapped_functionINS0_4lessIvEEbEEEE10hipError_tPvRmT1_T2_T3_mmT4_T5_P12ihipStream_tbEUlRKjE_EESN_SR_SS_mST_SW_bEUlT_E_NS1_11comp_targetILNS1_3genE0ELNS1_11target_archE4294967295ELNS1_3gpuE0ELNS1_3repE0EEENS1_30default_config_static_selectorELNS0_4arch9wavefront6targetE0EEEvSQ_.private_seg_size, 0
	.set _ZN7rocprim17ROCPRIM_400000_NS6detail17trampoline_kernelINS0_14default_configENS1_27upper_bound_config_selectorIjjEEZNS1_14transform_implILb0ES3_S5_N6thrust23THRUST_200600_302600_NS17counting_iteratorIjNS8_11use_defaultESA_SA_EENS8_6detail15normal_iteratorINS8_10device_ptrIjEEEEZNS1_13binary_searchIS3_S5_SG_SB_SG_NS1_21upper_bound_search_opENSC_16wrapped_functionINS0_4lessIvEEbEEEE10hipError_tPvRmT1_T2_T3_mmT4_T5_P12ihipStream_tbEUlRKjE_EESN_SR_SS_mST_SW_bEUlT_E_NS1_11comp_targetILNS1_3genE0ELNS1_11target_archE4294967295ELNS1_3gpuE0ELNS1_3repE0EEENS1_30default_config_static_selectorELNS0_4arch9wavefront6targetE0EEEvSQ_.uses_vcc, 0
	.set _ZN7rocprim17ROCPRIM_400000_NS6detail17trampoline_kernelINS0_14default_configENS1_27upper_bound_config_selectorIjjEEZNS1_14transform_implILb0ES3_S5_N6thrust23THRUST_200600_302600_NS17counting_iteratorIjNS8_11use_defaultESA_SA_EENS8_6detail15normal_iteratorINS8_10device_ptrIjEEEEZNS1_13binary_searchIS3_S5_SG_SB_SG_NS1_21upper_bound_search_opENSC_16wrapped_functionINS0_4lessIvEEbEEEE10hipError_tPvRmT1_T2_T3_mmT4_T5_P12ihipStream_tbEUlRKjE_EESN_SR_SS_mST_SW_bEUlT_E_NS1_11comp_targetILNS1_3genE0ELNS1_11target_archE4294967295ELNS1_3gpuE0ELNS1_3repE0EEENS1_30default_config_static_selectorELNS0_4arch9wavefront6targetE0EEEvSQ_.uses_flat_scratch, 0
	.set _ZN7rocprim17ROCPRIM_400000_NS6detail17trampoline_kernelINS0_14default_configENS1_27upper_bound_config_selectorIjjEEZNS1_14transform_implILb0ES3_S5_N6thrust23THRUST_200600_302600_NS17counting_iteratorIjNS8_11use_defaultESA_SA_EENS8_6detail15normal_iteratorINS8_10device_ptrIjEEEEZNS1_13binary_searchIS3_S5_SG_SB_SG_NS1_21upper_bound_search_opENSC_16wrapped_functionINS0_4lessIvEEbEEEE10hipError_tPvRmT1_T2_T3_mmT4_T5_P12ihipStream_tbEUlRKjE_EESN_SR_SS_mST_SW_bEUlT_E_NS1_11comp_targetILNS1_3genE0ELNS1_11target_archE4294967295ELNS1_3gpuE0ELNS1_3repE0EEENS1_30default_config_static_selectorELNS0_4arch9wavefront6targetE0EEEvSQ_.has_dyn_sized_stack, 0
	.set _ZN7rocprim17ROCPRIM_400000_NS6detail17trampoline_kernelINS0_14default_configENS1_27upper_bound_config_selectorIjjEEZNS1_14transform_implILb0ES3_S5_N6thrust23THRUST_200600_302600_NS17counting_iteratorIjNS8_11use_defaultESA_SA_EENS8_6detail15normal_iteratorINS8_10device_ptrIjEEEEZNS1_13binary_searchIS3_S5_SG_SB_SG_NS1_21upper_bound_search_opENSC_16wrapped_functionINS0_4lessIvEEbEEEE10hipError_tPvRmT1_T2_T3_mmT4_T5_P12ihipStream_tbEUlRKjE_EESN_SR_SS_mST_SW_bEUlT_E_NS1_11comp_targetILNS1_3genE0ELNS1_11target_archE4294967295ELNS1_3gpuE0ELNS1_3repE0EEENS1_30default_config_static_selectorELNS0_4arch9wavefront6targetE0EEEvSQ_.has_recursion, 0
	.set _ZN7rocprim17ROCPRIM_400000_NS6detail17trampoline_kernelINS0_14default_configENS1_27upper_bound_config_selectorIjjEEZNS1_14transform_implILb0ES3_S5_N6thrust23THRUST_200600_302600_NS17counting_iteratorIjNS8_11use_defaultESA_SA_EENS8_6detail15normal_iteratorINS8_10device_ptrIjEEEEZNS1_13binary_searchIS3_S5_SG_SB_SG_NS1_21upper_bound_search_opENSC_16wrapped_functionINS0_4lessIvEEbEEEE10hipError_tPvRmT1_T2_T3_mmT4_T5_P12ihipStream_tbEUlRKjE_EESN_SR_SS_mST_SW_bEUlT_E_NS1_11comp_targetILNS1_3genE0ELNS1_11target_archE4294967295ELNS1_3gpuE0ELNS1_3repE0EEENS1_30default_config_static_selectorELNS0_4arch9wavefront6targetE0EEEvSQ_.has_indirect_call, 0
	.section	.AMDGPU.csdata,"",@progbits
; Kernel info:
; codeLenInByte = 0
; TotalNumSgprs: 0
; NumVgprs: 0
; ScratchSize: 0
; MemoryBound: 0
; FloatMode: 240
; IeeeMode: 1
; LDSByteSize: 0 bytes/workgroup (compile time only)
; SGPRBlocks: 0
; VGPRBlocks: 0
; NumSGPRsForWavesPerEU: 1
; NumVGPRsForWavesPerEU: 1
; Occupancy: 16
; WaveLimiterHint : 0
; COMPUTE_PGM_RSRC2:SCRATCH_EN: 0
; COMPUTE_PGM_RSRC2:USER_SGPR: 6
; COMPUTE_PGM_RSRC2:TRAP_HANDLER: 0
; COMPUTE_PGM_RSRC2:TGID_X_EN: 1
; COMPUTE_PGM_RSRC2:TGID_Y_EN: 0
; COMPUTE_PGM_RSRC2:TGID_Z_EN: 0
; COMPUTE_PGM_RSRC2:TIDIG_COMP_CNT: 0
	.section	.text._ZN7rocprim17ROCPRIM_400000_NS6detail17trampoline_kernelINS0_14default_configENS1_27upper_bound_config_selectorIjjEEZNS1_14transform_implILb0ES3_S5_N6thrust23THRUST_200600_302600_NS17counting_iteratorIjNS8_11use_defaultESA_SA_EENS8_6detail15normal_iteratorINS8_10device_ptrIjEEEEZNS1_13binary_searchIS3_S5_SG_SB_SG_NS1_21upper_bound_search_opENSC_16wrapped_functionINS0_4lessIvEEbEEEE10hipError_tPvRmT1_T2_T3_mmT4_T5_P12ihipStream_tbEUlRKjE_EESN_SR_SS_mST_SW_bEUlT_E_NS1_11comp_targetILNS1_3genE5ELNS1_11target_archE942ELNS1_3gpuE9ELNS1_3repE0EEENS1_30default_config_static_selectorELNS0_4arch9wavefront6targetE0EEEvSQ_,"axG",@progbits,_ZN7rocprim17ROCPRIM_400000_NS6detail17trampoline_kernelINS0_14default_configENS1_27upper_bound_config_selectorIjjEEZNS1_14transform_implILb0ES3_S5_N6thrust23THRUST_200600_302600_NS17counting_iteratorIjNS8_11use_defaultESA_SA_EENS8_6detail15normal_iteratorINS8_10device_ptrIjEEEEZNS1_13binary_searchIS3_S5_SG_SB_SG_NS1_21upper_bound_search_opENSC_16wrapped_functionINS0_4lessIvEEbEEEE10hipError_tPvRmT1_T2_T3_mmT4_T5_P12ihipStream_tbEUlRKjE_EESN_SR_SS_mST_SW_bEUlT_E_NS1_11comp_targetILNS1_3genE5ELNS1_11target_archE942ELNS1_3gpuE9ELNS1_3repE0EEENS1_30default_config_static_selectorELNS0_4arch9wavefront6targetE0EEEvSQ_,comdat
	.protected	_ZN7rocprim17ROCPRIM_400000_NS6detail17trampoline_kernelINS0_14default_configENS1_27upper_bound_config_selectorIjjEEZNS1_14transform_implILb0ES3_S5_N6thrust23THRUST_200600_302600_NS17counting_iteratorIjNS8_11use_defaultESA_SA_EENS8_6detail15normal_iteratorINS8_10device_ptrIjEEEEZNS1_13binary_searchIS3_S5_SG_SB_SG_NS1_21upper_bound_search_opENSC_16wrapped_functionINS0_4lessIvEEbEEEE10hipError_tPvRmT1_T2_T3_mmT4_T5_P12ihipStream_tbEUlRKjE_EESN_SR_SS_mST_SW_bEUlT_E_NS1_11comp_targetILNS1_3genE5ELNS1_11target_archE942ELNS1_3gpuE9ELNS1_3repE0EEENS1_30default_config_static_selectorELNS0_4arch9wavefront6targetE0EEEvSQ_ ; -- Begin function _ZN7rocprim17ROCPRIM_400000_NS6detail17trampoline_kernelINS0_14default_configENS1_27upper_bound_config_selectorIjjEEZNS1_14transform_implILb0ES3_S5_N6thrust23THRUST_200600_302600_NS17counting_iteratorIjNS8_11use_defaultESA_SA_EENS8_6detail15normal_iteratorINS8_10device_ptrIjEEEEZNS1_13binary_searchIS3_S5_SG_SB_SG_NS1_21upper_bound_search_opENSC_16wrapped_functionINS0_4lessIvEEbEEEE10hipError_tPvRmT1_T2_T3_mmT4_T5_P12ihipStream_tbEUlRKjE_EESN_SR_SS_mST_SW_bEUlT_E_NS1_11comp_targetILNS1_3genE5ELNS1_11target_archE942ELNS1_3gpuE9ELNS1_3repE0EEENS1_30default_config_static_selectorELNS0_4arch9wavefront6targetE0EEEvSQ_
	.globl	_ZN7rocprim17ROCPRIM_400000_NS6detail17trampoline_kernelINS0_14default_configENS1_27upper_bound_config_selectorIjjEEZNS1_14transform_implILb0ES3_S5_N6thrust23THRUST_200600_302600_NS17counting_iteratorIjNS8_11use_defaultESA_SA_EENS8_6detail15normal_iteratorINS8_10device_ptrIjEEEEZNS1_13binary_searchIS3_S5_SG_SB_SG_NS1_21upper_bound_search_opENSC_16wrapped_functionINS0_4lessIvEEbEEEE10hipError_tPvRmT1_T2_T3_mmT4_T5_P12ihipStream_tbEUlRKjE_EESN_SR_SS_mST_SW_bEUlT_E_NS1_11comp_targetILNS1_3genE5ELNS1_11target_archE942ELNS1_3gpuE9ELNS1_3repE0EEENS1_30default_config_static_selectorELNS0_4arch9wavefront6targetE0EEEvSQ_
	.p2align	8
	.type	_ZN7rocprim17ROCPRIM_400000_NS6detail17trampoline_kernelINS0_14default_configENS1_27upper_bound_config_selectorIjjEEZNS1_14transform_implILb0ES3_S5_N6thrust23THRUST_200600_302600_NS17counting_iteratorIjNS8_11use_defaultESA_SA_EENS8_6detail15normal_iteratorINS8_10device_ptrIjEEEEZNS1_13binary_searchIS3_S5_SG_SB_SG_NS1_21upper_bound_search_opENSC_16wrapped_functionINS0_4lessIvEEbEEEE10hipError_tPvRmT1_T2_T3_mmT4_T5_P12ihipStream_tbEUlRKjE_EESN_SR_SS_mST_SW_bEUlT_E_NS1_11comp_targetILNS1_3genE5ELNS1_11target_archE942ELNS1_3gpuE9ELNS1_3repE0EEENS1_30default_config_static_selectorELNS0_4arch9wavefront6targetE0EEEvSQ_,@function
_ZN7rocprim17ROCPRIM_400000_NS6detail17trampoline_kernelINS0_14default_configENS1_27upper_bound_config_selectorIjjEEZNS1_14transform_implILb0ES3_S5_N6thrust23THRUST_200600_302600_NS17counting_iteratorIjNS8_11use_defaultESA_SA_EENS8_6detail15normal_iteratorINS8_10device_ptrIjEEEEZNS1_13binary_searchIS3_S5_SG_SB_SG_NS1_21upper_bound_search_opENSC_16wrapped_functionINS0_4lessIvEEbEEEE10hipError_tPvRmT1_T2_T3_mmT4_T5_P12ihipStream_tbEUlRKjE_EESN_SR_SS_mST_SW_bEUlT_E_NS1_11comp_targetILNS1_3genE5ELNS1_11target_archE942ELNS1_3gpuE9ELNS1_3repE0EEENS1_30default_config_static_selectorELNS0_4arch9wavefront6targetE0EEEvSQ_: ; @_ZN7rocprim17ROCPRIM_400000_NS6detail17trampoline_kernelINS0_14default_configENS1_27upper_bound_config_selectorIjjEEZNS1_14transform_implILb0ES3_S5_N6thrust23THRUST_200600_302600_NS17counting_iteratorIjNS8_11use_defaultESA_SA_EENS8_6detail15normal_iteratorINS8_10device_ptrIjEEEEZNS1_13binary_searchIS3_S5_SG_SB_SG_NS1_21upper_bound_search_opENSC_16wrapped_functionINS0_4lessIvEEbEEEE10hipError_tPvRmT1_T2_T3_mmT4_T5_P12ihipStream_tbEUlRKjE_EESN_SR_SS_mST_SW_bEUlT_E_NS1_11comp_targetILNS1_3genE5ELNS1_11target_archE942ELNS1_3gpuE9ELNS1_3repE0EEENS1_30default_config_static_selectorELNS0_4arch9wavefront6targetE0EEEvSQ_
; %bb.0:
	.section	.rodata,"a",@progbits
	.p2align	6, 0x0
	.amdhsa_kernel _ZN7rocprim17ROCPRIM_400000_NS6detail17trampoline_kernelINS0_14default_configENS1_27upper_bound_config_selectorIjjEEZNS1_14transform_implILb0ES3_S5_N6thrust23THRUST_200600_302600_NS17counting_iteratorIjNS8_11use_defaultESA_SA_EENS8_6detail15normal_iteratorINS8_10device_ptrIjEEEEZNS1_13binary_searchIS3_S5_SG_SB_SG_NS1_21upper_bound_search_opENSC_16wrapped_functionINS0_4lessIvEEbEEEE10hipError_tPvRmT1_T2_T3_mmT4_T5_P12ihipStream_tbEUlRKjE_EESN_SR_SS_mST_SW_bEUlT_E_NS1_11comp_targetILNS1_3genE5ELNS1_11target_archE942ELNS1_3gpuE9ELNS1_3repE0EEENS1_30default_config_static_selectorELNS0_4arch9wavefront6targetE0EEEvSQ_
		.amdhsa_group_segment_fixed_size 0
		.amdhsa_private_segment_fixed_size 0
		.amdhsa_kernarg_size 56
		.amdhsa_user_sgpr_count 6
		.amdhsa_user_sgpr_private_segment_buffer 1
		.amdhsa_user_sgpr_dispatch_ptr 0
		.amdhsa_user_sgpr_queue_ptr 0
		.amdhsa_user_sgpr_kernarg_segment_ptr 1
		.amdhsa_user_sgpr_dispatch_id 0
		.amdhsa_user_sgpr_flat_scratch_init 0
		.amdhsa_user_sgpr_private_segment_size 0
		.amdhsa_wavefront_size32 1
		.amdhsa_uses_dynamic_stack 0
		.amdhsa_system_sgpr_private_segment_wavefront_offset 0
		.amdhsa_system_sgpr_workgroup_id_x 1
		.amdhsa_system_sgpr_workgroup_id_y 0
		.amdhsa_system_sgpr_workgroup_id_z 0
		.amdhsa_system_sgpr_workgroup_info 0
		.amdhsa_system_vgpr_workitem_id 0
		.amdhsa_next_free_vgpr 1
		.amdhsa_next_free_sgpr 1
		.amdhsa_reserve_vcc 0
		.amdhsa_reserve_flat_scratch 0
		.amdhsa_float_round_mode_32 0
		.amdhsa_float_round_mode_16_64 0
		.amdhsa_float_denorm_mode_32 3
		.amdhsa_float_denorm_mode_16_64 3
		.amdhsa_dx10_clamp 1
		.amdhsa_ieee_mode 1
		.amdhsa_fp16_overflow 0
		.amdhsa_workgroup_processor_mode 1
		.amdhsa_memory_ordered 1
		.amdhsa_forward_progress 1
		.amdhsa_shared_vgpr_count 0
		.amdhsa_exception_fp_ieee_invalid_op 0
		.amdhsa_exception_fp_denorm_src 0
		.amdhsa_exception_fp_ieee_div_zero 0
		.amdhsa_exception_fp_ieee_overflow 0
		.amdhsa_exception_fp_ieee_underflow 0
		.amdhsa_exception_fp_ieee_inexact 0
		.amdhsa_exception_int_div_zero 0
	.end_amdhsa_kernel
	.section	.text._ZN7rocprim17ROCPRIM_400000_NS6detail17trampoline_kernelINS0_14default_configENS1_27upper_bound_config_selectorIjjEEZNS1_14transform_implILb0ES3_S5_N6thrust23THRUST_200600_302600_NS17counting_iteratorIjNS8_11use_defaultESA_SA_EENS8_6detail15normal_iteratorINS8_10device_ptrIjEEEEZNS1_13binary_searchIS3_S5_SG_SB_SG_NS1_21upper_bound_search_opENSC_16wrapped_functionINS0_4lessIvEEbEEEE10hipError_tPvRmT1_T2_T3_mmT4_T5_P12ihipStream_tbEUlRKjE_EESN_SR_SS_mST_SW_bEUlT_E_NS1_11comp_targetILNS1_3genE5ELNS1_11target_archE942ELNS1_3gpuE9ELNS1_3repE0EEENS1_30default_config_static_selectorELNS0_4arch9wavefront6targetE0EEEvSQ_,"axG",@progbits,_ZN7rocprim17ROCPRIM_400000_NS6detail17trampoline_kernelINS0_14default_configENS1_27upper_bound_config_selectorIjjEEZNS1_14transform_implILb0ES3_S5_N6thrust23THRUST_200600_302600_NS17counting_iteratorIjNS8_11use_defaultESA_SA_EENS8_6detail15normal_iteratorINS8_10device_ptrIjEEEEZNS1_13binary_searchIS3_S5_SG_SB_SG_NS1_21upper_bound_search_opENSC_16wrapped_functionINS0_4lessIvEEbEEEE10hipError_tPvRmT1_T2_T3_mmT4_T5_P12ihipStream_tbEUlRKjE_EESN_SR_SS_mST_SW_bEUlT_E_NS1_11comp_targetILNS1_3genE5ELNS1_11target_archE942ELNS1_3gpuE9ELNS1_3repE0EEENS1_30default_config_static_selectorELNS0_4arch9wavefront6targetE0EEEvSQ_,comdat
.Lfunc_end240:
	.size	_ZN7rocprim17ROCPRIM_400000_NS6detail17trampoline_kernelINS0_14default_configENS1_27upper_bound_config_selectorIjjEEZNS1_14transform_implILb0ES3_S5_N6thrust23THRUST_200600_302600_NS17counting_iteratorIjNS8_11use_defaultESA_SA_EENS8_6detail15normal_iteratorINS8_10device_ptrIjEEEEZNS1_13binary_searchIS3_S5_SG_SB_SG_NS1_21upper_bound_search_opENSC_16wrapped_functionINS0_4lessIvEEbEEEE10hipError_tPvRmT1_T2_T3_mmT4_T5_P12ihipStream_tbEUlRKjE_EESN_SR_SS_mST_SW_bEUlT_E_NS1_11comp_targetILNS1_3genE5ELNS1_11target_archE942ELNS1_3gpuE9ELNS1_3repE0EEENS1_30default_config_static_selectorELNS0_4arch9wavefront6targetE0EEEvSQ_, .Lfunc_end240-_ZN7rocprim17ROCPRIM_400000_NS6detail17trampoline_kernelINS0_14default_configENS1_27upper_bound_config_selectorIjjEEZNS1_14transform_implILb0ES3_S5_N6thrust23THRUST_200600_302600_NS17counting_iteratorIjNS8_11use_defaultESA_SA_EENS8_6detail15normal_iteratorINS8_10device_ptrIjEEEEZNS1_13binary_searchIS3_S5_SG_SB_SG_NS1_21upper_bound_search_opENSC_16wrapped_functionINS0_4lessIvEEbEEEE10hipError_tPvRmT1_T2_T3_mmT4_T5_P12ihipStream_tbEUlRKjE_EESN_SR_SS_mST_SW_bEUlT_E_NS1_11comp_targetILNS1_3genE5ELNS1_11target_archE942ELNS1_3gpuE9ELNS1_3repE0EEENS1_30default_config_static_selectorELNS0_4arch9wavefront6targetE0EEEvSQ_
                                        ; -- End function
	.set _ZN7rocprim17ROCPRIM_400000_NS6detail17trampoline_kernelINS0_14default_configENS1_27upper_bound_config_selectorIjjEEZNS1_14transform_implILb0ES3_S5_N6thrust23THRUST_200600_302600_NS17counting_iteratorIjNS8_11use_defaultESA_SA_EENS8_6detail15normal_iteratorINS8_10device_ptrIjEEEEZNS1_13binary_searchIS3_S5_SG_SB_SG_NS1_21upper_bound_search_opENSC_16wrapped_functionINS0_4lessIvEEbEEEE10hipError_tPvRmT1_T2_T3_mmT4_T5_P12ihipStream_tbEUlRKjE_EESN_SR_SS_mST_SW_bEUlT_E_NS1_11comp_targetILNS1_3genE5ELNS1_11target_archE942ELNS1_3gpuE9ELNS1_3repE0EEENS1_30default_config_static_selectorELNS0_4arch9wavefront6targetE0EEEvSQ_.num_vgpr, 0
	.set _ZN7rocprim17ROCPRIM_400000_NS6detail17trampoline_kernelINS0_14default_configENS1_27upper_bound_config_selectorIjjEEZNS1_14transform_implILb0ES3_S5_N6thrust23THRUST_200600_302600_NS17counting_iteratorIjNS8_11use_defaultESA_SA_EENS8_6detail15normal_iteratorINS8_10device_ptrIjEEEEZNS1_13binary_searchIS3_S5_SG_SB_SG_NS1_21upper_bound_search_opENSC_16wrapped_functionINS0_4lessIvEEbEEEE10hipError_tPvRmT1_T2_T3_mmT4_T5_P12ihipStream_tbEUlRKjE_EESN_SR_SS_mST_SW_bEUlT_E_NS1_11comp_targetILNS1_3genE5ELNS1_11target_archE942ELNS1_3gpuE9ELNS1_3repE0EEENS1_30default_config_static_selectorELNS0_4arch9wavefront6targetE0EEEvSQ_.num_agpr, 0
	.set _ZN7rocprim17ROCPRIM_400000_NS6detail17trampoline_kernelINS0_14default_configENS1_27upper_bound_config_selectorIjjEEZNS1_14transform_implILb0ES3_S5_N6thrust23THRUST_200600_302600_NS17counting_iteratorIjNS8_11use_defaultESA_SA_EENS8_6detail15normal_iteratorINS8_10device_ptrIjEEEEZNS1_13binary_searchIS3_S5_SG_SB_SG_NS1_21upper_bound_search_opENSC_16wrapped_functionINS0_4lessIvEEbEEEE10hipError_tPvRmT1_T2_T3_mmT4_T5_P12ihipStream_tbEUlRKjE_EESN_SR_SS_mST_SW_bEUlT_E_NS1_11comp_targetILNS1_3genE5ELNS1_11target_archE942ELNS1_3gpuE9ELNS1_3repE0EEENS1_30default_config_static_selectorELNS0_4arch9wavefront6targetE0EEEvSQ_.numbered_sgpr, 0
	.set _ZN7rocprim17ROCPRIM_400000_NS6detail17trampoline_kernelINS0_14default_configENS1_27upper_bound_config_selectorIjjEEZNS1_14transform_implILb0ES3_S5_N6thrust23THRUST_200600_302600_NS17counting_iteratorIjNS8_11use_defaultESA_SA_EENS8_6detail15normal_iteratorINS8_10device_ptrIjEEEEZNS1_13binary_searchIS3_S5_SG_SB_SG_NS1_21upper_bound_search_opENSC_16wrapped_functionINS0_4lessIvEEbEEEE10hipError_tPvRmT1_T2_T3_mmT4_T5_P12ihipStream_tbEUlRKjE_EESN_SR_SS_mST_SW_bEUlT_E_NS1_11comp_targetILNS1_3genE5ELNS1_11target_archE942ELNS1_3gpuE9ELNS1_3repE0EEENS1_30default_config_static_selectorELNS0_4arch9wavefront6targetE0EEEvSQ_.num_named_barrier, 0
	.set _ZN7rocprim17ROCPRIM_400000_NS6detail17trampoline_kernelINS0_14default_configENS1_27upper_bound_config_selectorIjjEEZNS1_14transform_implILb0ES3_S5_N6thrust23THRUST_200600_302600_NS17counting_iteratorIjNS8_11use_defaultESA_SA_EENS8_6detail15normal_iteratorINS8_10device_ptrIjEEEEZNS1_13binary_searchIS3_S5_SG_SB_SG_NS1_21upper_bound_search_opENSC_16wrapped_functionINS0_4lessIvEEbEEEE10hipError_tPvRmT1_T2_T3_mmT4_T5_P12ihipStream_tbEUlRKjE_EESN_SR_SS_mST_SW_bEUlT_E_NS1_11comp_targetILNS1_3genE5ELNS1_11target_archE942ELNS1_3gpuE9ELNS1_3repE0EEENS1_30default_config_static_selectorELNS0_4arch9wavefront6targetE0EEEvSQ_.private_seg_size, 0
	.set _ZN7rocprim17ROCPRIM_400000_NS6detail17trampoline_kernelINS0_14default_configENS1_27upper_bound_config_selectorIjjEEZNS1_14transform_implILb0ES3_S5_N6thrust23THRUST_200600_302600_NS17counting_iteratorIjNS8_11use_defaultESA_SA_EENS8_6detail15normal_iteratorINS8_10device_ptrIjEEEEZNS1_13binary_searchIS3_S5_SG_SB_SG_NS1_21upper_bound_search_opENSC_16wrapped_functionINS0_4lessIvEEbEEEE10hipError_tPvRmT1_T2_T3_mmT4_T5_P12ihipStream_tbEUlRKjE_EESN_SR_SS_mST_SW_bEUlT_E_NS1_11comp_targetILNS1_3genE5ELNS1_11target_archE942ELNS1_3gpuE9ELNS1_3repE0EEENS1_30default_config_static_selectorELNS0_4arch9wavefront6targetE0EEEvSQ_.uses_vcc, 0
	.set _ZN7rocprim17ROCPRIM_400000_NS6detail17trampoline_kernelINS0_14default_configENS1_27upper_bound_config_selectorIjjEEZNS1_14transform_implILb0ES3_S5_N6thrust23THRUST_200600_302600_NS17counting_iteratorIjNS8_11use_defaultESA_SA_EENS8_6detail15normal_iteratorINS8_10device_ptrIjEEEEZNS1_13binary_searchIS3_S5_SG_SB_SG_NS1_21upper_bound_search_opENSC_16wrapped_functionINS0_4lessIvEEbEEEE10hipError_tPvRmT1_T2_T3_mmT4_T5_P12ihipStream_tbEUlRKjE_EESN_SR_SS_mST_SW_bEUlT_E_NS1_11comp_targetILNS1_3genE5ELNS1_11target_archE942ELNS1_3gpuE9ELNS1_3repE0EEENS1_30default_config_static_selectorELNS0_4arch9wavefront6targetE0EEEvSQ_.uses_flat_scratch, 0
	.set _ZN7rocprim17ROCPRIM_400000_NS6detail17trampoline_kernelINS0_14default_configENS1_27upper_bound_config_selectorIjjEEZNS1_14transform_implILb0ES3_S5_N6thrust23THRUST_200600_302600_NS17counting_iteratorIjNS8_11use_defaultESA_SA_EENS8_6detail15normal_iteratorINS8_10device_ptrIjEEEEZNS1_13binary_searchIS3_S5_SG_SB_SG_NS1_21upper_bound_search_opENSC_16wrapped_functionINS0_4lessIvEEbEEEE10hipError_tPvRmT1_T2_T3_mmT4_T5_P12ihipStream_tbEUlRKjE_EESN_SR_SS_mST_SW_bEUlT_E_NS1_11comp_targetILNS1_3genE5ELNS1_11target_archE942ELNS1_3gpuE9ELNS1_3repE0EEENS1_30default_config_static_selectorELNS0_4arch9wavefront6targetE0EEEvSQ_.has_dyn_sized_stack, 0
	.set _ZN7rocprim17ROCPRIM_400000_NS6detail17trampoline_kernelINS0_14default_configENS1_27upper_bound_config_selectorIjjEEZNS1_14transform_implILb0ES3_S5_N6thrust23THRUST_200600_302600_NS17counting_iteratorIjNS8_11use_defaultESA_SA_EENS8_6detail15normal_iteratorINS8_10device_ptrIjEEEEZNS1_13binary_searchIS3_S5_SG_SB_SG_NS1_21upper_bound_search_opENSC_16wrapped_functionINS0_4lessIvEEbEEEE10hipError_tPvRmT1_T2_T3_mmT4_T5_P12ihipStream_tbEUlRKjE_EESN_SR_SS_mST_SW_bEUlT_E_NS1_11comp_targetILNS1_3genE5ELNS1_11target_archE942ELNS1_3gpuE9ELNS1_3repE0EEENS1_30default_config_static_selectorELNS0_4arch9wavefront6targetE0EEEvSQ_.has_recursion, 0
	.set _ZN7rocprim17ROCPRIM_400000_NS6detail17trampoline_kernelINS0_14default_configENS1_27upper_bound_config_selectorIjjEEZNS1_14transform_implILb0ES3_S5_N6thrust23THRUST_200600_302600_NS17counting_iteratorIjNS8_11use_defaultESA_SA_EENS8_6detail15normal_iteratorINS8_10device_ptrIjEEEEZNS1_13binary_searchIS3_S5_SG_SB_SG_NS1_21upper_bound_search_opENSC_16wrapped_functionINS0_4lessIvEEbEEEE10hipError_tPvRmT1_T2_T3_mmT4_T5_P12ihipStream_tbEUlRKjE_EESN_SR_SS_mST_SW_bEUlT_E_NS1_11comp_targetILNS1_3genE5ELNS1_11target_archE942ELNS1_3gpuE9ELNS1_3repE0EEENS1_30default_config_static_selectorELNS0_4arch9wavefront6targetE0EEEvSQ_.has_indirect_call, 0
	.section	.AMDGPU.csdata,"",@progbits
; Kernel info:
; codeLenInByte = 0
; TotalNumSgprs: 0
; NumVgprs: 0
; ScratchSize: 0
; MemoryBound: 0
; FloatMode: 240
; IeeeMode: 1
; LDSByteSize: 0 bytes/workgroup (compile time only)
; SGPRBlocks: 0
; VGPRBlocks: 0
; NumSGPRsForWavesPerEU: 1
; NumVGPRsForWavesPerEU: 1
; Occupancy: 16
; WaveLimiterHint : 0
; COMPUTE_PGM_RSRC2:SCRATCH_EN: 0
; COMPUTE_PGM_RSRC2:USER_SGPR: 6
; COMPUTE_PGM_RSRC2:TRAP_HANDLER: 0
; COMPUTE_PGM_RSRC2:TGID_X_EN: 1
; COMPUTE_PGM_RSRC2:TGID_Y_EN: 0
; COMPUTE_PGM_RSRC2:TGID_Z_EN: 0
; COMPUTE_PGM_RSRC2:TIDIG_COMP_CNT: 0
	.section	.text._ZN7rocprim17ROCPRIM_400000_NS6detail17trampoline_kernelINS0_14default_configENS1_27upper_bound_config_selectorIjjEEZNS1_14transform_implILb0ES3_S5_N6thrust23THRUST_200600_302600_NS17counting_iteratorIjNS8_11use_defaultESA_SA_EENS8_6detail15normal_iteratorINS8_10device_ptrIjEEEEZNS1_13binary_searchIS3_S5_SG_SB_SG_NS1_21upper_bound_search_opENSC_16wrapped_functionINS0_4lessIvEEbEEEE10hipError_tPvRmT1_T2_T3_mmT4_T5_P12ihipStream_tbEUlRKjE_EESN_SR_SS_mST_SW_bEUlT_E_NS1_11comp_targetILNS1_3genE4ELNS1_11target_archE910ELNS1_3gpuE8ELNS1_3repE0EEENS1_30default_config_static_selectorELNS0_4arch9wavefront6targetE0EEEvSQ_,"axG",@progbits,_ZN7rocprim17ROCPRIM_400000_NS6detail17trampoline_kernelINS0_14default_configENS1_27upper_bound_config_selectorIjjEEZNS1_14transform_implILb0ES3_S5_N6thrust23THRUST_200600_302600_NS17counting_iteratorIjNS8_11use_defaultESA_SA_EENS8_6detail15normal_iteratorINS8_10device_ptrIjEEEEZNS1_13binary_searchIS3_S5_SG_SB_SG_NS1_21upper_bound_search_opENSC_16wrapped_functionINS0_4lessIvEEbEEEE10hipError_tPvRmT1_T2_T3_mmT4_T5_P12ihipStream_tbEUlRKjE_EESN_SR_SS_mST_SW_bEUlT_E_NS1_11comp_targetILNS1_3genE4ELNS1_11target_archE910ELNS1_3gpuE8ELNS1_3repE0EEENS1_30default_config_static_selectorELNS0_4arch9wavefront6targetE0EEEvSQ_,comdat
	.protected	_ZN7rocprim17ROCPRIM_400000_NS6detail17trampoline_kernelINS0_14default_configENS1_27upper_bound_config_selectorIjjEEZNS1_14transform_implILb0ES3_S5_N6thrust23THRUST_200600_302600_NS17counting_iteratorIjNS8_11use_defaultESA_SA_EENS8_6detail15normal_iteratorINS8_10device_ptrIjEEEEZNS1_13binary_searchIS3_S5_SG_SB_SG_NS1_21upper_bound_search_opENSC_16wrapped_functionINS0_4lessIvEEbEEEE10hipError_tPvRmT1_T2_T3_mmT4_T5_P12ihipStream_tbEUlRKjE_EESN_SR_SS_mST_SW_bEUlT_E_NS1_11comp_targetILNS1_3genE4ELNS1_11target_archE910ELNS1_3gpuE8ELNS1_3repE0EEENS1_30default_config_static_selectorELNS0_4arch9wavefront6targetE0EEEvSQ_ ; -- Begin function _ZN7rocprim17ROCPRIM_400000_NS6detail17trampoline_kernelINS0_14default_configENS1_27upper_bound_config_selectorIjjEEZNS1_14transform_implILb0ES3_S5_N6thrust23THRUST_200600_302600_NS17counting_iteratorIjNS8_11use_defaultESA_SA_EENS8_6detail15normal_iteratorINS8_10device_ptrIjEEEEZNS1_13binary_searchIS3_S5_SG_SB_SG_NS1_21upper_bound_search_opENSC_16wrapped_functionINS0_4lessIvEEbEEEE10hipError_tPvRmT1_T2_T3_mmT4_T5_P12ihipStream_tbEUlRKjE_EESN_SR_SS_mST_SW_bEUlT_E_NS1_11comp_targetILNS1_3genE4ELNS1_11target_archE910ELNS1_3gpuE8ELNS1_3repE0EEENS1_30default_config_static_selectorELNS0_4arch9wavefront6targetE0EEEvSQ_
	.globl	_ZN7rocprim17ROCPRIM_400000_NS6detail17trampoline_kernelINS0_14default_configENS1_27upper_bound_config_selectorIjjEEZNS1_14transform_implILb0ES3_S5_N6thrust23THRUST_200600_302600_NS17counting_iteratorIjNS8_11use_defaultESA_SA_EENS8_6detail15normal_iteratorINS8_10device_ptrIjEEEEZNS1_13binary_searchIS3_S5_SG_SB_SG_NS1_21upper_bound_search_opENSC_16wrapped_functionINS0_4lessIvEEbEEEE10hipError_tPvRmT1_T2_T3_mmT4_T5_P12ihipStream_tbEUlRKjE_EESN_SR_SS_mST_SW_bEUlT_E_NS1_11comp_targetILNS1_3genE4ELNS1_11target_archE910ELNS1_3gpuE8ELNS1_3repE0EEENS1_30default_config_static_selectorELNS0_4arch9wavefront6targetE0EEEvSQ_
	.p2align	8
	.type	_ZN7rocprim17ROCPRIM_400000_NS6detail17trampoline_kernelINS0_14default_configENS1_27upper_bound_config_selectorIjjEEZNS1_14transform_implILb0ES3_S5_N6thrust23THRUST_200600_302600_NS17counting_iteratorIjNS8_11use_defaultESA_SA_EENS8_6detail15normal_iteratorINS8_10device_ptrIjEEEEZNS1_13binary_searchIS3_S5_SG_SB_SG_NS1_21upper_bound_search_opENSC_16wrapped_functionINS0_4lessIvEEbEEEE10hipError_tPvRmT1_T2_T3_mmT4_T5_P12ihipStream_tbEUlRKjE_EESN_SR_SS_mST_SW_bEUlT_E_NS1_11comp_targetILNS1_3genE4ELNS1_11target_archE910ELNS1_3gpuE8ELNS1_3repE0EEENS1_30default_config_static_selectorELNS0_4arch9wavefront6targetE0EEEvSQ_,@function
_ZN7rocprim17ROCPRIM_400000_NS6detail17trampoline_kernelINS0_14default_configENS1_27upper_bound_config_selectorIjjEEZNS1_14transform_implILb0ES3_S5_N6thrust23THRUST_200600_302600_NS17counting_iteratorIjNS8_11use_defaultESA_SA_EENS8_6detail15normal_iteratorINS8_10device_ptrIjEEEEZNS1_13binary_searchIS3_S5_SG_SB_SG_NS1_21upper_bound_search_opENSC_16wrapped_functionINS0_4lessIvEEbEEEE10hipError_tPvRmT1_T2_T3_mmT4_T5_P12ihipStream_tbEUlRKjE_EESN_SR_SS_mST_SW_bEUlT_E_NS1_11comp_targetILNS1_3genE4ELNS1_11target_archE910ELNS1_3gpuE8ELNS1_3repE0EEENS1_30default_config_static_selectorELNS0_4arch9wavefront6targetE0EEEvSQ_: ; @_ZN7rocprim17ROCPRIM_400000_NS6detail17trampoline_kernelINS0_14default_configENS1_27upper_bound_config_selectorIjjEEZNS1_14transform_implILb0ES3_S5_N6thrust23THRUST_200600_302600_NS17counting_iteratorIjNS8_11use_defaultESA_SA_EENS8_6detail15normal_iteratorINS8_10device_ptrIjEEEEZNS1_13binary_searchIS3_S5_SG_SB_SG_NS1_21upper_bound_search_opENSC_16wrapped_functionINS0_4lessIvEEbEEEE10hipError_tPvRmT1_T2_T3_mmT4_T5_P12ihipStream_tbEUlRKjE_EESN_SR_SS_mST_SW_bEUlT_E_NS1_11comp_targetILNS1_3genE4ELNS1_11target_archE910ELNS1_3gpuE8ELNS1_3repE0EEENS1_30default_config_static_selectorELNS0_4arch9wavefront6targetE0EEEvSQ_
; %bb.0:
	.section	.rodata,"a",@progbits
	.p2align	6, 0x0
	.amdhsa_kernel _ZN7rocprim17ROCPRIM_400000_NS6detail17trampoline_kernelINS0_14default_configENS1_27upper_bound_config_selectorIjjEEZNS1_14transform_implILb0ES3_S5_N6thrust23THRUST_200600_302600_NS17counting_iteratorIjNS8_11use_defaultESA_SA_EENS8_6detail15normal_iteratorINS8_10device_ptrIjEEEEZNS1_13binary_searchIS3_S5_SG_SB_SG_NS1_21upper_bound_search_opENSC_16wrapped_functionINS0_4lessIvEEbEEEE10hipError_tPvRmT1_T2_T3_mmT4_T5_P12ihipStream_tbEUlRKjE_EESN_SR_SS_mST_SW_bEUlT_E_NS1_11comp_targetILNS1_3genE4ELNS1_11target_archE910ELNS1_3gpuE8ELNS1_3repE0EEENS1_30default_config_static_selectorELNS0_4arch9wavefront6targetE0EEEvSQ_
		.amdhsa_group_segment_fixed_size 0
		.amdhsa_private_segment_fixed_size 0
		.amdhsa_kernarg_size 56
		.amdhsa_user_sgpr_count 6
		.amdhsa_user_sgpr_private_segment_buffer 1
		.amdhsa_user_sgpr_dispatch_ptr 0
		.amdhsa_user_sgpr_queue_ptr 0
		.amdhsa_user_sgpr_kernarg_segment_ptr 1
		.amdhsa_user_sgpr_dispatch_id 0
		.amdhsa_user_sgpr_flat_scratch_init 0
		.amdhsa_user_sgpr_private_segment_size 0
		.amdhsa_wavefront_size32 1
		.amdhsa_uses_dynamic_stack 0
		.amdhsa_system_sgpr_private_segment_wavefront_offset 0
		.amdhsa_system_sgpr_workgroup_id_x 1
		.amdhsa_system_sgpr_workgroup_id_y 0
		.amdhsa_system_sgpr_workgroup_id_z 0
		.amdhsa_system_sgpr_workgroup_info 0
		.amdhsa_system_vgpr_workitem_id 0
		.amdhsa_next_free_vgpr 1
		.amdhsa_next_free_sgpr 1
		.amdhsa_reserve_vcc 0
		.amdhsa_reserve_flat_scratch 0
		.amdhsa_float_round_mode_32 0
		.amdhsa_float_round_mode_16_64 0
		.amdhsa_float_denorm_mode_32 3
		.amdhsa_float_denorm_mode_16_64 3
		.amdhsa_dx10_clamp 1
		.amdhsa_ieee_mode 1
		.amdhsa_fp16_overflow 0
		.amdhsa_workgroup_processor_mode 1
		.amdhsa_memory_ordered 1
		.amdhsa_forward_progress 1
		.amdhsa_shared_vgpr_count 0
		.amdhsa_exception_fp_ieee_invalid_op 0
		.amdhsa_exception_fp_denorm_src 0
		.amdhsa_exception_fp_ieee_div_zero 0
		.amdhsa_exception_fp_ieee_overflow 0
		.amdhsa_exception_fp_ieee_underflow 0
		.amdhsa_exception_fp_ieee_inexact 0
		.amdhsa_exception_int_div_zero 0
	.end_amdhsa_kernel
	.section	.text._ZN7rocprim17ROCPRIM_400000_NS6detail17trampoline_kernelINS0_14default_configENS1_27upper_bound_config_selectorIjjEEZNS1_14transform_implILb0ES3_S5_N6thrust23THRUST_200600_302600_NS17counting_iteratorIjNS8_11use_defaultESA_SA_EENS8_6detail15normal_iteratorINS8_10device_ptrIjEEEEZNS1_13binary_searchIS3_S5_SG_SB_SG_NS1_21upper_bound_search_opENSC_16wrapped_functionINS0_4lessIvEEbEEEE10hipError_tPvRmT1_T2_T3_mmT4_T5_P12ihipStream_tbEUlRKjE_EESN_SR_SS_mST_SW_bEUlT_E_NS1_11comp_targetILNS1_3genE4ELNS1_11target_archE910ELNS1_3gpuE8ELNS1_3repE0EEENS1_30default_config_static_selectorELNS0_4arch9wavefront6targetE0EEEvSQ_,"axG",@progbits,_ZN7rocprim17ROCPRIM_400000_NS6detail17trampoline_kernelINS0_14default_configENS1_27upper_bound_config_selectorIjjEEZNS1_14transform_implILb0ES3_S5_N6thrust23THRUST_200600_302600_NS17counting_iteratorIjNS8_11use_defaultESA_SA_EENS8_6detail15normal_iteratorINS8_10device_ptrIjEEEEZNS1_13binary_searchIS3_S5_SG_SB_SG_NS1_21upper_bound_search_opENSC_16wrapped_functionINS0_4lessIvEEbEEEE10hipError_tPvRmT1_T2_T3_mmT4_T5_P12ihipStream_tbEUlRKjE_EESN_SR_SS_mST_SW_bEUlT_E_NS1_11comp_targetILNS1_3genE4ELNS1_11target_archE910ELNS1_3gpuE8ELNS1_3repE0EEENS1_30default_config_static_selectorELNS0_4arch9wavefront6targetE0EEEvSQ_,comdat
.Lfunc_end241:
	.size	_ZN7rocprim17ROCPRIM_400000_NS6detail17trampoline_kernelINS0_14default_configENS1_27upper_bound_config_selectorIjjEEZNS1_14transform_implILb0ES3_S5_N6thrust23THRUST_200600_302600_NS17counting_iteratorIjNS8_11use_defaultESA_SA_EENS8_6detail15normal_iteratorINS8_10device_ptrIjEEEEZNS1_13binary_searchIS3_S5_SG_SB_SG_NS1_21upper_bound_search_opENSC_16wrapped_functionINS0_4lessIvEEbEEEE10hipError_tPvRmT1_T2_T3_mmT4_T5_P12ihipStream_tbEUlRKjE_EESN_SR_SS_mST_SW_bEUlT_E_NS1_11comp_targetILNS1_3genE4ELNS1_11target_archE910ELNS1_3gpuE8ELNS1_3repE0EEENS1_30default_config_static_selectorELNS0_4arch9wavefront6targetE0EEEvSQ_, .Lfunc_end241-_ZN7rocprim17ROCPRIM_400000_NS6detail17trampoline_kernelINS0_14default_configENS1_27upper_bound_config_selectorIjjEEZNS1_14transform_implILb0ES3_S5_N6thrust23THRUST_200600_302600_NS17counting_iteratorIjNS8_11use_defaultESA_SA_EENS8_6detail15normal_iteratorINS8_10device_ptrIjEEEEZNS1_13binary_searchIS3_S5_SG_SB_SG_NS1_21upper_bound_search_opENSC_16wrapped_functionINS0_4lessIvEEbEEEE10hipError_tPvRmT1_T2_T3_mmT4_T5_P12ihipStream_tbEUlRKjE_EESN_SR_SS_mST_SW_bEUlT_E_NS1_11comp_targetILNS1_3genE4ELNS1_11target_archE910ELNS1_3gpuE8ELNS1_3repE0EEENS1_30default_config_static_selectorELNS0_4arch9wavefront6targetE0EEEvSQ_
                                        ; -- End function
	.set _ZN7rocprim17ROCPRIM_400000_NS6detail17trampoline_kernelINS0_14default_configENS1_27upper_bound_config_selectorIjjEEZNS1_14transform_implILb0ES3_S5_N6thrust23THRUST_200600_302600_NS17counting_iteratorIjNS8_11use_defaultESA_SA_EENS8_6detail15normal_iteratorINS8_10device_ptrIjEEEEZNS1_13binary_searchIS3_S5_SG_SB_SG_NS1_21upper_bound_search_opENSC_16wrapped_functionINS0_4lessIvEEbEEEE10hipError_tPvRmT1_T2_T3_mmT4_T5_P12ihipStream_tbEUlRKjE_EESN_SR_SS_mST_SW_bEUlT_E_NS1_11comp_targetILNS1_3genE4ELNS1_11target_archE910ELNS1_3gpuE8ELNS1_3repE0EEENS1_30default_config_static_selectorELNS0_4arch9wavefront6targetE0EEEvSQ_.num_vgpr, 0
	.set _ZN7rocprim17ROCPRIM_400000_NS6detail17trampoline_kernelINS0_14default_configENS1_27upper_bound_config_selectorIjjEEZNS1_14transform_implILb0ES3_S5_N6thrust23THRUST_200600_302600_NS17counting_iteratorIjNS8_11use_defaultESA_SA_EENS8_6detail15normal_iteratorINS8_10device_ptrIjEEEEZNS1_13binary_searchIS3_S5_SG_SB_SG_NS1_21upper_bound_search_opENSC_16wrapped_functionINS0_4lessIvEEbEEEE10hipError_tPvRmT1_T2_T3_mmT4_T5_P12ihipStream_tbEUlRKjE_EESN_SR_SS_mST_SW_bEUlT_E_NS1_11comp_targetILNS1_3genE4ELNS1_11target_archE910ELNS1_3gpuE8ELNS1_3repE0EEENS1_30default_config_static_selectorELNS0_4arch9wavefront6targetE0EEEvSQ_.num_agpr, 0
	.set _ZN7rocprim17ROCPRIM_400000_NS6detail17trampoline_kernelINS0_14default_configENS1_27upper_bound_config_selectorIjjEEZNS1_14transform_implILb0ES3_S5_N6thrust23THRUST_200600_302600_NS17counting_iteratorIjNS8_11use_defaultESA_SA_EENS8_6detail15normal_iteratorINS8_10device_ptrIjEEEEZNS1_13binary_searchIS3_S5_SG_SB_SG_NS1_21upper_bound_search_opENSC_16wrapped_functionINS0_4lessIvEEbEEEE10hipError_tPvRmT1_T2_T3_mmT4_T5_P12ihipStream_tbEUlRKjE_EESN_SR_SS_mST_SW_bEUlT_E_NS1_11comp_targetILNS1_3genE4ELNS1_11target_archE910ELNS1_3gpuE8ELNS1_3repE0EEENS1_30default_config_static_selectorELNS0_4arch9wavefront6targetE0EEEvSQ_.numbered_sgpr, 0
	.set _ZN7rocprim17ROCPRIM_400000_NS6detail17trampoline_kernelINS0_14default_configENS1_27upper_bound_config_selectorIjjEEZNS1_14transform_implILb0ES3_S5_N6thrust23THRUST_200600_302600_NS17counting_iteratorIjNS8_11use_defaultESA_SA_EENS8_6detail15normal_iteratorINS8_10device_ptrIjEEEEZNS1_13binary_searchIS3_S5_SG_SB_SG_NS1_21upper_bound_search_opENSC_16wrapped_functionINS0_4lessIvEEbEEEE10hipError_tPvRmT1_T2_T3_mmT4_T5_P12ihipStream_tbEUlRKjE_EESN_SR_SS_mST_SW_bEUlT_E_NS1_11comp_targetILNS1_3genE4ELNS1_11target_archE910ELNS1_3gpuE8ELNS1_3repE0EEENS1_30default_config_static_selectorELNS0_4arch9wavefront6targetE0EEEvSQ_.num_named_barrier, 0
	.set _ZN7rocprim17ROCPRIM_400000_NS6detail17trampoline_kernelINS0_14default_configENS1_27upper_bound_config_selectorIjjEEZNS1_14transform_implILb0ES3_S5_N6thrust23THRUST_200600_302600_NS17counting_iteratorIjNS8_11use_defaultESA_SA_EENS8_6detail15normal_iteratorINS8_10device_ptrIjEEEEZNS1_13binary_searchIS3_S5_SG_SB_SG_NS1_21upper_bound_search_opENSC_16wrapped_functionINS0_4lessIvEEbEEEE10hipError_tPvRmT1_T2_T3_mmT4_T5_P12ihipStream_tbEUlRKjE_EESN_SR_SS_mST_SW_bEUlT_E_NS1_11comp_targetILNS1_3genE4ELNS1_11target_archE910ELNS1_3gpuE8ELNS1_3repE0EEENS1_30default_config_static_selectorELNS0_4arch9wavefront6targetE0EEEvSQ_.private_seg_size, 0
	.set _ZN7rocprim17ROCPRIM_400000_NS6detail17trampoline_kernelINS0_14default_configENS1_27upper_bound_config_selectorIjjEEZNS1_14transform_implILb0ES3_S5_N6thrust23THRUST_200600_302600_NS17counting_iteratorIjNS8_11use_defaultESA_SA_EENS8_6detail15normal_iteratorINS8_10device_ptrIjEEEEZNS1_13binary_searchIS3_S5_SG_SB_SG_NS1_21upper_bound_search_opENSC_16wrapped_functionINS0_4lessIvEEbEEEE10hipError_tPvRmT1_T2_T3_mmT4_T5_P12ihipStream_tbEUlRKjE_EESN_SR_SS_mST_SW_bEUlT_E_NS1_11comp_targetILNS1_3genE4ELNS1_11target_archE910ELNS1_3gpuE8ELNS1_3repE0EEENS1_30default_config_static_selectorELNS0_4arch9wavefront6targetE0EEEvSQ_.uses_vcc, 0
	.set _ZN7rocprim17ROCPRIM_400000_NS6detail17trampoline_kernelINS0_14default_configENS1_27upper_bound_config_selectorIjjEEZNS1_14transform_implILb0ES3_S5_N6thrust23THRUST_200600_302600_NS17counting_iteratorIjNS8_11use_defaultESA_SA_EENS8_6detail15normal_iteratorINS8_10device_ptrIjEEEEZNS1_13binary_searchIS3_S5_SG_SB_SG_NS1_21upper_bound_search_opENSC_16wrapped_functionINS0_4lessIvEEbEEEE10hipError_tPvRmT1_T2_T3_mmT4_T5_P12ihipStream_tbEUlRKjE_EESN_SR_SS_mST_SW_bEUlT_E_NS1_11comp_targetILNS1_3genE4ELNS1_11target_archE910ELNS1_3gpuE8ELNS1_3repE0EEENS1_30default_config_static_selectorELNS0_4arch9wavefront6targetE0EEEvSQ_.uses_flat_scratch, 0
	.set _ZN7rocprim17ROCPRIM_400000_NS6detail17trampoline_kernelINS0_14default_configENS1_27upper_bound_config_selectorIjjEEZNS1_14transform_implILb0ES3_S5_N6thrust23THRUST_200600_302600_NS17counting_iteratorIjNS8_11use_defaultESA_SA_EENS8_6detail15normal_iteratorINS8_10device_ptrIjEEEEZNS1_13binary_searchIS3_S5_SG_SB_SG_NS1_21upper_bound_search_opENSC_16wrapped_functionINS0_4lessIvEEbEEEE10hipError_tPvRmT1_T2_T3_mmT4_T5_P12ihipStream_tbEUlRKjE_EESN_SR_SS_mST_SW_bEUlT_E_NS1_11comp_targetILNS1_3genE4ELNS1_11target_archE910ELNS1_3gpuE8ELNS1_3repE0EEENS1_30default_config_static_selectorELNS0_4arch9wavefront6targetE0EEEvSQ_.has_dyn_sized_stack, 0
	.set _ZN7rocprim17ROCPRIM_400000_NS6detail17trampoline_kernelINS0_14default_configENS1_27upper_bound_config_selectorIjjEEZNS1_14transform_implILb0ES3_S5_N6thrust23THRUST_200600_302600_NS17counting_iteratorIjNS8_11use_defaultESA_SA_EENS8_6detail15normal_iteratorINS8_10device_ptrIjEEEEZNS1_13binary_searchIS3_S5_SG_SB_SG_NS1_21upper_bound_search_opENSC_16wrapped_functionINS0_4lessIvEEbEEEE10hipError_tPvRmT1_T2_T3_mmT4_T5_P12ihipStream_tbEUlRKjE_EESN_SR_SS_mST_SW_bEUlT_E_NS1_11comp_targetILNS1_3genE4ELNS1_11target_archE910ELNS1_3gpuE8ELNS1_3repE0EEENS1_30default_config_static_selectorELNS0_4arch9wavefront6targetE0EEEvSQ_.has_recursion, 0
	.set _ZN7rocprim17ROCPRIM_400000_NS6detail17trampoline_kernelINS0_14default_configENS1_27upper_bound_config_selectorIjjEEZNS1_14transform_implILb0ES3_S5_N6thrust23THRUST_200600_302600_NS17counting_iteratorIjNS8_11use_defaultESA_SA_EENS8_6detail15normal_iteratorINS8_10device_ptrIjEEEEZNS1_13binary_searchIS3_S5_SG_SB_SG_NS1_21upper_bound_search_opENSC_16wrapped_functionINS0_4lessIvEEbEEEE10hipError_tPvRmT1_T2_T3_mmT4_T5_P12ihipStream_tbEUlRKjE_EESN_SR_SS_mST_SW_bEUlT_E_NS1_11comp_targetILNS1_3genE4ELNS1_11target_archE910ELNS1_3gpuE8ELNS1_3repE0EEENS1_30default_config_static_selectorELNS0_4arch9wavefront6targetE0EEEvSQ_.has_indirect_call, 0
	.section	.AMDGPU.csdata,"",@progbits
; Kernel info:
; codeLenInByte = 0
; TotalNumSgprs: 0
; NumVgprs: 0
; ScratchSize: 0
; MemoryBound: 0
; FloatMode: 240
; IeeeMode: 1
; LDSByteSize: 0 bytes/workgroup (compile time only)
; SGPRBlocks: 0
; VGPRBlocks: 0
; NumSGPRsForWavesPerEU: 1
; NumVGPRsForWavesPerEU: 1
; Occupancy: 16
; WaveLimiterHint : 0
; COMPUTE_PGM_RSRC2:SCRATCH_EN: 0
; COMPUTE_PGM_RSRC2:USER_SGPR: 6
; COMPUTE_PGM_RSRC2:TRAP_HANDLER: 0
; COMPUTE_PGM_RSRC2:TGID_X_EN: 1
; COMPUTE_PGM_RSRC2:TGID_Y_EN: 0
; COMPUTE_PGM_RSRC2:TGID_Z_EN: 0
; COMPUTE_PGM_RSRC2:TIDIG_COMP_CNT: 0
	.section	.text._ZN7rocprim17ROCPRIM_400000_NS6detail17trampoline_kernelINS0_14default_configENS1_27upper_bound_config_selectorIjjEEZNS1_14transform_implILb0ES3_S5_N6thrust23THRUST_200600_302600_NS17counting_iteratorIjNS8_11use_defaultESA_SA_EENS8_6detail15normal_iteratorINS8_10device_ptrIjEEEEZNS1_13binary_searchIS3_S5_SG_SB_SG_NS1_21upper_bound_search_opENSC_16wrapped_functionINS0_4lessIvEEbEEEE10hipError_tPvRmT1_T2_T3_mmT4_T5_P12ihipStream_tbEUlRKjE_EESN_SR_SS_mST_SW_bEUlT_E_NS1_11comp_targetILNS1_3genE3ELNS1_11target_archE908ELNS1_3gpuE7ELNS1_3repE0EEENS1_30default_config_static_selectorELNS0_4arch9wavefront6targetE0EEEvSQ_,"axG",@progbits,_ZN7rocprim17ROCPRIM_400000_NS6detail17trampoline_kernelINS0_14default_configENS1_27upper_bound_config_selectorIjjEEZNS1_14transform_implILb0ES3_S5_N6thrust23THRUST_200600_302600_NS17counting_iteratorIjNS8_11use_defaultESA_SA_EENS8_6detail15normal_iteratorINS8_10device_ptrIjEEEEZNS1_13binary_searchIS3_S5_SG_SB_SG_NS1_21upper_bound_search_opENSC_16wrapped_functionINS0_4lessIvEEbEEEE10hipError_tPvRmT1_T2_T3_mmT4_T5_P12ihipStream_tbEUlRKjE_EESN_SR_SS_mST_SW_bEUlT_E_NS1_11comp_targetILNS1_3genE3ELNS1_11target_archE908ELNS1_3gpuE7ELNS1_3repE0EEENS1_30default_config_static_selectorELNS0_4arch9wavefront6targetE0EEEvSQ_,comdat
	.protected	_ZN7rocprim17ROCPRIM_400000_NS6detail17trampoline_kernelINS0_14default_configENS1_27upper_bound_config_selectorIjjEEZNS1_14transform_implILb0ES3_S5_N6thrust23THRUST_200600_302600_NS17counting_iteratorIjNS8_11use_defaultESA_SA_EENS8_6detail15normal_iteratorINS8_10device_ptrIjEEEEZNS1_13binary_searchIS3_S5_SG_SB_SG_NS1_21upper_bound_search_opENSC_16wrapped_functionINS0_4lessIvEEbEEEE10hipError_tPvRmT1_T2_T3_mmT4_T5_P12ihipStream_tbEUlRKjE_EESN_SR_SS_mST_SW_bEUlT_E_NS1_11comp_targetILNS1_3genE3ELNS1_11target_archE908ELNS1_3gpuE7ELNS1_3repE0EEENS1_30default_config_static_selectorELNS0_4arch9wavefront6targetE0EEEvSQ_ ; -- Begin function _ZN7rocprim17ROCPRIM_400000_NS6detail17trampoline_kernelINS0_14default_configENS1_27upper_bound_config_selectorIjjEEZNS1_14transform_implILb0ES3_S5_N6thrust23THRUST_200600_302600_NS17counting_iteratorIjNS8_11use_defaultESA_SA_EENS8_6detail15normal_iteratorINS8_10device_ptrIjEEEEZNS1_13binary_searchIS3_S5_SG_SB_SG_NS1_21upper_bound_search_opENSC_16wrapped_functionINS0_4lessIvEEbEEEE10hipError_tPvRmT1_T2_T3_mmT4_T5_P12ihipStream_tbEUlRKjE_EESN_SR_SS_mST_SW_bEUlT_E_NS1_11comp_targetILNS1_3genE3ELNS1_11target_archE908ELNS1_3gpuE7ELNS1_3repE0EEENS1_30default_config_static_selectorELNS0_4arch9wavefront6targetE0EEEvSQ_
	.globl	_ZN7rocprim17ROCPRIM_400000_NS6detail17trampoline_kernelINS0_14default_configENS1_27upper_bound_config_selectorIjjEEZNS1_14transform_implILb0ES3_S5_N6thrust23THRUST_200600_302600_NS17counting_iteratorIjNS8_11use_defaultESA_SA_EENS8_6detail15normal_iteratorINS8_10device_ptrIjEEEEZNS1_13binary_searchIS3_S5_SG_SB_SG_NS1_21upper_bound_search_opENSC_16wrapped_functionINS0_4lessIvEEbEEEE10hipError_tPvRmT1_T2_T3_mmT4_T5_P12ihipStream_tbEUlRKjE_EESN_SR_SS_mST_SW_bEUlT_E_NS1_11comp_targetILNS1_3genE3ELNS1_11target_archE908ELNS1_3gpuE7ELNS1_3repE0EEENS1_30default_config_static_selectorELNS0_4arch9wavefront6targetE0EEEvSQ_
	.p2align	8
	.type	_ZN7rocprim17ROCPRIM_400000_NS6detail17trampoline_kernelINS0_14default_configENS1_27upper_bound_config_selectorIjjEEZNS1_14transform_implILb0ES3_S5_N6thrust23THRUST_200600_302600_NS17counting_iteratorIjNS8_11use_defaultESA_SA_EENS8_6detail15normal_iteratorINS8_10device_ptrIjEEEEZNS1_13binary_searchIS3_S5_SG_SB_SG_NS1_21upper_bound_search_opENSC_16wrapped_functionINS0_4lessIvEEbEEEE10hipError_tPvRmT1_T2_T3_mmT4_T5_P12ihipStream_tbEUlRKjE_EESN_SR_SS_mST_SW_bEUlT_E_NS1_11comp_targetILNS1_3genE3ELNS1_11target_archE908ELNS1_3gpuE7ELNS1_3repE0EEENS1_30default_config_static_selectorELNS0_4arch9wavefront6targetE0EEEvSQ_,@function
_ZN7rocprim17ROCPRIM_400000_NS6detail17trampoline_kernelINS0_14default_configENS1_27upper_bound_config_selectorIjjEEZNS1_14transform_implILb0ES3_S5_N6thrust23THRUST_200600_302600_NS17counting_iteratorIjNS8_11use_defaultESA_SA_EENS8_6detail15normal_iteratorINS8_10device_ptrIjEEEEZNS1_13binary_searchIS3_S5_SG_SB_SG_NS1_21upper_bound_search_opENSC_16wrapped_functionINS0_4lessIvEEbEEEE10hipError_tPvRmT1_T2_T3_mmT4_T5_P12ihipStream_tbEUlRKjE_EESN_SR_SS_mST_SW_bEUlT_E_NS1_11comp_targetILNS1_3genE3ELNS1_11target_archE908ELNS1_3gpuE7ELNS1_3repE0EEENS1_30default_config_static_selectorELNS0_4arch9wavefront6targetE0EEEvSQ_: ; @_ZN7rocprim17ROCPRIM_400000_NS6detail17trampoline_kernelINS0_14default_configENS1_27upper_bound_config_selectorIjjEEZNS1_14transform_implILb0ES3_S5_N6thrust23THRUST_200600_302600_NS17counting_iteratorIjNS8_11use_defaultESA_SA_EENS8_6detail15normal_iteratorINS8_10device_ptrIjEEEEZNS1_13binary_searchIS3_S5_SG_SB_SG_NS1_21upper_bound_search_opENSC_16wrapped_functionINS0_4lessIvEEbEEEE10hipError_tPvRmT1_T2_T3_mmT4_T5_P12ihipStream_tbEUlRKjE_EESN_SR_SS_mST_SW_bEUlT_E_NS1_11comp_targetILNS1_3genE3ELNS1_11target_archE908ELNS1_3gpuE7ELNS1_3repE0EEENS1_30default_config_static_selectorELNS0_4arch9wavefront6targetE0EEEvSQ_
; %bb.0:
	.section	.rodata,"a",@progbits
	.p2align	6, 0x0
	.amdhsa_kernel _ZN7rocprim17ROCPRIM_400000_NS6detail17trampoline_kernelINS0_14default_configENS1_27upper_bound_config_selectorIjjEEZNS1_14transform_implILb0ES3_S5_N6thrust23THRUST_200600_302600_NS17counting_iteratorIjNS8_11use_defaultESA_SA_EENS8_6detail15normal_iteratorINS8_10device_ptrIjEEEEZNS1_13binary_searchIS3_S5_SG_SB_SG_NS1_21upper_bound_search_opENSC_16wrapped_functionINS0_4lessIvEEbEEEE10hipError_tPvRmT1_T2_T3_mmT4_T5_P12ihipStream_tbEUlRKjE_EESN_SR_SS_mST_SW_bEUlT_E_NS1_11comp_targetILNS1_3genE3ELNS1_11target_archE908ELNS1_3gpuE7ELNS1_3repE0EEENS1_30default_config_static_selectorELNS0_4arch9wavefront6targetE0EEEvSQ_
		.amdhsa_group_segment_fixed_size 0
		.amdhsa_private_segment_fixed_size 0
		.amdhsa_kernarg_size 56
		.amdhsa_user_sgpr_count 6
		.amdhsa_user_sgpr_private_segment_buffer 1
		.amdhsa_user_sgpr_dispatch_ptr 0
		.amdhsa_user_sgpr_queue_ptr 0
		.amdhsa_user_sgpr_kernarg_segment_ptr 1
		.amdhsa_user_sgpr_dispatch_id 0
		.amdhsa_user_sgpr_flat_scratch_init 0
		.amdhsa_user_sgpr_private_segment_size 0
		.amdhsa_wavefront_size32 1
		.amdhsa_uses_dynamic_stack 0
		.amdhsa_system_sgpr_private_segment_wavefront_offset 0
		.amdhsa_system_sgpr_workgroup_id_x 1
		.amdhsa_system_sgpr_workgroup_id_y 0
		.amdhsa_system_sgpr_workgroup_id_z 0
		.amdhsa_system_sgpr_workgroup_info 0
		.amdhsa_system_vgpr_workitem_id 0
		.amdhsa_next_free_vgpr 1
		.amdhsa_next_free_sgpr 1
		.amdhsa_reserve_vcc 0
		.amdhsa_reserve_flat_scratch 0
		.amdhsa_float_round_mode_32 0
		.amdhsa_float_round_mode_16_64 0
		.amdhsa_float_denorm_mode_32 3
		.amdhsa_float_denorm_mode_16_64 3
		.amdhsa_dx10_clamp 1
		.amdhsa_ieee_mode 1
		.amdhsa_fp16_overflow 0
		.amdhsa_workgroup_processor_mode 1
		.amdhsa_memory_ordered 1
		.amdhsa_forward_progress 1
		.amdhsa_shared_vgpr_count 0
		.amdhsa_exception_fp_ieee_invalid_op 0
		.amdhsa_exception_fp_denorm_src 0
		.amdhsa_exception_fp_ieee_div_zero 0
		.amdhsa_exception_fp_ieee_overflow 0
		.amdhsa_exception_fp_ieee_underflow 0
		.amdhsa_exception_fp_ieee_inexact 0
		.amdhsa_exception_int_div_zero 0
	.end_amdhsa_kernel
	.section	.text._ZN7rocprim17ROCPRIM_400000_NS6detail17trampoline_kernelINS0_14default_configENS1_27upper_bound_config_selectorIjjEEZNS1_14transform_implILb0ES3_S5_N6thrust23THRUST_200600_302600_NS17counting_iteratorIjNS8_11use_defaultESA_SA_EENS8_6detail15normal_iteratorINS8_10device_ptrIjEEEEZNS1_13binary_searchIS3_S5_SG_SB_SG_NS1_21upper_bound_search_opENSC_16wrapped_functionINS0_4lessIvEEbEEEE10hipError_tPvRmT1_T2_T3_mmT4_T5_P12ihipStream_tbEUlRKjE_EESN_SR_SS_mST_SW_bEUlT_E_NS1_11comp_targetILNS1_3genE3ELNS1_11target_archE908ELNS1_3gpuE7ELNS1_3repE0EEENS1_30default_config_static_selectorELNS0_4arch9wavefront6targetE0EEEvSQ_,"axG",@progbits,_ZN7rocprim17ROCPRIM_400000_NS6detail17trampoline_kernelINS0_14default_configENS1_27upper_bound_config_selectorIjjEEZNS1_14transform_implILb0ES3_S5_N6thrust23THRUST_200600_302600_NS17counting_iteratorIjNS8_11use_defaultESA_SA_EENS8_6detail15normal_iteratorINS8_10device_ptrIjEEEEZNS1_13binary_searchIS3_S5_SG_SB_SG_NS1_21upper_bound_search_opENSC_16wrapped_functionINS0_4lessIvEEbEEEE10hipError_tPvRmT1_T2_T3_mmT4_T5_P12ihipStream_tbEUlRKjE_EESN_SR_SS_mST_SW_bEUlT_E_NS1_11comp_targetILNS1_3genE3ELNS1_11target_archE908ELNS1_3gpuE7ELNS1_3repE0EEENS1_30default_config_static_selectorELNS0_4arch9wavefront6targetE0EEEvSQ_,comdat
.Lfunc_end242:
	.size	_ZN7rocprim17ROCPRIM_400000_NS6detail17trampoline_kernelINS0_14default_configENS1_27upper_bound_config_selectorIjjEEZNS1_14transform_implILb0ES3_S5_N6thrust23THRUST_200600_302600_NS17counting_iteratorIjNS8_11use_defaultESA_SA_EENS8_6detail15normal_iteratorINS8_10device_ptrIjEEEEZNS1_13binary_searchIS3_S5_SG_SB_SG_NS1_21upper_bound_search_opENSC_16wrapped_functionINS0_4lessIvEEbEEEE10hipError_tPvRmT1_T2_T3_mmT4_T5_P12ihipStream_tbEUlRKjE_EESN_SR_SS_mST_SW_bEUlT_E_NS1_11comp_targetILNS1_3genE3ELNS1_11target_archE908ELNS1_3gpuE7ELNS1_3repE0EEENS1_30default_config_static_selectorELNS0_4arch9wavefront6targetE0EEEvSQ_, .Lfunc_end242-_ZN7rocprim17ROCPRIM_400000_NS6detail17trampoline_kernelINS0_14default_configENS1_27upper_bound_config_selectorIjjEEZNS1_14transform_implILb0ES3_S5_N6thrust23THRUST_200600_302600_NS17counting_iteratorIjNS8_11use_defaultESA_SA_EENS8_6detail15normal_iteratorINS8_10device_ptrIjEEEEZNS1_13binary_searchIS3_S5_SG_SB_SG_NS1_21upper_bound_search_opENSC_16wrapped_functionINS0_4lessIvEEbEEEE10hipError_tPvRmT1_T2_T3_mmT4_T5_P12ihipStream_tbEUlRKjE_EESN_SR_SS_mST_SW_bEUlT_E_NS1_11comp_targetILNS1_3genE3ELNS1_11target_archE908ELNS1_3gpuE7ELNS1_3repE0EEENS1_30default_config_static_selectorELNS0_4arch9wavefront6targetE0EEEvSQ_
                                        ; -- End function
	.set _ZN7rocprim17ROCPRIM_400000_NS6detail17trampoline_kernelINS0_14default_configENS1_27upper_bound_config_selectorIjjEEZNS1_14transform_implILb0ES3_S5_N6thrust23THRUST_200600_302600_NS17counting_iteratorIjNS8_11use_defaultESA_SA_EENS8_6detail15normal_iteratorINS8_10device_ptrIjEEEEZNS1_13binary_searchIS3_S5_SG_SB_SG_NS1_21upper_bound_search_opENSC_16wrapped_functionINS0_4lessIvEEbEEEE10hipError_tPvRmT1_T2_T3_mmT4_T5_P12ihipStream_tbEUlRKjE_EESN_SR_SS_mST_SW_bEUlT_E_NS1_11comp_targetILNS1_3genE3ELNS1_11target_archE908ELNS1_3gpuE7ELNS1_3repE0EEENS1_30default_config_static_selectorELNS0_4arch9wavefront6targetE0EEEvSQ_.num_vgpr, 0
	.set _ZN7rocprim17ROCPRIM_400000_NS6detail17trampoline_kernelINS0_14default_configENS1_27upper_bound_config_selectorIjjEEZNS1_14transform_implILb0ES3_S5_N6thrust23THRUST_200600_302600_NS17counting_iteratorIjNS8_11use_defaultESA_SA_EENS8_6detail15normal_iteratorINS8_10device_ptrIjEEEEZNS1_13binary_searchIS3_S5_SG_SB_SG_NS1_21upper_bound_search_opENSC_16wrapped_functionINS0_4lessIvEEbEEEE10hipError_tPvRmT1_T2_T3_mmT4_T5_P12ihipStream_tbEUlRKjE_EESN_SR_SS_mST_SW_bEUlT_E_NS1_11comp_targetILNS1_3genE3ELNS1_11target_archE908ELNS1_3gpuE7ELNS1_3repE0EEENS1_30default_config_static_selectorELNS0_4arch9wavefront6targetE0EEEvSQ_.num_agpr, 0
	.set _ZN7rocprim17ROCPRIM_400000_NS6detail17trampoline_kernelINS0_14default_configENS1_27upper_bound_config_selectorIjjEEZNS1_14transform_implILb0ES3_S5_N6thrust23THRUST_200600_302600_NS17counting_iteratorIjNS8_11use_defaultESA_SA_EENS8_6detail15normal_iteratorINS8_10device_ptrIjEEEEZNS1_13binary_searchIS3_S5_SG_SB_SG_NS1_21upper_bound_search_opENSC_16wrapped_functionINS0_4lessIvEEbEEEE10hipError_tPvRmT1_T2_T3_mmT4_T5_P12ihipStream_tbEUlRKjE_EESN_SR_SS_mST_SW_bEUlT_E_NS1_11comp_targetILNS1_3genE3ELNS1_11target_archE908ELNS1_3gpuE7ELNS1_3repE0EEENS1_30default_config_static_selectorELNS0_4arch9wavefront6targetE0EEEvSQ_.numbered_sgpr, 0
	.set _ZN7rocprim17ROCPRIM_400000_NS6detail17trampoline_kernelINS0_14default_configENS1_27upper_bound_config_selectorIjjEEZNS1_14transform_implILb0ES3_S5_N6thrust23THRUST_200600_302600_NS17counting_iteratorIjNS8_11use_defaultESA_SA_EENS8_6detail15normal_iteratorINS8_10device_ptrIjEEEEZNS1_13binary_searchIS3_S5_SG_SB_SG_NS1_21upper_bound_search_opENSC_16wrapped_functionINS0_4lessIvEEbEEEE10hipError_tPvRmT1_T2_T3_mmT4_T5_P12ihipStream_tbEUlRKjE_EESN_SR_SS_mST_SW_bEUlT_E_NS1_11comp_targetILNS1_3genE3ELNS1_11target_archE908ELNS1_3gpuE7ELNS1_3repE0EEENS1_30default_config_static_selectorELNS0_4arch9wavefront6targetE0EEEvSQ_.num_named_barrier, 0
	.set _ZN7rocprim17ROCPRIM_400000_NS6detail17trampoline_kernelINS0_14default_configENS1_27upper_bound_config_selectorIjjEEZNS1_14transform_implILb0ES3_S5_N6thrust23THRUST_200600_302600_NS17counting_iteratorIjNS8_11use_defaultESA_SA_EENS8_6detail15normal_iteratorINS8_10device_ptrIjEEEEZNS1_13binary_searchIS3_S5_SG_SB_SG_NS1_21upper_bound_search_opENSC_16wrapped_functionINS0_4lessIvEEbEEEE10hipError_tPvRmT1_T2_T3_mmT4_T5_P12ihipStream_tbEUlRKjE_EESN_SR_SS_mST_SW_bEUlT_E_NS1_11comp_targetILNS1_3genE3ELNS1_11target_archE908ELNS1_3gpuE7ELNS1_3repE0EEENS1_30default_config_static_selectorELNS0_4arch9wavefront6targetE0EEEvSQ_.private_seg_size, 0
	.set _ZN7rocprim17ROCPRIM_400000_NS6detail17trampoline_kernelINS0_14default_configENS1_27upper_bound_config_selectorIjjEEZNS1_14transform_implILb0ES3_S5_N6thrust23THRUST_200600_302600_NS17counting_iteratorIjNS8_11use_defaultESA_SA_EENS8_6detail15normal_iteratorINS8_10device_ptrIjEEEEZNS1_13binary_searchIS3_S5_SG_SB_SG_NS1_21upper_bound_search_opENSC_16wrapped_functionINS0_4lessIvEEbEEEE10hipError_tPvRmT1_T2_T3_mmT4_T5_P12ihipStream_tbEUlRKjE_EESN_SR_SS_mST_SW_bEUlT_E_NS1_11comp_targetILNS1_3genE3ELNS1_11target_archE908ELNS1_3gpuE7ELNS1_3repE0EEENS1_30default_config_static_selectorELNS0_4arch9wavefront6targetE0EEEvSQ_.uses_vcc, 0
	.set _ZN7rocprim17ROCPRIM_400000_NS6detail17trampoline_kernelINS0_14default_configENS1_27upper_bound_config_selectorIjjEEZNS1_14transform_implILb0ES3_S5_N6thrust23THRUST_200600_302600_NS17counting_iteratorIjNS8_11use_defaultESA_SA_EENS8_6detail15normal_iteratorINS8_10device_ptrIjEEEEZNS1_13binary_searchIS3_S5_SG_SB_SG_NS1_21upper_bound_search_opENSC_16wrapped_functionINS0_4lessIvEEbEEEE10hipError_tPvRmT1_T2_T3_mmT4_T5_P12ihipStream_tbEUlRKjE_EESN_SR_SS_mST_SW_bEUlT_E_NS1_11comp_targetILNS1_3genE3ELNS1_11target_archE908ELNS1_3gpuE7ELNS1_3repE0EEENS1_30default_config_static_selectorELNS0_4arch9wavefront6targetE0EEEvSQ_.uses_flat_scratch, 0
	.set _ZN7rocprim17ROCPRIM_400000_NS6detail17trampoline_kernelINS0_14default_configENS1_27upper_bound_config_selectorIjjEEZNS1_14transform_implILb0ES3_S5_N6thrust23THRUST_200600_302600_NS17counting_iteratorIjNS8_11use_defaultESA_SA_EENS8_6detail15normal_iteratorINS8_10device_ptrIjEEEEZNS1_13binary_searchIS3_S5_SG_SB_SG_NS1_21upper_bound_search_opENSC_16wrapped_functionINS0_4lessIvEEbEEEE10hipError_tPvRmT1_T2_T3_mmT4_T5_P12ihipStream_tbEUlRKjE_EESN_SR_SS_mST_SW_bEUlT_E_NS1_11comp_targetILNS1_3genE3ELNS1_11target_archE908ELNS1_3gpuE7ELNS1_3repE0EEENS1_30default_config_static_selectorELNS0_4arch9wavefront6targetE0EEEvSQ_.has_dyn_sized_stack, 0
	.set _ZN7rocprim17ROCPRIM_400000_NS6detail17trampoline_kernelINS0_14default_configENS1_27upper_bound_config_selectorIjjEEZNS1_14transform_implILb0ES3_S5_N6thrust23THRUST_200600_302600_NS17counting_iteratorIjNS8_11use_defaultESA_SA_EENS8_6detail15normal_iteratorINS8_10device_ptrIjEEEEZNS1_13binary_searchIS3_S5_SG_SB_SG_NS1_21upper_bound_search_opENSC_16wrapped_functionINS0_4lessIvEEbEEEE10hipError_tPvRmT1_T2_T3_mmT4_T5_P12ihipStream_tbEUlRKjE_EESN_SR_SS_mST_SW_bEUlT_E_NS1_11comp_targetILNS1_3genE3ELNS1_11target_archE908ELNS1_3gpuE7ELNS1_3repE0EEENS1_30default_config_static_selectorELNS0_4arch9wavefront6targetE0EEEvSQ_.has_recursion, 0
	.set _ZN7rocprim17ROCPRIM_400000_NS6detail17trampoline_kernelINS0_14default_configENS1_27upper_bound_config_selectorIjjEEZNS1_14transform_implILb0ES3_S5_N6thrust23THRUST_200600_302600_NS17counting_iteratorIjNS8_11use_defaultESA_SA_EENS8_6detail15normal_iteratorINS8_10device_ptrIjEEEEZNS1_13binary_searchIS3_S5_SG_SB_SG_NS1_21upper_bound_search_opENSC_16wrapped_functionINS0_4lessIvEEbEEEE10hipError_tPvRmT1_T2_T3_mmT4_T5_P12ihipStream_tbEUlRKjE_EESN_SR_SS_mST_SW_bEUlT_E_NS1_11comp_targetILNS1_3genE3ELNS1_11target_archE908ELNS1_3gpuE7ELNS1_3repE0EEENS1_30default_config_static_selectorELNS0_4arch9wavefront6targetE0EEEvSQ_.has_indirect_call, 0
	.section	.AMDGPU.csdata,"",@progbits
; Kernel info:
; codeLenInByte = 0
; TotalNumSgprs: 0
; NumVgprs: 0
; ScratchSize: 0
; MemoryBound: 0
; FloatMode: 240
; IeeeMode: 1
; LDSByteSize: 0 bytes/workgroup (compile time only)
; SGPRBlocks: 0
; VGPRBlocks: 0
; NumSGPRsForWavesPerEU: 1
; NumVGPRsForWavesPerEU: 1
; Occupancy: 16
; WaveLimiterHint : 0
; COMPUTE_PGM_RSRC2:SCRATCH_EN: 0
; COMPUTE_PGM_RSRC2:USER_SGPR: 6
; COMPUTE_PGM_RSRC2:TRAP_HANDLER: 0
; COMPUTE_PGM_RSRC2:TGID_X_EN: 1
; COMPUTE_PGM_RSRC2:TGID_Y_EN: 0
; COMPUTE_PGM_RSRC2:TGID_Z_EN: 0
; COMPUTE_PGM_RSRC2:TIDIG_COMP_CNT: 0
	.section	.text._ZN7rocprim17ROCPRIM_400000_NS6detail17trampoline_kernelINS0_14default_configENS1_27upper_bound_config_selectorIjjEEZNS1_14transform_implILb0ES3_S5_N6thrust23THRUST_200600_302600_NS17counting_iteratorIjNS8_11use_defaultESA_SA_EENS8_6detail15normal_iteratorINS8_10device_ptrIjEEEEZNS1_13binary_searchIS3_S5_SG_SB_SG_NS1_21upper_bound_search_opENSC_16wrapped_functionINS0_4lessIvEEbEEEE10hipError_tPvRmT1_T2_T3_mmT4_T5_P12ihipStream_tbEUlRKjE_EESN_SR_SS_mST_SW_bEUlT_E_NS1_11comp_targetILNS1_3genE2ELNS1_11target_archE906ELNS1_3gpuE6ELNS1_3repE0EEENS1_30default_config_static_selectorELNS0_4arch9wavefront6targetE0EEEvSQ_,"axG",@progbits,_ZN7rocprim17ROCPRIM_400000_NS6detail17trampoline_kernelINS0_14default_configENS1_27upper_bound_config_selectorIjjEEZNS1_14transform_implILb0ES3_S5_N6thrust23THRUST_200600_302600_NS17counting_iteratorIjNS8_11use_defaultESA_SA_EENS8_6detail15normal_iteratorINS8_10device_ptrIjEEEEZNS1_13binary_searchIS3_S5_SG_SB_SG_NS1_21upper_bound_search_opENSC_16wrapped_functionINS0_4lessIvEEbEEEE10hipError_tPvRmT1_T2_T3_mmT4_T5_P12ihipStream_tbEUlRKjE_EESN_SR_SS_mST_SW_bEUlT_E_NS1_11comp_targetILNS1_3genE2ELNS1_11target_archE906ELNS1_3gpuE6ELNS1_3repE0EEENS1_30default_config_static_selectorELNS0_4arch9wavefront6targetE0EEEvSQ_,comdat
	.protected	_ZN7rocprim17ROCPRIM_400000_NS6detail17trampoline_kernelINS0_14default_configENS1_27upper_bound_config_selectorIjjEEZNS1_14transform_implILb0ES3_S5_N6thrust23THRUST_200600_302600_NS17counting_iteratorIjNS8_11use_defaultESA_SA_EENS8_6detail15normal_iteratorINS8_10device_ptrIjEEEEZNS1_13binary_searchIS3_S5_SG_SB_SG_NS1_21upper_bound_search_opENSC_16wrapped_functionINS0_4lessIvEEbEEEE10hipError_tPvRmT1_T2_T3_mmT4_T5_P12ihipStream_tbEUlRKjE_EESN_SR_SS_mST_SW_bEUlT_E_NS1_11comp_targetILNS1_3genE2ELNS1_11target_archE906ELNS1_3gpuE6ELNS1_3repE0EEENS1_30default_config_static_selectorELNS0_4arch9wavefront6targetE0EEEvSQ_ ; -- Begin function _ZN7rocprim17ROCPRIM_400000_NS6detail17trampoline_kernelINS0_14default_configENS1_27upper_bound_config_selectorIjjEEZNS1_14transform_implILb0ES3_S5_N6thrust23THRUST_200600_302600_NS17counting_iteratorIjNS8_11use_defaultESA_SA_EENS8_6detail15normal_iteratorINS8_10device_ptrIjEEEEZNS1_13binary_searchIS3_S5_SG_SB_SG_NS1_21upper_bound_search_opENSC_16wrapped_functionINS0_4lessIvEEbEEEE10hipError_tPvRmT1_T2_T3_mmT4_T5_P12ihipStream_tbEUlRKjE_EESN_SR_SS_mST_SW_bEUlT_E_NS1_11comp_targetILNS1_3genE2ELNS1_11target_archE906ELNS1_3gpuE6ELNS1_3repE0EEENS1_30default_config_static_selectorELNS0_4arch9wavefront6targetE0EEEvSQ_
	.globl	_ZN7rocprim17ROCPRIM_400000_NS6detail17trampoline_kernelINS0_14default_configENS1_27upper_bound_config_selectorIjjEEZNS1_14transform_implILb0ES3_S5_N6thrust23THRUST_200600_302600_NS17counting_iteratorIjNS8_11use_defaultESA_SA_EENS8_6detail15normal_iteratorINS8_10device_ptrIjEEEEZNS1_13binary_searchIS3_S5_SG_SB_SG_NS1_21upper_bound_search_opENSC_16wrapped_functionINS0_4lessIvEEbEEEE10hipError_tPvRmT1_T2_T3_mmT4_T5_P12ihipStream_tbEUlRKjE_EESN_SR_SS_mST_SW_bEUlT_E_NS1_11comp_targetILNS1_3genE2ELNS1_11target_archE906ELNS1_3gpuE6ELNS1_3repE0EEENS1_30default_config_static_selectorELNS0_4arch9wavefront6targetE0EEEvSQ_
	.p2align	8
	.type	_ZN7rocprim17ROCPRIM_400000_NS6detail17trampoline_kernelINS0_14default_configENS1_27upper_bound_config_selectorIjjEEZNS1_14transform_implILb0ES3_S5_N6thrust23THRUST_200600_302600_NS17counting_iteratorIjNS8_11use_defaultESA_SA_EENS8_6detail15normal_iteratorINS8_10device_ptrIjEEEEZNS1_13binary_searchIS3_S5_SG_SB_SG_NS1_21upper_bound_search_opENSC_16wrapped_functionINS0_4lessIvEEbEEEE10hipError_tPvRmT1_T2_T3_mmT4_T5_P12ihipStream_tbEUlRKjE_EESN_SR_SS_mST_SW_bEUlT_E_NS1_11comp_targetILNS1_3genE2ELNS1_11target_archE906ELNS1_3gpuE6ELNS1_3repE0EEENS1_30default_config_static_selectorELNS0_4arch9wavefront6targetE0EEEvSQ_,@function
_ZN7rocprim17ROCPRIM_400000_NS6detail17trampoline_kernelINS0_14default_configENS1_27upper_bound_config_selectorIjjEEZNS1_14transform_implILb0ES3_S5_N6thrust23THRUST_200600_302600_NS17counting_iteratorIjNS8_11use_defaultESA_SA_EENS8_6detail15normal_iteratorINS8_10device_ptrIjEEEEZNS1_13binary_searchIS3_S5_SG_SB_SG_NS1_21upper_bound_search_opENSC_16wrapped_functionINS0_4lessIvEEbEEEE10hipError_tPvRmT1_T2_T3_mmT4_T5_P12ihipStream_tbEUlRKjE_EESN_SR_SS_mST_SW_bEUlT_E_NS1_11comp_targetILNS1_3genE2ELNS1_11target_archE906ELNS1_3gpuE6ELNS1_3repE0EEENS1_30default_config_static_selectorELNS0_4arch9wavefront6targetE0EEEvSQ_: ; @_ZN7rocprim17ROCPRIM_400000_NS6detail17trampoline_kernelINS0_14default_configENS1_27upper_bound_config_selectorIjjEEZNS1_14transform_implILb0ES3_S5_N6thrust23THRUST_200600_302600_NS17counting_iteratorIjNS8_11use_defaultESA_SA_EENS8_6detail15normal_iteratorINS8_10device_ptrIjEEEEZNS1_13binary_searchIS3_S5_SG_SB_SG_NS1_21upper_bound_search_opENSC_16wrapped_functionINS0_4lessIvEEbEEEE10hipError_tPvRmT1_T2_T3_mmT4_T5_P12ihipStream_tbEUlRKjE_EESN_SR_SS_mST_SW_bEUlT_E_NS1_11comp_targetILNS1_3genE2ELNS1_11target_archE906ELNS1_3gpuE6ELNS1_3repE0EEENS1_30default_config_static_selectorELNS0_4arch9wavefront6targetE0EEEvSQ_
; %bb.0:
	.section	.rodata,"a",@progbits
	.p2align	6, 0x0
	.amdhsa_kernel _ZN7rocprim17ROCPRIM_400000_NS6detail17trampoline_kernelINS0_14default_configENS1_27upper_bound_config_selectorIjjEEZNS1_14transform_implILb0ES3_S5_N6thrust23THRUST_200600_302600_NS17counting_iteratorIjNS8_11use_defaultESA_SA_EENS8_6detail15normal_iteratorINS8_10device_ptrIjEEEEZNS1_13binary_searchIS3_S5_SG_SB_SG_NS1_21upper_bound_search_opENSC_16wrapped_functionINS0_4lessIvEEbEEEE10hipError_tPvRmT1_T2_T3_mmT4_T5_P12ihipStream_tbEUlRKjE_EESN_SR_SS_mST_SW_bEUlT_E_NS1_11comp_targetILNS1_3genE2ELNS1_11target_archE906ELNS1_3gpuE6ELNS1_3repE0EEENS1_30default_config_static_selectorELNS0_4arch9wavefront6targetE0EEEvSQ_
		.amdhsa_group_segment_fixed_size 0
		.amdhsa_private_segment_fixed_size 0
		.amdhsa_kernarg_size 56
		.amdhsa_user_sgpr_count 6
		.amdhsa_user_sgpr_private_segment_buffer 1
		.amdhsa_user_sgpr_dispatch_ptr 0
		.amdhsa_user_sgpr_queue_ptr 0
		.amdhsa_user_sgpr_kernarg_segment_ptr 1
		.amdhsa_user_sgpr_dispatch_id 0
		.amdhsa_user_sgpr_flat_scratch_init 0
		.amdhsa_user_sgpr_private_segment_size 0
		.amdhsa_wavefront_size32 1
		.amdhsa_uses_dynamic_stack 0
		.amdhsa_system_sgpr_private_segment_wavefront_offset 0
		.amdhsa_system_sgpr_workgroup_id_x 1
		.amdhsa_system_sgpr_workgroup_id_y 0
		.amdhsa_system_sgpr_workgroup_id_z 0
		.amdhsa_system_sgpr_workgroup_info 0
		.amdhsa_system_vgpr_workitem_id 0
		.amdhsa_next_free_vgpr 1
		.amdhsa_next_free_sgpr 1
		.amdhsa_reserve_vcc 0
		.amdhsa_reserve_flat_scratch 0
		.amdhsa_float_round_mode_32 0
		.amdhsa_float_round_mode_16_64 0
		.amdhsa_float_denorm_mode_32 3
		.amdhsa_float_denorm_mode_16_64 3
		.amdhsa_dx10_clamp 1
		.amdhsa_ieee_mode 1
		.amdhsa_fp16_overflow 0
		.amdhsa_workgroup_processor_mode 1
		.amdhsa_memory_ordered 1
		.amdhsa_forward_progress 1
		.amdhsa_shared_vgpr_count 0
		.amdhsa_exception_fp_ieee_invalid_op 0
		.amdhsa_exception_fp_denorm_src 0
		.amdhsa_exception_fp_ieee_div_zero 0
		.amdhsa_exception_fp_ieee_overflow 0
		.amdhsa_exception_fp_ieee_underflow 0
		.amdhsa_exception_fp_ieee_inexact 0
		.amdhsa_exception_int_div_zero 0
	.end_amdhsa_kernel
	.section	.text._ZN7rocprim17ROCPRIM_400000_NS6detail17trampoline_kernelINS0_14default_configENS1_27upper_bound_config_selectorIjjEEZNS1_14transform_implILb0ES3_S5_N6thrust23THRUST_200600_302600_NS17counting_iteratorIjNS8_11use_defaultESA_SA_EENS8_6detail15normal_iteratorINS8_10device_ptrIjEEEEZNS1_13binary_searchIS3_S5_SG_SB_SG_NS1_21upper_bound_search_opENSC_16wrapped_functionINS0_4lessIvEEbEEEE10hipError_tPvRmT1_T2_T3_mmT4_T5_P12ihipStream_tbEUlRKjE_EESN_SR_SS_mST_SW_bEUlT_E_NS1_11comp_targetILNS1_3genE2ELNS1_11target_archE906ELNS1_3gpuE6ELNS1_3repE0EEENS1_30default_config_static_selectorELNS0_4arch9wavefront6targetE0EEEvSQ_,"axG",@progbits,_ZN7rocprim17ROCPRIM_400000_NS6detail17trampoline_kernelINS0_14default_configENS1_27upper_bound_config_selectorIjjEEZNS1_14transform_implILb0ES3_S5_N6thrust23THRUST_200600_302600_NS17counting_iteratorIjNS8_11use_defaultESA_SA_EENS8_6detail15normal_iteratorINS8_10device_ptrIjEEEEZNS1_13binary_searchIS3_S5_SG_SB_SG_NS1_21upper_bound_search_opENSC_16wrapped_functionINS0_4lessIvEEbEEEE10hipError_tPvRmT1_T2_T3_mmT4_T5_P12ihipStream_tbEUlRKjE_EESN_SR_SS_mST_SW_bEUlT_E_NS1_11comp_targetILNS1_3genE2ELNS1_11target_archE906ELNS1_3gpuE6ELNS1_3repE0EEENS1_30default_config_static_selectorELNS0_4arch9wavefront6targetE0EEEvSQ_,comdat
.Lfunc_end243:
	.size	_ZN7rocprim17ROCPRIM_400000_NS6detail17trampoline_kernelINS0_14default_configENS1_27upper_bound_config_selectorIjjEEZNS1_14transform_implILb0ES3_S5_N6thrust23THRUST_200600_302600_NS17counting_iteratorIjNS8_11use_defaultESA_SA_EENS8_6detail15normal_iteratorINS8_10device_ptrIjEEEEZNS1_13binary_searchIS3_S5_SG_SB_SG_NS1_21upper_bound_search_opENSC_16wrapped_functionINS0_4lessIvEEbEEEE10hipError_tPvRmT1_T2_T3_mmT4_T5_P12ihipStream_tbEUlRKjE_EESN_SR_SS_mST_SW_bEUlT_E_NS1_11comp_targetILNS1_3genE2ELNS1_11target_archE906ELNS1_3gpuE6ELNS1_3repE0EEENS1_30default_config_static_selectorELNS0_4arch9wavefront6targetE0EEEvSQ_, .Lfunc_end243-_ZN7rocprim17ROCPRIM_400000_NS6detail17trampoline_kernelINS0_14default_configENS1_27upper_bound_config_selectorIjjEEZNS1_14transform_implILb0ES3_S5_N6thrust23THRUST_200600_302600_NS17counting_iteratorIjNS8_11use_defaultESA_SA_EENS8_6detail15normal_iteratorINS8_10device_ptrIjEEEEZNS1_13binary_searchIS3_S5_SG_SB_SG_NS1_21upper_bound_search_opENSC_16wrapped_functionINS0_4lessIvEEbEEEE10hipError_tPvRmT1_T2_T3_mmT4_T5_P12ihipStream_tbEUlRKjE_EESN_SR_SS_mST_SW_bEUlT_E_NS1_11comp_targetILNS1_3genE2ELNS1_11target_archE906ELNS1_3gpuE6ELNS1_3repE0EEENS1_30default_config_static_selectorELNS0_4arch9wavefront6targetE0EEEvSQ_
                                        ; -- End function
	.set _ZN7rocprim17ROCPRIM_400000_NS6detail17trampoline_kernelINS0_14default_configENS1_27upper_bound_config_selectorIjjEEZNS1_14transform_implILb0ES3_S5_N6thrust23THRUST_200600_302600_NS17counting_iteratorIjNS8_11use_defaultESA_SA_EENS8_6detail15normal_iteratorINS8_10device_ptrIjEEEEZNS1_13binary_searchIS3_S5_SG_SB_SG_NS1_21upper_bound_search_opENSC_16wrapped_functionINS0_4lessIvEEbEEEE10hipError_tPvRmT1_T2_T3_mmT4_T5_P12ihipStream_tbEUlRKjE_EESN_SR_SS_mST_SW_bEUlT_E_NS1_11comp_targetILNS1_3genE2ELNS1_11target_archE906ELNS1_3gpuE6ELNS1_3repE0EEENS1_30default_config_static_selectorELNS0_4arch9wavefront6targetE0EEEvSQ_.num_vgpr, 0
	.set _ZN7rocprim17ROCPRIM_400000_NS6detail17trampoline_kernelINS0_14default_configENS1_27upper_bound_config_selectorIjjEEZNS1_14transform_implILb0ES3_S5_N6thrust23THRUST_200600_302600_NS17counting_iteratorIjNS8_11use_defaultESA_SA_EENS8_6detail15normal_iteratorINS8_10device_ptrIjEEEEZNS1_13binary_searchIS3_S5_SG_SB_SG_NS1_21upper_bound_search_opENSC_16wrapped_functionINS0_4lessIvEEbEEEE10hipError_tPvRmT1_T2_T3_mmT4_T5_P12ihipStream_tbEUlRKjE_EESN_SR_SS_mST_SW_bEUlT_E_NS1_11comp_targetILNS1_3genE2ELNS1_11target_archE906ELNS1_3gpuE6ELNS1_3repE0EEENS1_30default_config_static_selectorELNS0_4arch9wavefront6targetE0EEEvSQ_.num_agpr, 0
	.set _ZN7rocprim17ROCPRIM_400000_NS6detail17trampoline_kernelINS0_14default_configENS1_27upper_bound_config_selectorIjjEEZNS1_14transform_implILb0ES3_S5_N6thrust23THRUST_200600_302600_NS17counting_iteratorIjNS8_11use_defaultESA_SA_EENS8_6detail15normal_iteratorINS8_10device_ptrIjEEEEZNS1_13binary_searchIS3_S5_SG_SB_SG_NS1_21upper_bound_search_opENSC_16wrapped_functionINS0_4lessIvEEbEEEE10hipError_tPvRmT1_T2_T3_mmT4_T5_P12ihipStream_tbEUlRKjE_EESN_SR_SS_mST_SW_bEUlT_E_NS1_11comp_targetILNS1_3genE2ELNS1_11target_archE906ELNS1_3gpuE6ELNS1_3repE0EEENS1_30default_config_static_selectorELNS0_4arch9wavefront6targetE0EEEvSQ_.numbered_sgpr, 0
	.set _ZN7rocprim17ROCPRIM_400000_NS6detail17trampoline_kernelINS0_14default_configENS1_27upper_bound_config_selectorIjjEEZNS1_14transform_implILb0ES3_S5_N6thrust23THRUST_200600_302600_NS17counting_iteratorIjNS8_11use_defaultESA_SA_EENS8_6detail15normal_iteratorINS8_10device_ptrIjEEEEZNS1_13binary_searchIS3_S5_SG_SB_SG_NS1_21upper_bound_search_opENSC_16wrapped_functionINS0_4lessIvEEbEEEE10hipError_tPvRmT1_T2_T3_mmT4_T5_P12ihipStream_tbEUlRKjE_EESN_SR_SS_mST_SW_bEUlT_E_NS1_11comp_targetILNS1_3genE2ELNS1_11target_archE906ELNS1_3gpuE6ELNS1_3repE0EEENS1_30default_config_static_selectorELNS0_4arch9wavefront6targetE0EEEvSQ_.num_named_barrier, 0
	.set _ZN7rocprim17ROCPRIM_400000_NS6detail17trampoline_kernelINS0_14default_configENS1_27upper_bound_config_selectorIjjEEZNS1_14transform_implILb0ES3_S5_N6thrust23THRUST_200600_302600_NS17counting_iteratorIjNS8_11use_defaultESA_SA_EENS8_6detail15normal_iteratorINS8_10device_ptrIjEEEEZNS1_13binary_searchIS3_S5_SG_SB_SG_NS1_21upper_bound_search_opENSC_16wrapped_functionINS0_4lessIvEEbEEEE10hipError_tPvRmT1_T2_T3_mmT4_T5_P12ihipStream_tbEUlRKjE_EESN_SR_SS_mST_SW_bEUlT_E_NS1_11comp_targetILNS1_3genE2ELNS1_11target_archE906ELNS1_3gpuE6ELNS1_3repE0EEENS1_30default_config_static_selectorELNS0_4arch9wavefront6targetE0EEEvSQ_.private_seg_size, 0
	.set _ZN7rocprim17ROCPRIM_400000_NS6detail17trampoline_kernelINS0_14default_configENS1_27upper_bound_config_selectorIjjEEZNS1_14transform_implILb0ES3_S5_N6thrust23THRUST_200600_302600_NS17counting_iteratorIjNS8_11use_defaultESA_SA_EENS8_6detail15normal_iteratorINS8_10device_ptrIjEEEEZNS1_13binary_searchIS3_S5_SG_SB_SG_NS1_21upper_bound_search_opENSC_16wrapped_functionINS0_4lessIvEEbEEEE10hipError_tPvRmT1_T2_T3_mmT4_T5_P12ihipStream_tbEUlRKjE_EESN_SR_SS_mST_SW_bEUlT_E_NS1_11comp_targetILNS1_3genE2ELNS1_11target_archE906ELNS1_3gpuE6ELNS1_3repE0EEENS1_30default_config_static_selectorELNS0_4arch9wavefront6targetE0EEEvSQ_.uses_vcc, 0
	.set _ZN7rocprim17ROCPRIM_400000_NS6detail17trampoline_kernelINS0_14default_configENS1_27upper_bound_config_selectorIjjEEZNS1_14transform_implILb0ES3_S5_N6thrust23THRUST_200600_302600_NS17counting_iteratorIjNS8_11use_defaultESA_SA_EENS8_6detail15normal_iteratorINS8_10device_ptrIjEEEEZNS1_13binary_searchIS3_S5_SG_SB_SG_NS1_21upper_bound_search_opENSC_16wrapped_functionINS0_4lessIvEEbEEEE10hipError_tPvRmT1_T2_T3_mmT4_T5_P12ihipStream_tbEUlRKjE_EESN_SR_SS_mST_SW_bEUlT_E_NS1_11comp_targetILNS1_3genE2ELNS1_11target_archE906ELNS1_3gpuE6ELNS1_3repE0EEENS1_30default_config_static_selectorELNS0_4arch9wavefront6targetE0EEEvSQ_.uses_flat_scratch, 0
	.set _ZN7rocprim17ROCPRIM_400000_NS6detail17trampoline_kernelINS0_14default_configENS1_27upper_bound_config_selectorIjjEEZNS1_14transform_implILb0ES3_S5_N6thrust23THRUST_200600_302600_NS17counting_iteratorIjNS8_11use_defaultESA_SA_EENS8_6detail15normal_iteratorINS8_10device_ptrIjEEEEZNS1_13binary_searchIS3_S5_SG_SB_SG_NS1_21upper_bound_search_opENSC_16wrapped_functionINS0_4lessIvEEbEEEE10hipError_tPvRmT1_T2_T3_mmT4_T5_P12ihipStream_tbEUlRKjE_EESN_SR_SS_mST_SW_bEUlT_E_NS1_11comp_targetILNS1_3genE2ELNS1_11target_archE906ELNS1_3gpuE6ELNS1_3repE0EEENS1_30default_config_static_selectorELNS0_4arch9wavefront6targetE0EEEvSQ_.has_dyn_sized_stack, 0
	.set _ZN7rocprim17ROCPRIM_400000_NS6detail17trampoline_kernelINS0_14default_configENS1_27upper_bound_config_selectorIjjEEZNS1_14transform_implILb0ES3_S5_N6thrust23THRUST_200600_302600_NS17counting_iteratorIjNS8_11use_defaultESA_SA_EENS8_6detail15normal_iteratorINS8_10device_ptrIjEEEEZNS1_13binary_searchIS3_S5_SG_SB_SG_NS1_21upper_bound_search_opENSC_16wrapped_functionINS0_4lessIvEEbEEEE10hipError_tPvRmT1_T2_T3_mmT4_T5_P12ihipStream_tbEUlRKjE_EESN_SR_SS_mST_SW_bEUlT_E_NS1_11comp_targetILNS1_3genE2ELNS1_11target_archE906ELNS1_3gpuE6ELNS1_3repE0EEENS1_30default_config_static_selectorELNS0_4arch9wavefront6targetE0EEEvSQ_.has_recursion, 0
	.set _ZN7rocprim17ROCPRIM_400000_NS6detail17trampoline_kernelINS0_14default_configENS1_27upper_bound_config_selectorIjjEEZNS1_14transform_implILb0ES3_S5_N6thrust23THRUST_200600_302600_NS17counting_iteratorIjNS8_11use_defaultESA_SA_EENS8_6detail15normal_iteratorINS8_10device_ptrIjEEEEZNS1_13binary_searchIS3_S5_SG_SB_SG_NS1_21upper_bound_search_opENSC_16wrapped_functionINS0_4lessIvEEbEEEE10hipError_tPvRmT1_T2_T3_mmT4_T5_P12ihipStream_tbEUlRKjE_EESN_SR_SS_mST_SW_bEUlT_E_NS1_11comp_targetILNS1_3genE2ELNS1_11target_archE906ELNS1_3gpuE6ELNS1_3repE0EEENS1_30default_config_static_selectorELNS0_4arch9wavefront6targetE0EEEvSQ_.has_indirect_call, 0
	.section	.AMDGPU.csdata,"",@progbits
; Kernel info:
; codeLenInByte = 0
; TotalNumSgprs: 0
; NumVgprs: 0
; ScratchSize: 0
; MemoryBound: 0
; FloatMode: 240
; IeeeMode: 1
; LDSByteSize: 0 bytes/workgroup (compile time only)
; SGPRBlocks: 0
; VGPRBlocks: 0
; NumSGPRsForWavesPerEU: 1
; NumVGPRsForWavesPerEU: 1
; Occupancy: 16
; WaveLimiterHint : 0
; COMPUTE_PGM_RSRC2:SCRATCH_EN: 0
; COMPUTE_PGM_RSRC2:USER_SGPR: 6
; COMPUTE_PGM_RSRC2:TRAP_HANDLER: 0
; COMPUTE_PGM_RSRC2:TGID_X_EN: 1
; COMPUTE_PGM_RSRC2:TGID_Y_EN: 0
; COMPUTE_PGM_RSRC2:TGID_Z_EN: 0
; COMPUTE_PGM_RSRC2:TIDIG_COMP_CNT: 0
	.section	.text._ZN7rocprim17ROCPRIM_400000_NS6detail17trampoline_kernelINS0_14default_configENS1_27upper_bound_config_selectorIjjEEZNS1_14transform_implILb0ES3_S5_N6thrust23THRUST_200600_302600_NS17counting_iteratorIjNS8_11use_defaultESA_SA_EENS8_6detail15normal_iteratorINS8_10device_ptrIjEEEEZNS1_13binary_searchIS3_S5_SG_SB_SG_NS1_21upper_bound_search_opENSC_16wrapped_functionINS0_4lessIvEEbEEEE10hipError_tPvRmT1_T2_T3_mmT4_T5_P12ihipStream_tbEUlRKjE_EESN_SR_SS_mST_SW_bEUlT_E_NS1_11comp_targetILNS1_3genE10ELNS1_11target_archE1201ELNS1_3gpuE5ELNS1_3repE0EEENS1_30default_config_static_selectorELNS0_4arch9wavefront6targetE0EEEvSQ_,"axG",@progbits,_ZN7rocprim17ROCPRIM_400000_NS6detail17trampoline_kernelINS0_14default_configENS1_27upper_bound_config_selectorIjjEEZNS1_14transform_implILb0ES3_S5_N6thrust23THRUST_200600_302600_NS17counting_iteratorIjNS8_11use_defaultESA_SA_EENS8_6detail15normal_iteratorINS8_10device_ptrIjEEEEZNS1_13binary_searchIS3_S5_SG_SB_SG_NS1_21upper_bound_search_opENSC_16wrapped_functionINS0_4lessIvEEbEEEE10hipError_tPvRmT1_T2_T3_mmT4_T5_P12ihipStream_tbEUlRKjE_EESN_SR_SS_mST_SW_bEUlT_E_NS1_11comp_targetILNS1_3genE10ELNS1_11target_archE1201ELNS1_3gpuE5ELNS1_3repE0EEENS1_30default_config_static_selectorELNS0_4arch9wavefront6targetE0EEEvSQ_,comdat
	.protected	_ZN7rocprim17ROCPRIM_400000_NS6detail17trampoline_kernelINS0_14default_configENS1_27upper_bound_config_selectorIjjEEZNS1_14transform_implILb0ES3_S5_N6thrust23THRUST_200600_302600_NS17counting_iteratorIjNS8_11use_defaultESA_SA_EENS8_6detail15normal_iteratorINS8_10device_ptrIjEEEEZNS1_13binary_searchIS3_S5_SG_SB_SG_NS1_21upper_bound_search_opENSC_16wrapped_functionINS0_4lessIvEEbEEEE10hipError_tPvRmT1_T2_T3_mmT4_T5_P12ihipStream_tbEUlRKjE_EESN_SR_SS_mST_SW_bEUlT_E_NS1_11comp_targetILNS1_3genE10ELNS1_11target_archE1201ELNS1_3gpuE5ELNS1_3repE0EEENS1_30default_config_static_selectorELNS0_4arch9wavefront6targetE0EEEvSQ_ ; -- Begin function _ZN7rocprim17ROCPRIM_400000_NS6detail17trampoline_kernelINS0_14default_configENS1_27upper_bound_config_selectorIjjEEZNS1_14transform_implILb0ES3_S5_N6thrust23THRUST_200600_302600_NS17counting_iteratorIjNS8_11use_defaultESA_SA_EENS8_6detail15normal_iteratorINS8_10device_ptrIjEEEEZNS1_13binary_searchIS3_S5_SG_SB_SG_NS1_21upper_bound_search_opENSC_16wrapped_functionINS0_4lessIvEEbEEEE10hipError_tPvRmT1_T2_T3_mmT4_T5_P12ihipStream_tbEUlRKjE_EESN_SR_SS_mST_SW_bEUlT_E_NS1_11comp_targetILNS1_3genE10ELNS1_11target_archE1201ELNS1_3gpuE5ELNS1_3repE0EEENS1_30default_config_static_selectorELNS0_4arch9wavefront6targetE0EEEvSQ_
	.globl	_ZN7rocprim17ROCPRIM_400000_NS6detail17trampoline_kernelINS0_14default_configENS1_27upper_bound_config_selectorIjjEEZNS1_14transform_implILb0ES3_S5_N6thrust23THRUST_200600_302600_NS17counting_iteratorIjNS8_11use_defaultESA_SA_EENS8_6detail15normal_iteratorINS8_10device_ptrIjEEEEZNS1_13binary_searchIS3_S5_SG_SB_SG_NS1_21upper_bound_search_opENSC_16wrapped_functionINS0_4lessIvEEbEEEE10hipError_tPvRmT1_T2_T3_mmT4_T5_P12ihipStream_tbEUlRKjE_EESN_SR_SS_mST_SW_bEUlT_E_NS1_11comp_targetILNS1_3genE10ELNS1_11target_archE1201ELNS1_3gpuE5ELNS1_3repE0EEENS1_30default_config_static_selectorELNS0_4arch9wavefront6targetE0EEEvSQ_
	.p2align	8
	.type	_ZN7rocprim17ROCPRIM_400000_NS6detail17trampoline_kernelINS0_14default_configENS1_27upper_bound_config_selectorIjjEEZNS1_14transform_implILb0ES3_S5_N6thrust23THRUST_200600_302600_NS17counting_iteratorIjNS8_11use_defaultESA_SA_EENS8_6detail15normal_iteratorINS8_10device_ptrIjEEEEZNS1_13binary_searchIS3_S5_SG_SB_SG_NS1_21upper_bound_search_opENSC_16wrapped_functionINS0_4lessIvEEbEEEE10hipError_tPvRmT1_T2_T3_mmT4_T5_P12ihipStream_tbEUlRKjE_EESN_SR_SS_mST_SW_bEUlT_E_NS1_11comp_targetILNS1_3genE10ELNS1_11target_archE1201ELNS1_3gpuE5ELNS1_3repE0EEENS1_30default_config_static_selectorELNS0_4arch9wavefront6targetE0EEEvSQ_,@function
_ZN7rocprim17ROCPRIM_400000_NS6detail17trampoline_kernelINS0_14default_configENS1_27upper_bound_config_selectorIjjEEZNS1_14transform_implILb0ES3_S5_N6thrust23THRUST_200600_302600_NS17counting_iteratorIjNS8_11use_defaultESA_SA_EENS8_6detail15normal_iteratorINS8_10device_ptrIjEEEEZNS1_13binary_searchIS3_S5_SG_SB_SG_NS1_21upper_bound_search_opENSC_16wrapped_functionINS0_4lessIvEEbEEEE10hipError_tPvRmT1_T2_T3_mmT4_T5_P12ihipStream_tbEUlRKjE_EESN_SR_SS_mST_SW_bEUlT_E_NS1_11comp_targetILNS1_3genE10ELNS1_11target_archE1201ELNS1_3gpuE5ELNS1_3repE0EEENS1_30default_config_static_selectorELNS0_4arch9wavefront6targetE0EEEvSQ_: ; @_ZN7rocprim17ROCPRIM_400000_NS6detail17trampoline_kernelINS0_14default_configENS1_27upper_bound_config_selectorIjjEEZNS1_14transform_implILb0ES3_S5_N6thrust23THRUST_200600_302600_NS17counting_iteratorIjNS8_11use_defaultESA_SA_EENS8_6detail15normal_iteratorINS8_10device_ptrIjEEEEZNS1_13binary_searchIS3_S5_SG_SB_SG_NS1_21upper_bound_search_opENSC_16wrapped_functionINS0_4lessIvEEbEEEE10hipError_tPvRmT1_T2_T3_mmT4_T5_P12ihipStream_tbEUlRKjE_EESN_SR_SS_mST_SW_bEUlT_E_NS1_11comp_targetILNS1_3genE10ELNS1_11target_archE1201ELNS1_3gpuE5ELNS1_3repE0EEENS1_30default_config_static_selectorELNS0_4arch9wavefront6targetE0EEEvSQ_
; %bb.0:
	.section	.rodata,"a",@progbits
	.p2align	6, 0x0
	.amdhsa_kernel _ZN7rocprim17ROCPRIM_400000_NS6detail17trampoline_kernelINS0_14default_configENS1_27upper_bound_config_selectorIjjEEZNS1_14transform_implILb0ES3_S5_N6thrust23THRUST_200600_302600_NS17counting_iteratorIjNS8_11use_defaultESA_SA_EENS8_6detail15normal_iteratorINS8_10device_ptrIjEEEEZNS1_13binary_searchIS3_S5_SG_SB_SG_NS1_21upper_bound_search_opENSC_16wrapped_functionINS0_4lessIvEEbEEEE10hipError_tPvRmT1_T2_T3_mmT4_T5_P12ihipStream_tbEUlRKjE_EESN_SR_SS_mST_SW_bEUlT_E_NS1_11comp_targetILNS1_3genE10ELNS1_11target_archE1201ELNS1_3gpuE5ELNS1_3repE0EEENS1_30default_config_static_selectorELNS0_4arch9wavefront6targetE0EEEvSQ_
		.amdhsa_group_segment_fixed_size 0
		.amdhsa_private_segment_fixed_size 0
		.amdhsa_kernarg_size 56
		.amdhsa_user_sgpr_count 6
		.amdhsa_user_sgpr_private_segment_buffer 1
		.amdhsa_user_sgpr_dispatch_ptr 0
		.amdhsa_user_sgpr_queue_ptr 0
		.amdhsa_user_sgpr_kernarg_segment_ptr 1
		.amdhsa_user_sgpr_dispatch_id 0
		.amdhsa_user_sgpr_flat_scratch_init 0
		.amdhsa_user_sgpr_private_segment_size 0
		.amdhsa_wavefront_size32 1
		.amdhsa_uses_dynamic_stack 0
		.amdhsa_system_sgpr_private_segment_wavefront_offset 0
		.amdhsa_system_sgpr_workgroup_id_x 1
		.amdhsa_system_sgpr_workgroup_id_y 0
		.amdhsa_system_sgpr_workgroup_id_z 0
		.amdhsa_system_sgpr_workgroup_info 0
		.amdhsa_system_vgpr_workitem_id 0
		.amdhsa_next_free_vgpr 1
		.amdhsa_next_free_sgpr 1
		.amdhsa_reserve_vcc 0
		.amdhsa_reserve_flat_scratch 0
		.amdhsa_float_round_mode_32 0
		.amdhsa_float_round_mode_16_64 0
		.amdhsa_float_denorm_mode_32 3
		.amdhsa_float_denorm_mode_16_64 3
		.amdhsa_dx10_clamp 1
		.amdhsa_ieee_mode 1
		.amdhsa_fp16_overflow 0
		.amdhsa_workgroup_processor_mode 1
		.amdhsa_memory_ordered 1
		.amdhsa_forward_progress 1
		.amdhsa_shared_vgpr_count 0
		.amdhsa_exception_fp_ieee_invalid_op 0
		.amdhsa_exception_fp_denorm_src 0
		.amdhsa_exception_fp_ieee_div_zero 0
		.amdhsa_exception_fp_ieee_overflow 0
		.amdhsa_exception_fp_ieee_underflow 0
		.amdhsa_exception_fp_ieee_inexact 0
		.amdhsa_exception_int_div_zero 0
	.end_amdhsa_kernel
	.section	.text._ZN7rocprim17ROCPRIM_400000_NS6detail17trampoline_kernelINS0_14default_configENS1_27upper_bound_config_selectorIjjEEZNS1_14transform_implILb0ES3_S5_N6thrust23THRUST_200600_302600_NS17counting_iteratorIjNS8_11use_defaultESA_SA_EENS8_6detail15normal_iteratorINS8_10device_ptrIjEEEEZNS1_13binary_searchIS3_S5_SG_SB_SG_NS1_21upper_bound_search_opENSC_16wrapped_functionINS0_4lessIvEEbEEEE10hipError_tPvRmT1_T2_T3_mmT4_T5_P12ihipStream_tbEUlRKjE_EESN_SR_SS_mST_SW_bEUlT_E_NS1_11comp_targetILNS1_3genE10ELNS1_11target_archE1201ELNS1_3gpuE5ELNS1_3repE0EEENS1_30default_config_static_selectorELNS0_4arch9wavefront6targetE0EEEvSQ_,"axG",@progbits,_ZN7rocprim17ROCPRIM_400000_NS6detail17trampoline_kernelINS0_14default_configENS1_27upper_bound_config_selectorIjjEEZNS1_14transform_implILb0ES3_S5_N6thrust23THRUST_200600_302600_NS17counting_iteratorIjNS8_11use_defaultESA_SA_EENS8_6detail15normal_iteratorINS8_10device_ptrIjEEEEZNS1_13binary_searchIS3_S5_SG_SB_SG_NS1_21upper_bound_search_opENSC_16wrapped_functionINS0_4lessIvEEbEEEE10hipError_tPvRmT1_T2_T3_mmT4_T5_P12ihipStream_tbEUlRKjE_EESN_SR_SS_mST_SW_bEUlT_E_NS1_11comp_targetILNS1_3genE10ELNS1_11target_archE1201ELNS1_3gpuE5ELNS1_3repE0EEENS1_30default_config_static_selectorELNS0_4arch9wavefront6targetE0EEEvSQ_,comdat
.Lfunc_end244:
	.size	_ZN7rocprim17ROCPRIM_400000_NS6detail17trampoline_kernelINS0_14default_configENS1_27upper_bound_config_selectorIjjEEZNS1_14transform_implILb0ES3_S5_N6thrust23THRUST_200600_302600_NS17counting_iteratorIjNS8_11use_defaultESA_SA_EENS8_6detail15normal_iteratorINS8_10device_ptrIjEEEEZNS1_13binary_searchIS3_S5_SG_SB_SG_NS1_21upper_bound_search_opENSC_16wrapped_functionINS0_4lessIvEEbEEEE10hipError_tPvRmT1_T2_T3_mmT4_T5_P12ihipStream_tbEUlRKjE_EESN_SR_SS_mST_SW_bEUlT_E_NS1_11comp_targetILNS1_3genE10ELNS1_11target_archE1201ELNS1_3gpuE5ELNS1_3repE0EEENS1_30default_config_static_selectorELNS0_4arch9wavefront6targetE0EEEvSQ_, .Lfunc_end244-_ZN7rocprim17ROCPRIM_400000_NS6detail17trampoline_kernelINS0_14default_configENS1_27upper_bound_config_selectorIjjEEZNS1_14transform_implILb0ES3_S5_N6thrust23THRUST_200600_302600_NS17counting_iteratorIjNS8_11use_defaultESA_SA_EENS8_6detail15normal_iteratorINS8_10device_ptrIjEEEEZNS1_13binary_searchIS3_S5_SG_SB_SG_NS1_21upper_bound_search_opENSC_16wrapped_functionINS0_4lessIvEEbEEEE10hipError_tPvRmT1_T2_T3_mmT4_T5_P12ihipStream_tbEUlRKjE_EESN_SR_SS_mST_SW_bEUlT_E_NS1_11comp_targetILNS1_3genE10ELNS1_11target_archE1201ELNS1_3gpuE5ELNS1_3repE0EEENS1_30default_config_static_selectorELNS0_4arch9wavefront6targetE0EEEvSQ_
                                        ; -- End function
	.set _ZN7rocprim17ROCPRIM_400000_NS6detail17trampoline_kernelINS0_14default_configENS1_27upper_bound_config_selectorIjjEEZNS1_14transform_implILb0ES3_S5_N6thrust23THRUST_200600_302600_NS17counting_iteratorIjNS8_11use_defaultESA_SA_EENS8_6detail15normal_iteratorINS8_10device_ptrIjEEEEZNS1_13binary_searchIS3_S5_SG_SB_SG_NS1_21upper_bound_search_opENSC_16wrapped_functionINS0_4lessIvEEbEEEE10hipError_tPvRmT1_T2_T3_mmT4_T5_P12ihipStream_tbEUlRKjE_EESN_SR_SS_mST_SW_bEUlT_E_NS1_11comp_targetILNS1_3genE10ELNS1_11target_archE1201ELNS1_3gpuE5ELNS1_3repE0EEENS1_30default_config_static_selectorELNS0_4arch9wavefront6targetE0EEEvSQ_.num_vgpr, 0
	.set _ZN7rocprim17ROCPRIM_400000_NS6detail17trampoline_kernelINS0_14default_configENS1_27upper_bound_config_selectorIjjEEZNS1_14transform_implILb0ES3_S5_N6thrust23THRUST_200600_302600_NS17counting_iteratorIjNS8_11use_defaultESA_SA_EENS8_6detail15normal_iteratorINS8_10device_ptrIjEEEEZNS1_13binary_searchIS3_S5_SG_SB_SG_NS1_21upper_bound_search_opENSC_16wrapped_functionINS0_4lessIvEEbEEEE10hipError_tPvRmT1_T2_T3_mmT4_T5_P12ihipStream_tbEUlRKjE_EESN_SR_SS_mST_SW_bEUlT_E_NS1_11comp_targetILNS1_3genE10ELNS1_11target_archE1201ELNS1_3gpuE5ELNS1_3repE0EEENS1_30default_config_static_selectorELNS0_4arch9wavefront6targetE0EEEvSQ_.num_agpr, 0
	.set _ZN7rocprim17ROCPRIM_400000_NS6detail17trampoline_kernelINS0_14default_configENS1_27upper_bound_config_selectorIjjEEZNS1_14transform_implILb0ES3_S5_N6thrust23THRUST_200600_302600_NS17counting_iteratorIjNS8_11use_defaultESA_SA_EENS8_6detail15normal_iteratorINS8_10device_ptrIjEEEEZNS1_13binary_searchIS3_S5_SG_SB_SG_NS1_21upper_bound_search_opENSC_16wrapped_functionINS0_4lessIvEEbEEEE10hipError_tPvRmT1_T2_T3_mmT4_T5_P12ihipStream_tbEUlRKjE_EESN_SR_SS_mST_SW_bEUlT_E_NS1_11comp_targetILNS1_3genE10ELNS1_11target_archE1201ELNS1_3gpuE5ELNS1_3repE0EEENS1_30default_config_static_selectorELNS0_4arch9wavefront6targetE0EEEvSQ_.numbered_sgpr, 0
	.set _ZN7rocprim17ROCPRIM_400000_NS6detail17trampoline_kernelINS0_14default_configENS1_27upper_bound_config_selectorIjjEEZNS1_14transform_implILb0ES3_S5_N6thrust23THRUST_200600_302600_NS17counting_iteratorIjNS8_11use_defaultESA_SA_EENS8_6detail15normal_iteratorINS8_10device_ptrIjEEEEZNS1_13binary_searchIS3_S5_SG_SB_SG_NS1_21upper_bound_search_opENSC_16wrapped_functionINS0_4lessIvEEbEEEE10hipError_tPvRmT1_T2_T3_mmT4_T5_P12ihipStream_tbEUlRKjE_EESN_SR_SS_mST_SW_bEUlT_E_NS1_11comp_targetILNS1_3genE10ELNS1_11target_archE1201ELNS1_3gpuE5ELNS1_3repE0EEENS1_30default_config_static_selectorELNS0_4arch9wavefront6targetE0EEEvSQ_.num_named_barrier, 0
	.set _ZN7rocprim17ROCPRIM_400000_NS6detail17trampoline_kernelINS0_14default_configENS1_27upper_bound_config_selectorIjjEEZNS1_14transform_implILb0ES3_S5_N6thrust23THRUST_200600_302600_NS17counting_iteratorIjNS8_11use_defaultESA_SA_EENS8_6detail15normal_iteratorINS8_10device_ptrIjEEEEZNS1_13binary_searchIS3_S5_SG_SB_SG_NS1_21upper_bound_search_opENSC_16wrapped_functionINS0_4lessIvEEbEEEE10hipError_tPvRmT1_T2_T3_mmT4_T5_P12ihipStream_tbEUlRKjE_EESN_SR_SS_mST_SW_bEUlT_E_NS1_11comp_targetILNS1_3genE10ELNS1_11target_archE1201ELNS1_3gpuE5ELNS1_3repE0EEENS1_30default_config_static_selectorELNS0_4arch9wavefront6targetE0EEEvSQ_.private_seg_size, 0
	.set _ZN7rocprim17ROCPRIM_400000_NS6detail17trampoline_kernelINS0_14default_configENS1_27upper_bound_config_selectorIjjEEZNS1_14transform_implILb0ES3_S5_N6thrust23THRUST_200600_302600_NS17counting_iteratorIjNS8_11use_defaultESA_SA_EENS8_6detail15normal_iteratorINS8_10device_ptrIjEEEEZNS1_13binary_searchIS3_S5_SG_SB_SG_NS1_21upper_bound_search_opENSC_16wrapped_functionINS0_4lessIvEEbEEEE10hipError_tPvRmT1_T2_T3_mmT4_T5_P12ihipStream_tbEUlRKjE_EESN_SR_SS_mST_SW_bEUlT_E_NS1_11comp_targetILNS1_3genE10ELNS1_11target_archE1201ELNS1_3gpuE5ELNS1_3repE0EEENS1_30default_config_static_selectorELNS0_4arch9wavefront6targetE0EEEvSQ_.uses_vcc, 0
	.set _ZN7rocprim17ROCPRIM_400000_NS6detail17trampoline_kernelINS0_14default_configENS1_27upper_bound_config_selectorIjjEEZNS1_14transform_implILb0ES3_S5_N6thrust23THRUST_200600_302600_NS17counting_iteratorIjNS8_11use_defaultESA_SA_EENS8_6detail15normal_iteratorINS8_10device_ptrIjEEEEZNS1_13binary_searchIS3_S5_SG_SB_SG_NS1_21upper_bound_search_opENSC_16wrapped_functionINS0_4lessIvEEbEEEE10hipError_tPvRmT1_T2_T3_mmT4_T5_P12ihipStream_tbEUlRKjE_EESN_SR_SS_mST_SW_bEUlT_E_NS1_11comp_targetILNS1_3genE10ELNS1_11target_archE1201ELNS1_3gpuE5ELNS1_3repE0EEENS1_30default_config_static_selectorELNS0_4arch9wavefront6targetE0EEEvSQ_.uses_flat_scratch, 0
	.set _ZN7rocprim17ROCPRIM_400000_NS6detail17trampoline_kernelINS0_14default_configENS1_27upper_bound_config_selectorIjjEEZNS1_14transform_implILb0ES3_S5_N6thrust23THRUST_200600_302600_NS17counting_iteratorIjNS8_11use_defaultESA_SA_EENS8_6detail15normal_iteratorINS8_10device_ptrIjEEEEZNS1_13binary_searchIS3_S5_SG_SB_SG_NS1_21upper_bound_search_opENSC_16wrapped_functionINS0_4lessIvEEbEEEE10hipError_tPvRmT1_T2_T3_mmT4_T5_P12ihipStream_tbEUlRKjE_EESN_SR_SS_mST_SW_bEUlT_E_NS1_11comp_targetILNS1_3genE10ELNS1_11target_archE1201ELNS1_3gpuE5ELNS1_3repE0EEENS1_30default_config_static_selectorELNS0_4arch9wavefront6targetE0EEEvSQ_.has_dyn_sized_stack, 0
	.set _ZN7rocprim17ROCPRIM_400000_NS6detail17trampoline_kernelINS0_14default_configENS1_27upper_bound_config_selectorIjjEEZNS1_14transform_implILb0ES3_S5_N6thrust23THRUST_200600_302600_NS17counting_iteratorIjNS8_11use_defaultESA_SA_EENS8_6detail15normal_iteratorINS8_10device_ptrIjEEEEZNS1_13binary_searchIS3_S5_SG_SB_SG_NS1_21upper_bound_search_opENSC_16wrapped_functionINS0_4lessIvEEbEEEE10hipError_tPvRmT1_T2_T3_mmT4_T5_P12ihipStream_tbEUlRKjE_EESN_SR_SS_mST_SW_bEUlT_E_NS1_11comp_targetILNS1_3genE10ELNS1_11target_archE1201ELNS1_3gpuE5ELNS1_3repE0EEENS1_30default_config_static_selectorELNS0_4arch9wavefront6targetE0EEEvSQ_.has_recursion, 0
	.set _ZN7rocprim17ROCPRIM_400000_NS6detail17trampoline_kernelINS0_14default_configENS1_27upper_bound_config_selectorIjjEEZNS1_14transform_implILb0ES3_S5_N6thrust23THRUST_200600_302600_NS17counting_iteratorIjNS8_11use_defaultESA_SA_EENS8_6detail15normal_iteratorINS8_10device_ptrIjEEEEZNS1_13binary_searchIS3_S5_SG_SB_SG_NS1_21upper_bound_search_opENSC_16wrapped_functionINS0_4lessIvEEbEEEE10hipError_tPvRmT1_T2_T3_mmT4_T5_P12ihipStream_tbEUlRKjE_EESN_SR_SS_mST_SW_bEUlT_E_NS1_11comp_targetILNS1_3genE10ELNS1_11target_archE1201ELNS1_3gpuE5ELNS1_3repE0EEENS1_30default_config_static_selectorELNS0_4arch9wavefront6targetE0EEEvSQ_.has_indirect_call, 0
	.section	.AMDGPU.csdata,"",@progbits
; Kernel info:
; codeLenInByte = 0
; TotalNumSgprs: 0
; NumVgprs: 0
; ScratchSize: 0
; MemoryBound: 0
; FloatMode: 240
; IeeeMode: 1
; LDSByteSize: 0 bytes/workgroup (compile time only)
; SGPRBlocks: 0
; VGPRBlocks: 0
; NumSGPRsForWavesPerEU: 1
; NumVGPRsForWavesPerEU: 1
; Occupancy: 16
; WaveLimiterHint : 0
; COMPUTE_PGM_RSRC2:SCRATCH_EN: 0
; COMPUTE_PGM_RSRC2:USER_SGPR: 6
; COMPUTE_PGM_RSRC2:TRAP_HANDLER: 0
; COMPUTE_PGM_RSRC2:TGID_X_EN: 1
; COMPUTE_PGM_RSRC2:TGID_Y_EN: 0
; COMPUTE_PGM_RSRC2:TGID_Z_EN: 0
; COMPUTE_PGM_RSRC2:TIDIG_COMP_CNT: 0
	.section	.text._ZN7rocprim17ROCPRIM_400000_NS6detail17trampoline_kernelINS0_14default_configENS1_27upper_bound_config_selectorIjjEEZNS1_14transform_implILb0ES3_S5_N6thrust23THRUST_200600_302600_NS17counting_iteratorIjNS8_11use_defaultESA_SA_EENS8_6detail15normal_iteratorINS8_10device_ptrIjEEEEZNS1_13binary_searchIS3_S5_SG_SB_SG_NS1_21upper_bound_search_opENSC_16wrapped_functionINS0_4lessIvEEbEEEE10hipError_tPvRmT1_T2_T3_mmT4_T5_P12ihipStream_tbEUlRKjE_EESN_SR_SS_mST_SW_bEUlT_E_NS1_11comp_targetILNS1_3genE10ELNS1_11target_archE1200ELNS1_3gpuE4ELNS1_3repE0EEENS1_30default_config_static_selectorELNS0_4arch9wavefront6targetE0EEEvSQ_,"axG",@progbits,_ZN7rocprim17ROCPRIM_400000_NS6detail17trampoline_kernelINS0_14default_configENS1_27upper_bound_config_selectorIjjEEZNS1_14transform_implILb0ES3_S5_N6thrust23THRUST_200600_302600_NS17counting_iteratorIjNS8_11use_defaultESA_SA_EENS8_6detail15normal_iteratorINS8_10device_ptrIjEEEEZNS1_13binary_searchIS3_S5_SG_SB_SG_NS1_21upper_bound_search_opENSC_16wrapped_functionINS0_4lessIvEEbEEEE10hipError_tPvRmT1_T2_T3_mmT4_T5_P12ihipStream_tbEUlRKjE_EESN_SR_SS_mST_SW_bEUlT_E_NS1_11comp_targetILNS1_3genE10ELNS1_11target_archE1200ELNS1_3gpuE4ELNS1_3repE0EEENS1_30default_config_static_selectorELNS0_4arch9wavefront6targetE0EEEvSQ_,comdat
	.protected	_ZN7rocprim17ROCPRIM_400000_NS6detail17trampoline_kernelINS0_14default_configENS1_27upper_bound_config_selectorIjjEEZNS1_14transform_implILb0ES3_S5_N6thrust23THRUST_200600_302600_NS17counting_iteratorIjNS8_11use_defaultESA_SA_EENS8_6detail15normal_iteratorINS8_10device_ptrIjEEEEZNS1_13binary_searchIS3_S5_SG_SB_SG_NS1_21upper_bound_search_opENSC_16wrapped_functionINS0_4lessIvEEbEEEE10hipError_tPvRmT1_T2_T3_mmT4_T5_P12ihipStream_tbEUlRKjE_EESN_SR_SS_mST_SW_bEUlT_E_NS1_11comp_targetILNS1_3genE10ELNS1_11target_archE1200ELNS1_3gpuE4ELNS1_3repE0EEENS1_30default_config_static_selectorELNS0_4arch9wavefront6targetE0EEEvSQ_ ; -- Begin function _ZN7rocprim17ROCPRIM_400000_NS6detail17trampoline_kernelINS0_14default_configENS1_27upper_bound_config_selectorIjjEEZNS1_14transform_implILb0ES3_S5_N6thrust23THRUST_200600_302600_NS17counting_iteratorIjNS8_11use_defaultESA_SA_EENS8_6detail15normal_iteratorINS8_10device_ptrIjEEEEZNS1_13binary_searchIS3_S5_SG_SB_SG_NS1_21upper_bound_search_opENSC_16wrapped_functionINS0_4lessIvEEbEEEE10hipError_tPvRmT1_T2_T3_mmT4_T5_P12ihipStream_tbEUlRKjE_EESN_SR_SS_mST_SW_bEUlT_E_NS1_11comp_targetILNS1_3genE10ELNS1_11target_archE1200ELNS1_3gpuE4ELNS1_3repE0EEENS1_30default_config_static_selectorELNS0_4arch9wavefront6targetE0EEEvSQ_
	.globl	_ZN7rocprim17ROCPRIM_400000_NS6detail17trampoline_kernelINS0_14default_configENS1_27upper_bound_config_selectorIjjEEZNS1_14transform_implILb0ES3_S5_N6thrust23THRUST_200600_302600_NS17counting_iteratorIjNS8_11use_defaultESA_SA_EENS8_6detail15normal_iteratorINS8_10device_ptrIjEEEEZNS1_13binary_searchIS3_S5_SG_SB_SG_NS1_21upper_bound_search_opENSC_16wrapped_functionINS0_4lessIvEEbEEEE10hipError_tPvRmT1_T2_T3_mmT4_T5_P12ihipStream_tbEUlRKjE_EESN_SR_SS_mST_SW_bEUlT_E_NS1_11comp_targetILNS1_3genE10ELNS1_11target_archE1200ELNS1_3gpuE4ELNS1_3repE0EEENS1_30default_config_static_selectorELNS0_4arch9wavefront6targetE0EEEvSQ_
	.p2align	8
	.type	_ZN7rocprim17ROCPRIM_400000_NS6detail17trampoline_kernelINS0_14default_configENS1_27upper_bound_config_selectorIjjEEZNS1_14transform_implILb0ES3_S5_N6thrust23THRUST_200600_302600_NS17counting_iteratorIjNS8_11use_defaultESA_SA_EENS8_6detail15normal_iteratorINS8_10device_ptrIjEEEEZNS1_13binary_searchIS3_S5_SG_SB_SG_NS1_21upper_bound_search_opENSC_16wrapped_functionINS0_4lessIvEEbEEEE10hipError_tPvRmT1_T2_T3_mmT4_T5_P12ihipStream_tbEUlRKjE_EESN_SR_SS_mST_SW_bEUlT_E_NS1_11comp_targetILNS1_3genE10ELNS1_11target_archE1200ELNS1_3gpuE4ELNS1_3repE0EEENS1_30default_config_static_selectorELNS0_4arch9wavefront6targetE0EEEvSQ_,@function
_ZN7rocprim17ROCPRIM_400000_NS6detail17trampoline_kernelINS0_14default_configENS1_27upper_bound_config_selectorIjjEEZNS1_14transform_implILb0ES3_S5_N6thrust23THRUST_200600_302600_NS17counting_iteratorIjNS8_11use_defaultESA_SA_EENS8_6detail15normal_iteratorINS8_10device_ptrIjEEEEZNS1_13binary_searchIS3_S5_SG_SB_SG_NS1_21upper_bound_search_opENSC_16wrapped_functionINS0_4lessIvEEbEEEE10hipError_tPvRmT1_T2_T3_mmT4_T5_P12ihipStream_tbEUlRKjE_EESN_SR_SS_mST_SW_bEUlT_E_NS1_11comp_targetILNS1_3genE10ELNS1_11target_archE1200ELNS1_3gpuE4ELNS1_3repE0EEENS1_30default_config_static_selectorELNS0_4arch9wavefront6targetE0EEEvSQ_: ; @_ZN7rocprim17ROCPRIM_400000_NS6detail17trampoline_kernelINS0_14default_configENS1_27upper_bound_config_selectorIjjEEZNS1_14transform_implILb0ES3_S5_N6thrust23THRUST_200600_302600_NS17counting_iteratorIjNS8_11use_defaultESA_SA_EENS8_6detail15normal_iteratorINS8_10device_ptrIjEEEEZNS1_13binary_searchIS3_S5_SG_SB_SG_NS1_21upper_bound_search_opENSC_16wrapped_functionINS0_4lessIvEEbEEEE10hipError_tPvRmT1_T2_T3_mmT4_T5_P12ihipStream_tbEUlRKjE_EESN_SR_SS_mST_SW_bEUlT_E_NS1_11comp_targetILNS1_3genE10ELNS1_11target_archE1200ELNS1_3gpuE4ELNS1_3repE0EEENS1_30default_config_static_selectorELNS0_4arch9wavefront6targetE0EEEvSQ_
; %bb.0:
	.section	.rodata,"a",@progbits
	.p2align	6, 0x0
	.amdhsa_kernel _ZN7rocprim17ROCPRIM_400000_NS6detail17trampoline_kernelINS0_14default_configENS1_27upper_bound_config_selectorIjjEEZNS1_14transform_implILb0ES3_S5_N6thrust23THRUST_200600_302600_NS17counting_iteratorIjNS8_11use_defaultESA_SA_EENS8_6detail15normal_iteratorINS8_10device_ptrIjEEEEZNS1_13binary_searchIS3_S5_SG_SB_SG_NS1_21upper_bound_search_opENSC_16wrapped_functionINS0_4lessIvEEbEEEE10hipError_tPvRmT1_T2_T3_mmT4_T5_P12ihipStream_tbEUlRKjE_EESN_SR_SS_mST_SW_bEUlT_E_NS1_11comp_targetILNS1_3genE10ELNS1_11target_archE1200ELNS1_3gpuE4ELNS1_3repE0EEENS1_30default_config_static_selectorELNS0_4arch9wavefront6targetE0EEEvSQ_
		.amdhsa_group_segment_fixed_size 0
		.amdhsa_private_segment_fixed_size 0
		.amdhsa_kernarg_size 56
		.amdhsa_user_sgpr_count 6
		.amdhsa_user_sgpr_private_segment_buffer 1
		.amdhsa_user_sgpr_dispatch_ptr 0
		.amdhsa_user_sgpr_queue_ptr 0
		.amdhsa_user_sgpr_kernarg_segment_ptr 1
		.amdhsa_user_sgpr_dispatch_id 0
		.amdhsa_user_sgpr_flat_scratch_init 0
		.amdhsa_user_sgpr_private_segment_size 0
		.amdhsa_wavefront_size32 1
		.amdhsa_uses_dynamic_stack 0
		.amdhsa_system_sgpr_private_segment_wavefront_offset 0
		.amdhsa_system_sgpr_workgroup_id_x 1
		.amdhsa_system_sgpr_workgroup_id_y 0
		.amdhsa_system_sgpr_workgroup_id_z 0
		.amdhsa_system_sgpr_workgroup_info 0
		.amdhsa_system_vgpr_workitem_id 0
		.amdhsa_next_free_vgpr 1
		.amdhsa_next_free_sgpr 1
		.amdhsa_reserve_vcc 0
		.amdhsa_reserve_flat_scratch 0
		.amdhsa_float_round_mode_32 0
		.amdhsa_float_round_mode_16_64 0
		.amdhsa_float_denorm_mode_32 3
		.amdhsa_float_denorm_mode_16_64 3
		.amdhsa_dx10_clamp 1
		.amdhsa_ieee_mode 1
		.amdhsa_fp16_overflow 0
		.amdhsa_workgroup_processor_mode 1
		.amdhsa_memory_ordered 1
		.amdhsa_forward_progress 1
		.amdhsa_shared_vgpr_count 0
		.amdhsa_exception_fp_ieee_invalid_op 0
		.amdhsa_exception_fp_denorm_src 0
		.amdhsa_exception_fp_ieee_div_zero 0
		.amdhsa_exception_fp_ieee_overflow 0
		.amdhsa_exception_fp_ieee_underflow 0
		.amdhsa_exception_fp_ieee_inexact 0
		.amdhsa_exception_int_div_zero 0
	.end_amdhsa_kernel
	.section	.text._ZN7rocprim17ROCPRIM_400000_NS6detail17trampoline_kernelINS0_14default_configENS1_27upper_bound_config_selectorIjjEEZNS1_14transform_implILb0ES3_S5_N6thrust23THRUST_200600_302600_NS17counting_iteratorIjNS8_11use_defaultESA_SA_EENS8_6detail15normal_iteratorINS8_10device_ptrIjEEEEZNS1_13binary_searchIS3_S5_SG_SB_SG_NS1_21upper_bound_search_opENSC_16wrapped_functionINS0_4lessIvEEbEEEE10hipError_tPvRmT1_T2_T3_mmT4_T5_P12ihipStream_tbEUlRKjE_EESN_SR_SS_mST_SW_bEUlT_E_NS1_11comp_targetILNS1_3genE10ELNS1_11target_archE1200ELNS1_3gpuE4ELNS1_3repE0EEENS1_30default_config_static_selectorELNS0_4arch9wavefront6targetE0EEEvSQ_,"axG",@progbits,_ZN7rocprim17ROCPRIM_400000_NS6detail17trampoline_kernelINS0_14default_configENS1_27upper_bound_config_selectorIjjEEZNS1_14transform_implILb0ES3_S5_N6thrust23THRUST_200600_302600_NS17counting_iteratorIjNS8_11use_defaultESA_SA_EENS8_6detail15normal_iteratorINS8_10device_ptrIjEEEEZNS1_13binary_searchIS3_S5_SG_SB_SG_NS1_21upper_bound_search_opENSC_16wrapped_functionINS0_4lessIvEEbEEEE10hipError_tPvRmT1_T2_T3_mmT4_T5_P12ihipStream_tbEUlRKjE_EESN_SR_SS_mST_SW_bEUlT_E_NS1_11comp_targetILNS1_3genE10ELNS1_11target_archE1200ELNS1_3gpuE4ELNS1_3repE0EEENS1_30default_config_static_selectorELNS0_4arch9wavefront6targetE0EEEvSQ_,comdat
.Lfunc_end245:
	.size	_ZN7rocprim17ROCPRIM_400000_NS6detail17trampoline_kernelINS0_14default_configENS1_27upper_bound_config_selectorIjjEEZNS1_14transform_implILb0ES3_S5_N6thrust23THRUST_200600_302600_NS17counting_iteratorIjNS8_11use_defaultESA_SA_EENS8_6detail15normal_iteratorINS8_10device_ptrIjEEEEZNS1_13binary_searchIS3_S5_SG_SB_SG_NS1_21upper_bound_search_opENSC_16wrapped_functionINS0_4lessIvEEbEEEE10hipError_tPvRmT1_T2_T3_mmT4_T5_P12ihipStream_tbEUlRKjE_EESN_SR_SS_mST_SW_bEUlT_E_NS1_11comp_targetILNS1_3genE10ELNS1_11target_archE1200ELNS1_3gpuE4ELNS1_3repE0EEENS1_30default_config_static_selectorELNS0_4arch9wavefront6targetE0EEEvSQ_, .Lfunc_end245-_ZN7rocprim17ROCPRIM_400000_NS6detail17trampoline_kernelINS0_14default_configENS1_27upper_bound_config_selectorIjjEEZNS1_14transform_implILb0ES3_S5_N6thrust23THRUST_200600_302600_NS17counting_iteratorIjNS8_11use_defaultESA_SA_EENS8_6detail15normal_iteratorINS8_10device_ptrIjEEEEZNS1_13binary_searchIS3_S5_SG_SB_SG_NS1_21upper_bound_search_opENSC_16wrapped_functionINS0_4lessIvEEbEEEE10hipError_tPvRmT1_T2_T3_mmT4_T5_P12ihipStream_tbEUlRKjE_EESN_SR_SS_mST_SW_bEUlT_E_NS1_11comp_targetILNS1_3genE10ELNS1_11target_archE1200ELNS1_3gpuE4ELNS1_3repE0EEENS1_30default_config_static_selectorELNS0_4arch9wavefront6targetE0EEEvSQ_
                                        ; -- End function
	.set _ZN7rocprim17ROCPRIM_400000_NS6detail17trampoline_kernelINS0_14default_configENS1_27upper_bound_config_selectorIjjEEZNS1_14transform_implILb0ES3_S5_N6thrust23THRUST_200600_302600_NS17counting_iteratorIjNS8_11use_defaultESA_SA_EENS8_6detail15normal_iteratorINS8_10device_ptrIjEEEEZNS1_13binary_searchIS3_S5_SG_SB_SG_NS1_21upper_bound_search_opENSC_16wrapped_functionINS0_4lessIvEEbEEEE10hipError_tPvRmT1_T2_T3_mmT4_T5_P12ihipStream_tbEUlRKjE_EESN_SR_SS_mST_SW_bEUlT_E_NS1_11comp_targetILNS1_3genE10ELNS1_11target_archE1200ELNS1_3gpuE4ELNS1_3repE0EEENS1_30default_config_static_selectorELNS0_4arch9wavefront6targetE0EEEvSQ_.num_vgpr, 0
	.set _ZN7rocprim17ROCPRIM_400000_NS6detail17trampoline_kernelINS0_14default_configENS1_27upper_bound_config_selectorIjjEEZNS1_14transform_implILb0ES3_S5_N6thrust23THRUST_200600_302600_NS17counting_iteratorIjNS8_11use_defaultESA_SA_EENS8_6detail15normal_iteratorINS8_10device_ptrIjEEEEZNS1_13binary_searchIS3_S5_SG_SB_SG_NS1_21upper_bound_search_opENSC_16wrapped_functionINS0_4lessIvEEbEEEE10hipError_tPvRmT1_T2_T3_mmT4_T5_P12ihipStream_tbEUlRKjE_EESN_SR_SS_mST_SW_bEUlT_E_NS1_11comp_targetILNS1_3genE10ELNS1_11target_archE1200ELNS1_3gpuE4ELNS1_3repE0EEENS1_30default_config_static_selectorELNS0_4arch9wavefront6targetE0EEEvSQ_.num_agpr, 0
	.set _ZN7rocprim17ROCPRIM_400000_NS6detail17trampoline_kernelINS0_14default_configENS1_27upper_bound_config_selectorIjjEEZNS1_14transform_implILb0ES3_S5_N6thrust23THRUST_200600_302600_NS17counting_iteratorIjNS8_11use_defaultESA_SA_EENS8_6detail15normal_iteratorINS8_10device_ptrIjEEEEZNS1_13binary_searchIS3_S5_SG_SB_SG_NS1_21upper_bound_search_opENSC_16wrapped_functionINS0_4lessIvEEbEEEE10hipError_tPvRmT1_T2_T3_mmT4_T5_P12ihipStream_tbEUlRKjE_EESN_SR_SS_mST_SW_bEUlT_E_NS1_11comp_targetILNS1_3genE10ELNS1_11target_archE1200ELNS1_3gpuE4ELNS1_3repE0EEENS1_30default_config_static_selectorELNS0_4arch9wavefront6targetE0EEEvSQ_.numbered_sgpr, 0
	.set _ZN7rocprim17ROCPRIM_400000_NS6detail17trampoline_kernelINS0_14default_configENS1_27upper_bound_config_selectorIjjEEZNS1_14transform_implILb0ES3_S5_N6thrust23THRUST_200600_302600_NS17counting_iteratorIjNS8_11use_defaultESA_SA_EENS8_6detail15normal_iteratorINS8_10device_ptrIjEEEEZNS1_13binary_searchIS3_S5_SG_SB_SG_NS1_21upper_bound_search_opENSC_16wrapped_functionINS0_4lessIvEEbEEEE10hipError_tPvRmT1_T2_T3_mmT4_T5_P12ihipStream_tbEUlRKjE_EESN_SR_SS_mST_SW_bEUlT_E_NS1_11comp_targetILNS1_3genE10ELNS1_11target_archE1200ELNS1_3gpuE4ELNS1_3repE0EEENS1_30default_config_static_selectorELNS0_4arch9wavefront6targetE0EEEvSQ_.num_named_barrier, 0
	.set _ZN7rocprim17ROCPRIM_400000_NS6detail17trampoline_kernelINS0_14default_configENS1_27upper_bound_config_selectorIjjEEZNS1_14transform_implILb0ES3_S5_N6thrust23THRUST_200600_302600_NS17counting_iteratorIjNS8_11use_defaultESA_SA_EENS8_6detail15normal_iteratorINS8_10device_ptrIjEEEEZNS1_13binary_searchIS3_S5_SG_SB_SG_NS1_21upper_bound_search_opENSC_16wrapped_functionINS0_4lessIvEEbEEEE10hipError_tPvRmT1_T2_T3_mmT4_T5_P12ihipStream_tbEUlRKjE_EESN_SR_SS_mST_SW_bEUlT_E_NS1_11comp_targetILNS1_3genE10ELNS1_11target_archE1200ELNS1_3gpuE4ELNS1_3repE0EEENS1_30default_config_static_selectorELNS0_4arch9wavefront6targetE0EEEvSQ_.private_seg_size, 0
	.set _ZN7rocprim17ROCPRIM_400000_NS6detail17trampoline_kernelINS0_14default_configENS1_27upper_bound_config_selectorIjjEEZNS1_14transform_implILb0ES3_S5_N6thrust23THRUST_200600_302600_NS17counting_iteratorIjNS8_11use_defaultESA_SA_EENS8_6detail15normal_iteratorINS8_10device_ptrIjEEEEZNS1_13binary_searchIS3_S5_SG_SB_SG_NS1_21upper_bound_search_opENSC_16wrapped_functionINS0_4lessIvEEbEEEE10hipError_tPvRmT1_T2_T3_mmT4_T5_P12ihipStream_tbEUlRKjE_EESN_SR_SS_mST_SW_bEUlT_E_NS1_11comp_targetILNS1_3genE10ELNS1_11target_archE1200ELNS1_3gpuE4ELNS1_3repE0EEENS1_30default_config_static_selectorELNS0_4arch9wavefront6targetE0EEEvSQ_.uses_vcc, 0
	.set _ZN7rocprim17ROCPRIM_400000_NS6detail17trampoline_kernelINS0_14default_configENS1_27upper_bound_config_selectorIjjEEZNS1_14transform_implILb0ES3_S5_N6thrust23THRUST_200600_302600_NS17counting_iteratorIjNS8_11use_defaultESA_SA_EENS8_6detail15normal_iteratorINS8_10device_ptrIjEEEEZNS1_13binary_searchIS3_S5_SG_SB_SG_NS1_21upper_bound_search_opENSC_16wrapped_functionINS0_4lessIvEEbEEEE10hipError_tPvRmT1_T2_T3_mmT4_T5_P12ihipStream_tbEUlRKjE_EESN_SR_SS_mST_SW_bEUlT_E_NS1_11comp_targetILNS1_3genE10ELNS1_11target_archE1200ELNS1_3gpuE4ELNS1_3repE0EEENS1_30default_config_static_selectorELNS0_4arch9wavefront6targetE0EEEvSQ_.uses_flat_scratch, 0
	.set _ZN7rocprim17ROCPRIM_400000_NS6detail17trampoline_kernelINS0_14default_configENS1_27upper_bound_config_selectorIjjEEZNS1_14transform_implILb0ES3_S5_N6thrust23THRUST_200600_302600_NS17counting_iteratorIjNS8_11use_defaultESA_SA_EENS8_6detail15normal_iteratorINS8_10device_ptrIjEEEEZNS1_13binary_searchIS3_S5_SG_SB_SG_NS1_21upper_bound_search_opENSC_16wrapped_functionINS0_4lessIvEEbEEEE10hipError_tPvRmT1_T2_T3_mmT4_T5_P12ihipStream_tbEUlRKjE_EESN_SR_SS_mST_SW_bEUlT_E_NS1_11comp_targetILNS1_3genE10ELNS1_11target_archE1200ELNS1_3gpuE4ELNS1_3repE0EEENS1_30default_config_static_selectorELNS0_4arch9wavefront6targetE0EEEvSQ_.has_dyn_sized_stack, 0
	.set _ZN7rocprim17ROCPRIM_400000_NS6detail17trampoline_kernelINS0_14default_configENS1_27upper_bound_config_selectorIjjEEZNS1_14transform_implILb0ES3_S5_N6thrust23THRUST_200600_302600_NS17counting_iteratorIjNS8_11use_defaultESA_SA_EENS8_6detail15normal_iteratorINS8_10device_ptrIjEEEEZNS1_13binary_searchIS3_S5_SG_SB_SG_NS1_21upper_bound_search_opENSC_16wrapped_functionINS0_4lessIvEEbEEEE10hipError_tPvRmT1_T2_T3_mmT4_T5_P12ihipStream_tbEUlRKjE_EESN_SR_SS_mST_SW_bEUlT_E_NS1_11comp_targetILNS1_3genE10ELNS1_11target_archE1200ELNS1_3gpuE4ELNS1_3repE0EEENS1_30default_config_static_selectorELNS0_4arch9wavefront6targetE0EEEvSQ_.has_recursion, 0
	.set _ZN7rocprim17ROCPRIM_400000_NS6detail17trampoline_kernelINS0_14default_configENS1_27upper_bound_config_selectorIjjEEZNS1_14transform_implILb0ES3_S5_N6thrust23THRUST_200600_302600_NS17counting_iteratorIjNS8_11use_defaultESA_SA_EENS8_6detail15normal_iteratorINS8_10device_ptrIjEEEEZNS1_13binary_searchIS3_S5_SG_SB_SG_NS1_21upper_bound_search_opENSC_16wrapped_functionINS0_4lessIvEEbEEEE10hipError_tPvRmT1_T2_T3_mmT4_T5_P12ihipStream_tbEUlRKjE_EESN_SR_SS_mST_SW_bEUlT_E_NS1_11comp_targetILNS1_3genE10ELNS1_11target_archE1200ELNS1_3gpuE4ELNS1_3repE0EEENS1_30default_config_static_selectorELNS0_4arch9wavefront6targetE0EEEvSQ_.has_indirect_call, 0
	.section	.AMDGPU.csdata,"",@progbits
; Kernel info:
; codeLenInByte = 0
; TotalNumSgprs: 0
; NumVgprs: 0
; ScratchSize: 0
; MemoryBound: 0
; FloatMode: 240
; IeeeMode: 1
; LDSByteSize: 0 bytes/workgroup (compile time only)
; SGPRBlocks: 0
; VGPRBlocks: 0
; NumSGPRsForWavesPerEU: 1
; NumVGPRsForWavesPerEU: 1
; Occupancy: 16
; WaveLimiterHint : 0
; COMPUTE_PGM_RSRC2:SCRATCH_EN: 0
; COMPUTE_PGM_RSRC2:USER_SGPR: 6
; COMPUTE_PGM_RSRC2:TRAP_HANDLER: 0
; COMPUTE_PGM_RSRC2:TGID_X_EN: 1
; COMPUTE_PGM_RSRC2:TGID_Y_EN: 0
; COMPUTE_PGM_RSRC2:TGID_Z_EN: 0
; COMPUTE_PGM_RSRC2:TIDIG_COMP_CNT: 0
	.section	.text._ZN7rocprim17ROCPRIM_400000_NS6detail17trampoline_kernelINS0_14default_configENS1_27upper_bound_config_selectorIjjEEZNS1_14transform_implILb0ES3_S5_N6thrust23THRUST_200600_302600_NS17counting_iteratorIjNS8_11use_defaultESA_SA_EENS8_6detail15normal_iteratorINS8_10device_ptrIjEEEEZNS1_13binary_searchIS3_S5_SG_SB_SG_NS1_21upper_bound_search_opENSC_16wrapped_functionINS0_4lessIvEEbEEEE10hipError_tPvRmT1_T2_T3_mmT4_T5_P12ihipStream_tbEUlRKjE_EESN_SR_SS_mST_SW_bEUlT_E_NS1_11comp_targetILNS1_3genE9ELNS1_11target_archE1100ELNS1_3gpuE3ELNS1_3repE0EEENS1_30default_config_static_selectorELNS0_4arch9wavefront6targetE0EEEvSQ_,"axG",@progbits,_ZN7rocprim17ROCPRIM_400000_NS6detail17trampoline_kernelINS0_14default_configENS1_27upper_bound_config_selectorIjjEEZNS1_14transform_implILb0ES3_S5_N6thrust23THRUST_200600_302600_NS17counting_iteratorIjNS8_11use_defaultESA_SA_EENS8_6detail15normal_iteratorINS8_10device_ptrIjEEEEZNS1_13binary_searchIS3_S5_SG_SB_SG_NS1_21upper_bound_search_opENSC_16wrapped_functionINS0_4lessIvEEbEEEE10hipError_tPvRmT1_T2_T3_mmT4_T5_P12ihipStream_tbEUlRKjE_EESN_SR_SS_mST_SW_bEUlT_E_NS1_11comp_targetILNS1_3genE9ELNS1_11target_archE1100ELNS1_3gpuE3ELNS1_3repE0EEENS1_30default_config_static_selectorELNS0_4arch9wavefront6targetE0EEEvSQ_,comdat
	.protected	_ZN7rocprim17ROCPRIM_400000_NS6detail17trampoline_kernelINS0_14default_configENS1_27upper_bound_config_selectorIjjEEZNS1_14transform_implILb0ES3_S5_N6thrust23THRUST_200600_302600_NS17counting_iteratorIjNS8_11use_defaultESA_SA_EENS8_6detail15normal_iteratorINS8_10device_ptrIjEEEEZNS1_13binary_searchIS3_S5_SG_SB_SG_NS1_21upper_bound_search_opENSC_16wrapped_functionINS0_4lessIvEEbEEEE10hipError_tPvRmT1_T2_T3_mmT4_T5_P12ihipStream_tbEUlRKjE_EESN_SR_SS_mST_SW_bEUlT_E_NS1_11comp_targetILNS1_3genE9ELNS1_11target_archE1100ELNS1_3gpuE3ELNS1_3repE0EEENS1_30default_config_static_selectorELNS0_4arch9wavefront6targetE0EEEvSQ_ ; -- Begin function _ZN7rocprim17ROCPRIM_400000_NS6detail17trampoline_kernelINS0_14default_configENS1_27upper_bound_config_selectorIjjEEZNS1_14transform_implILb0ES3_S5_N6thrust23THRUST_200600_302600_NS17counting_iteratorIjNS8_11use_defaultESA_SA_EENS8_6detail15normal_iteratorINS8_10device_ptrIjEEEEZNS1_13binary_searchIS3_S5_SG_SB_SG_NS1_21upper_bound_search_opENSC_16wrapped_functionINS0_4lessIvEEbEEEE10hipError_tPvRmT1_T2_T3_mmT4_T5_P12ihipStream_tbEUlRKjE_EESN_SR_SS_mST_SW_bEUlT_E_NS1_11comp_targetILNS1_3genE9ELNS1_11target_archE1100ELNS1_3gpuE3ELNS1_3repE0EEENS1_30default_config_static_selectorELNS0_4arch9wavefront6targetE0EEEvSQ_
	.globl	_ZN7rocprim17ROCPRIM_400000_NS6detail17trampoline_kernelINS0_14default_configENS1_27upper_bound_config_selectorIjjEEZNS1_14transform_implILb0ES3_S5_N6thrust23THRUST_200600_302600_NS17counting_iteratorIjNS8_11use_defaultESA_SA_EENS8_6detail15normal_iteratorINS8_10device_ptrIjEEEEZNS1_13binary_searchIS3_S5_SG_SB_SG_NS1_21upper_bound_search_opENSC_16wrapped_functionINS0_4lessIvEEbEEEE10hipError_tPvRmT1_T2_T3_mmT4_T5_P12ihipStream_tbEUlRKjE_EESN_SR_SS_mST_SW_bEUlT_E_NS1_11comp_targetILNS1_3genE9ELNS1_11target_archE1100ELNS1_3gpuE3ELNS1_3repE0EEENS1_30default_config_static_selectorELNS0_4arch9wavefront6targetE0EEEvSQ_
	.p2align	8
	.type	_ZN7rocprim17ROCPRIM_400000_NS6detail17trampoline_kernelINS0_14default_configENS1_27upper_bound_config_selectorIjjEEZNS1_14transform_implILb0ES3_S5_N6thrust23THRUST_200600_302600_NS17counting_iteratorIjNS8_11use_defaultESA_SA_EENS8_6detail15normal_iteratorINS8_10device_ptrIjEEEEZNS1_13binary_searchIS3_S5_SG_SB_SG_NS1_21upper_bound_search_opENSC_16wrapped_functionINS0_4lessIvEEbEEEE10hipError_tPvRmT1_T2_T3_mmT4_T5_P12ihipStream_tbEUlRKjE_EESN_SR_SS_mST_SW_bEUlT_E_NS1_11comp_targetILNS1_3genE9ELNS1_11target_archE1100ELNS1_3gpuE3ELNS1_3repE0EEENS1_30default_config_static_selectorELNS0_4arch9wavefront6targetE0EEEvSQ_,@function
_ZN7rocprim17ROCPRIM_400000_NS6detail17trampoline_kernelINS0_14default_configENS1_27upper_bound_config_selectorIjjEEZNS1_14transform_implILb0ES3_S5_N6thrust23THRUST_200600_302600_NS17counting_iteratorIjNS8_11use_defaultESA_SA_EENS8_6detail15normal_iteratorINS8_10device_ptrIjEEEEZNS1_13binary_searchIS3_S5_SG_SB_SG_NS1_21upper_bound_search_opENSC_16wrapped_functionINS0_4lessIvEEbEEEE10hipError_tPvRmT1_T2_T3_mmT4_T5_P12ihipStream_tbEUlRKjE_EESN_SR_SS_mST_SW_bEUlT_E_NS1_11comp_targetILNS1_3genE9ELNS1_11target_archE1100ELNS1_3gpuE3ELNS1_3repE0EEENS1_30default_config_static_selectorELNS0_4arch9wavefront6targetE0EEEvSQ_: ; @_ZN7rocprim17ROCPRIM_400000_NS6detail17trampoline_kernelINS0_14default_configENS1_27upper_bound_config_selectorIjjEEZNS1_14transform_implILb0ES3_S5_N6thrust23THRUST_200600_302600_NS17counting_iteratorIjNS8_11use_defaultESA_SA_EENS8_6detail15normal_iteratorINS8_10device_ptrIjEEEEZNS1_13binary_searchIS3_S5_SG_SB_SG_NS1_21upper_bound_search_opENSC_16wrapped_functionINS0_4lessIvEEbEEEE10hipError_tPvRmT1_T2_T3_mmT4_T5_P12ihipStream_tbEUlRKjE_EESN_SR_SS_mST_SW_bEUlT_E_NS1_11comp_targetILNS1_3genE9ELNS1_11target_archE1100ELNS1_3gpuE3ELNS1_3repE0EEENS1_30default_config_static_selectorELNS0_4arch9wavefront6targetE0EEEvSQ_
; %bb.0:
	.section	.rodata,"a",@progbits
	.p2align	6, 0x0
	.amdhsa_kernel _ZN7rocprim17ROCPRIM_400000_NS6detail17trampoline_kernelINS0_14default_configENS1_27upper_bound_config_selectorIjjEEZNS1_14transform_implILb0ES3_S5_N6thrust23THRUST_200600_302600_NS17counting_iteratorIjNS8_11use_defaultESA_SA_EENS8_6detail15normal_iteratorINS8_10device_ptrIjEEEEZNS1_13binary_searchIS3_S5_SG_SB_SG_NS1_21upper_bound_search_opENSC_16wrapped_functionINS0_4lessIvEEbEEEE10hipError_tPvRmT1_T2_T3_mmT4_T5_P12ihipStream_tbEUlRKjE_EESN_SR_SS_mST_SW_bEUlT_E_NS1_11comp_targetILNS1_3genE9ELNS1_11target_archE1100ELNS1_3gpuE3ELNS1_3repE0EEENS1_30default_config_static_selectorELNS0_4arch9wavefront6targetE0EEEvSQ_
		.amdhsa_group_segment_fixed_size 0
		.amdhsa_private_segment_fixed_size 0
		.amdhsa_kernarg_size 56
		.amdhsa_user_sgpr_count 6
		.amdhsa_user_sgpr_private_segment_buffer 1
		.amdhsa_user_sgpr_dispatch_ptr 0
		.amdhsa_user_sgpr_queue_ptr 0
		.amdhsa_user_sgpr_kernarg_segment_ptr 1
		.amdhsa_user_sgpr_dispatch_id 0
		.amdhsa_user_sgpr_flat_scratch_init 0
		.amdhsa_user_sgpr_private_segment_size 0
		.amdhsa_wavefront_size32 1
		.amdhsa_uses_dynamic_stack 0
		.amdhsa_system_sgpr_private_segment_wavefront_offset 0
		.amdhsa_system_sgpr_workgroup_id_x 1
		.amdhsa_system_sgpr_workgroup_id_y 0
		.amdhsa_system_sgpr_workgroup_id_z 0
		.amdhsa_system_sgpr_workgroup_info 0
		.amdhsa_system_vgpr_workitem_id 0
		.amdhsa_next_free_vgpr 1
		.amdhsa_next_free_sgpr 1
		.amdhsa_reserve_vcc 0
		.amdhsa_reserve_flat_scratch 0
		.amdhsa_float_round_mode_32 0
		.amdhsa_float_round_mode_16_64 0
		.amdhsa_float_denorm_mode_32 3
		.amdhsa_float_denorm_mode_16_64 3
		.amdhsa_dx10_clamp 1
		.amdhsa_ieee_mode 1
		.amdhsa_fp16_overflow 0
		.amdhsa_workgroup_processor_mode 1
		.amdhsa_memory_ordered 1
		.amdhsa_forward_progress 1
		.amdhsa_shared_vgpr_count 0
		.amdhsa_exception_fp_ieee_invalid_op 0
		.amdhsa_exception_fp_denorm_src 0
		.amdhsa_exception_fp_ieee_div_zero 0
		.amdhsa_exception_fp_ieee_overflow 0
		.amdhsa_exception_fp_ieee_underflow 0
		.amdhsa_exception_fp_ieee_inexact 0
		.amdhsa_exception_int_div_zero 0
	.end_amdhsa_kernel
	.section	.text._ZN7rocprim17ROCPRIM_400000_NS6detail17trampoline_kernelINS0_14default_configENS1_27upper_bound_config_selectorIjjEEZNS1_14transform_implILb0ES3_S5_N6thrust23THRUST_200600_302600_NS17counting_iteratorIjNS8_11use_defaultESA_SA_EENS8_6detail15normal_iteratorINS8_10device_ptrIjEEEEZNS1_13binary_searchIS3_S5_SG_SB_SG_NS1_21upper_bound_search_opENSC_16wrapped_functionINS0_4lessIvEEbEEEE10hipError_tPvRmT1_T2_T3_mmT4_T5_P12ihipStream_tbEUlRKjE_EESN_SR_SS_mST_SW_bEUlT_E_NS1_11comp_targetILNS1_3genE9ELNS1_11target_archE1100ELNS1_3gpuE3ELNS1_3repE0EEENS1_30default_config_static_selectorELNS0_4arch9wavefront6targetE0EEEvSQ_,"axG",@progbits,_ZN7rocprim17ROCPRIM_400000_NS6detail17trampoline_kernelINS0_14default_configENS1_27upper_bound_config_selectorIjjEEZNS1_14transform_implILb0ES3_S5_N6thrust23THRUST_200600_302600_NS17counting_iteratorIjNS8_11use_defaultESA_SA_EENS8_6detail15normal_iteratorINS8_10device_ptrIjEEEEZNS1_13binary_searchIS3_S5_SG_SB_SG_NS1_21upper_bound_search_opENSC_16wrapped_functionINS0_4lessIvEEbEEEE10hipError_tPvRmT1_T2_T3_mmT4_T5_P12ihipStream_tbEUlRKjE_EESN_SR_SS_mST_SW_bEUlT_E_NS1_11comp_targetILNS1_3genE9ELNS1_11target_archE1100ELNS1_3gpuE3ELNS1_3repE0EEENS1_30default_config_static_selectorELNS0_4arch9wavefront6targetE0EEEvSQ_,comdat
.Lfunc_end246:
	.size	_ZN7rocprim17ROCPRIM_400000_NS6detail17trampoline_kernelINS0_14default_configENS1_27upper_bound_config_selectorIjjEEZNS1_14transform_implILb0ES3_S5_N6thrust23THRUST_200600_302600_NS17counting_iteratorIjNS8_11use_defaultESA_SA_EENS8_6detail15normal_iteratorINS8_10device_ptrIjEEEEZNS1_13binary_searchIS3_S5_SG_SB_SG_NS1_21upper_bound_search_opENSC_16wrapped_functionINS0_4lessIvEEbEEEE10hipError_tPvRmT1_T2_T3_mmT4_T5_P12ihipStream_tbEUlRKjE_EESN_SR_SS_mST_SW_bEUlT_E_NS1_11comp_targetILNS1_3genE9ELNS1_11target_archE1100ELNS1_3gpuE3ELNS1_3repE0EEENS1_30default_config_static_selectorELNS0_4arch9wavefront6targetE0EEEvSQ_, .Lfunc_end246-_ZN7rocprim17ROCPRIM_400000_NS6detail17trampoline_kernelINS0_14default_configENS1_27upper_bound_config_selectorIjjEEZNS1_14transform_implILb0ES3_S5_N6thrust23THRUST_200600_302600_NS17counting_iteratorIjNS8_11use_defaultESA_SA_EENS8_6detail15normal_iteratorINS8_10device_ptrIjEEEEZNS1_13binary_searchIS3_S5_SG_SB_SG_NS1_21upper_bound_search_opENSC_16wrapped_functionINS0_4lessIvEEbEEEE10hipError_tPvRmT1_T2_T3_mmT4_T5_P12ihipStream_tbEUlRKjE_EESN_SR_SS_mST_SW_bEUlT_E_NS1_11comp_targetILNS1_3genE9ELNS1_11target_archE1100ELNS1_3gpuE3ELNS1_3repE0EEENS1_30default_config_static_selectorELNS0_4arch9wavefront6targetE0EEEvSQ_
                                        ; -- End function
	.set _ZN7rocprim17ROCPRIM_400000_NS6detail17trampoline_kernelINS0_14default_configENS1_27upper_bound_config_selectorIjjEEZNS1_14transform_implILb0ES3_S5_N6thrust23THRUST_200600_302600_NS17counting_iteratorIjNS8_11use_defaultESA_SA_EENS8_6detail15normal_iteratorINS8_10device_ptrIjEEEEZNS1_13binary_searchIS3_S5_SG_SB_SG_NS1_21upper_bound_search_opENSC_16wrapped_functionINS0_4lessIvEEbEEEE10hipError_tPvRmT1_T2_T3_mmT4_T5_P12ihipStream_tbEUlRKjE_EESN_SR_SS_mST_SW_bEUlT_E_NS1_11comp_targetILNS1_3genE9ELNS1_11target_archE1100ELNS1_3gpuE3ELNS1_3repE0EEENS1_30default_config_static_selectorELNS0_4arch9wavefront6targetE0EEEvSQ_.num_vgpr, 0
	.set _ZN7rocprim17ROCPRIM_400000_NS6detail17trampoline_kernelINS0_14default_configENS1_27upper_bound_config_selectorIjjEEZNS1_14transform_implILb0ES3_S5_N6thrust23THRUST_200600_302600_NS17counting_iteratorIjNS8_11use_defaultESA_SA_EENS8_6detail15normal_iteratorINS8_10device_ptrIjEEEEZNS1_13binary_searchIS3_S5_SG_SB_SG_NS1_21upper_bound_search_opENSC_16wrapped_functionINS0_4lessIvEEbEEEE10hipError_tPvRmT1_T2_T3_mmT4_T5_P12ihipStream_tbEUlRKjE_EESN_SR_SS_mST_SW_bEUlT_E_NS1_11comp_targetILNS1_3genE9ELNS1_11target_archE1100ELNS1_3gpuE3ELNS1_3repE0EEENS1_30default_config_static_selectorELNS0_4arch9wavefront6targetE0EEEvSQ_.num_agpr, 0
	.set _ZN7rocprim17ROCPRIM_400000_NS6detail17trampoline_kernelINS0_14default_configENS1_27upper_bound_config_selectorIjjEEZNS1_14transform_implILb0ES3_S5_N6thrust23THRUST_200600_302600_NS17counting_iteratorIjNS8_11use_defaultESA_SA_EENS8_6detail15normal_iteratorINS8_10device_ptrIjEEEEZNS1_13binary_searchIS3_S5_SG_SB_SG_NS1_21upper_bound_search_opENSC_16wrapped_functionINS0_4lessIvEEbEEEE10hipError_tPvRmT1_T2_T3_mmT4_T5_P12ihipStream_tbEUlRKjE_EESN_SR_SS_mST_SW_bEUlT_E_NS1_11comp_targetILNS1_3genE9ELNS1_11target_archE1100ELNS1_3gpuE3ELNS1_3repE0EEENS1_30default_config_static_selectorELNS0_4arch9wavefront6targetE0EEEvSQ_.numbered_sgpr, 0
	.set _ZN7rocprim17ROCPRIM_400000_NS6detail17trampoline_kernelINS0_14default_configENS1_27upper_bound_config_selectorIjjEEZNS1_14transform_implILb0ES3_S5_N6thrust23THRUST_200600_302600_NS17counting_iteratorIjNS8_11use_defaultESA_SA_EENS8_6detail15normal_iteratorINS8_10device_ptrIjEEEEZNS1_13binary_searchIS3_S5_SG_SB_SG_NS1_21upper_bound_search_opENSC_16wrapped_functionINS0_4lessIvEEbEEEE10hipError_tPvRmT1_T2_T3_mmT4_T5_P12ihipStream_tbEUlRKjE_EESN_SR_SS_mST_SW_bEUlT_E_NS1_11comp_targetILNS1_3genE9ELNS1_11target_archE1100ELNS1_3gpuE3ELNS1_3repE0EEENS1_30default_config_static_selectorELNS0_4arch9wavefront6targetE0EEEvSQ_.num_named_barrier, 0
	.set _ZN7rocprim17ROCPRIM_400000_NS6detail17trampoline_kernelINS0_14default_configENS1_27upper_bound_config_selectorIjjEEZNS1_14transform_implILb0ES3_S5_N6thrust23THRUST_200600_302600_NS17counting_iteratorIjNS8_11use_defaultESA_SA_EENS8_6detail15normal_iteratorINS8_10device_ptrIjEEEEZNS1_13binary_searchIS3_S5_SG_SB_SG_NS1_21upper_bound_search_opENSC_16wrapped_functionINS0_4lessIvEEbEEEE10hipError_tPvRmT1_T2_T3_mmT4_T5_P12ihipStream_tbEUlRKjE_EESN_SR_SS_mST_SW_bEUlT_E_NS1_11comp_targetILNS1_3genE9ELNS1_11target_archE1100ELNS1_3gpuE3ELNS1_3repE0EEENS1_30default_config_static_selectorELNS0_4arch9wavefront6targetE0EEEvSQ_.private_seg_size, 0
	.set _ZN7rocprim17ROCPRIM_400000_NS6detail17trampoline_kernelINS0_14default_configENS1_27upper_bound_config_selectorIjjEEZNS1_14transform_implILb0ES3_S5_N6thrust23THRUST_200600_302600_NS17counting_iteratorIjNS8_11use_defaultESA_SA_EENS8_6detail15normal_iteratorINS8_10device_ptrIjEEEEZNS1_13binary_searchIS3_S5_SG_SB_SG_NS1_21upper_bound_search_opENSC_16wrapped_functionINS0_4lessIvEEbEEEE10hipError_tPvRmT1_T2_T3_mmT4_T5_P12ihipStream_tbEUlRKjE_EESN_SR_SS_mST_SW_bEUlT_E_NS1_11comp_targetILNS1_3genE9ELNS1_11target_archE1100ELNS1_3gpuE3ELNS1_3repE0EEENS1_30default_config_static_selectorELNS0_4arch9wavefront6targetE0EEEvSQ_.uses_vcc, 0
	.set _ZN7rocprim17ROCPRIM_400000_NS6detail17trampoline_kernelINS0_14default_configENS1_27upper_bound_config_selectorIjjEEZNS1_14transform_implILb0ES3_S5_N6thrust23THRUST_200600_302600_NS17counting_iteratorIjNS8_11use_defaultESA_SA_EENS8_6detail15normal_iteratorINS8_10device_ptrIjEEEEZNS1_13binary_searchIS3_S5_SG_SB_SG_NS1_21upper_bound_search_opENSC_16wrapped_functionINS0_4lessIvEEbEEEE10hipError_tPvRmT1_T2_T3_mmT4_T5_P12ihipStream_tbEUlRKjE_EESN_SR_SS_mST_SW_bEUlT_E_NS1_11comp_targetILNS1_3genE9ELNS1_11target_archE1100ELNS1_3gpuE3ELNS1_3repE0EEENS1_30default_config_static_selectorELNS0_4arch9wavefront6targetE0EEEvSQ_.uses_flat_scratch, 0
	.set _ZN7rocprim17ROCPRIM_400000_NS6detail17trampoline_kernelINS0_14default_configENS1_27upper_bound_config_selectorIjjEEZNS1_14transform_implILb0ES3_S5_N6thrust23THRUST_200600_302600_NS17counting_iteratorIjNS8_11use_defaultESA_SA_EENS8_6detail15normal_iteratorINS8_10device_ptrIjEEEEZNS1_13binary_searchIS3_S5_SG_SB_SG_NS1_21upper_bound_search_opENSC_16wrapped_functionINS0_4lessIvEEbEEEE10hipError_tPvRmT1_T2_T3_mmT4_T5_P12ihipStream_tbEUlRKjE_EESN_SR_SS_mST_SW_bEUlT_E_NS1_11comp_targetILNS1_3genE9ELNS1_11target_archE1100ELNS1_3gpuE3ELNS1_3repE0EEENS1_30default_config_static_selectorELNS0_4arch9wavefront6targetE0EEEvSQ_.has_dyn_sized_stack, 0
	.set _ZN7rocprim17ROCPRIM_400000_NS6detail17trampoline_kernelINS0_14default_configENS1_27upper_bound_config_selectorIjjEEZNS1_14transform_implILb0ES3_S5_N6thrust23THRUST_200600_302600_NS17counting_iteratorIjNS8_11use_defaultESA_SA_EENS8_6detail15normal_iteratorINS8_10device_ptrIjEEEEZNS1_13binary_searchIS3_S5_SG_SB_SG_NS1_21upper_bound_search_opENSC_16wrapped_functionINS0_4lessIvEEbEEEE10hipError_tPvRmT1_T2_T3_mmT4_T5_P12ihipStream_tbEUlRKjE_EESN_SR_SS_mST_SW_bEUlT_E_NS1_11comp_targetILNS1_3genE9ELNS1_11target_archE1100ELNS1_3gpuE3ELNS1_3repE0EEENS1_30default_config_static_selectorELNS0_4arch9wavefront6targetE0EEEvSQ_.has_recursion, 0
	.set _ZN7rocprim17ROCPRIM_400000_NS6detail17trampoline_kernelINS0_14default_configENS1_27upper_bound_config_selectorIjjEEZNS1_14transform_implILb0ES3_S5_N6thrust23THRUST_200600_302600_NS17counting_iteratorIjNS8_11use_defaultESA_SA_EENS8_6detail15normal_iteratorINS8_10device_ptrIjEEEEZNS1_13binary_searchIS3_S5_SG_SB_SG_NS1_21upper_bound_search_opENSC_16wrapped_functionINS0_4lessIvEEbEEEE10hipError_tPvRmT1_T2_T3_mmT4_T5_P12ihipStream_tbEUlRKjE_EESN_SR_SS_mST_SW_bEUlT_E_NS1_11comp_targetILNS1_3genE9ELNS1_11target_archE1100ELNS1_3gpuE3ELNS1_3repE0EEENS1_30default_config_static_selectorELNS0_4arch9wavefront6targetE0EEEvSQ_.has_indirect_call, 0
	.section	.AMDGPU.csdata,"",@progbits
; Kernel info:
; codeLenInByte = 0
; TotalNumSgprs: 0
; NumVgprs: 0
; ScratchSize: 0
; MemoryBound: 0
; FloatMode: 240
; IeeeMode: 1
; LDSByteSize: 0 bytes/workgroup (compile time only)
; SGPRBlocks: 0
; VGPRBlocks: 0
; NumSGPRsForWavesPerEU: 1
; NumVGPRsForWavesPerEU: 1
; Occupancy: 16
; WaveLimiterHint : 0
; COMPUTE_PGM_RSRC2:SCRATCH_EN: 0
; COMPUTE_PGM_RSRC2:USER_SGPR: 6
; COMPUTE_PGM_RSRC2:TRAP_HANDLER: 0
; COMPUTE_PGM_RSRC2:TGID_X_EN: 1
; COMPUTE_PGM_RSRC2:TGID_Y_EN: 0
; COMPUTE_PGM_RSRC2:TGID_Z_EN: 0
; COMPUTE_PGM_RSRC2:TIDIG_COMP_CNT: 0
	.section	.text._ZN7rocprim17ROCPRIM_400000_NS6detail17trampoline_kernelINS0_14default_configENS1_27upper_bound_config_selectorIjjEEZNS1_14transform_implILb0ES3_S5_N6thrust23THRUST_200600_302600_NS17counting_iteratorIjNS8_11use_defaultESA_SA_EENS8_6detail15normal_iteratorINS8_10device_ptrIjEEEEZNS1_13binary_searchIS3_S5_SG_SB_SG_NS1_21upper_bound_search_opENSC_16wrapped_functionINS0_4lessIvEEbEEEE10hipError_tPvRmT1_T2_T3_mmT4_T5_P12ihipStream_tbEUlRKjE_EESN_SR_SS_mST_SW_bEUlT_E_NS1_11comp_targetILNS1_3genE8ELNS1_11target_archE1030ELNS1_3gpuE2ELNS1_3repE0EEENS1_30default_config_static_selectorELNS0_4arch9wavefront6targetE0EEEvSQ_,"axG",@progbits,_ZN7rocprim17ROCPRIM_400000_NS6detail17trampoline_kernelINS0_14default_configENS1_27upper_bound_config_selectorIjjEEZNS1_14transform_implILb0ES3_S5_N6thrust23THRUST_200600_302600_NS17counting_iteratorIjNS8_11use_defaultESA_SA_EENS8_6detail15normal_iteratorINS8_10device_ptrIjEEEEZNS1_13binary_searchIS3_S5_SG_SB_SG_NS1_21upper_bound_search_opENSC_16wrapped_functionINS0_4lessIvEEbEEEE10hipError_tPvRmT1_T2_T3_mmT4_T5_P12ihipStream_tbEUlRKjE_EESN_SR_SS_mST_SW_bEUlT_E_NS1_11comp_targetILNS1_3genE8ELNS1_11target_archE1030ELNS1_3gpuE2ELNS1_3repE0EEENS1_30default_config_static_selectorELNS0_4arch9wavefront6targetE0EEEvSQ_,comdat
	.protected	_ZN7rocprim17ROCPRIM_400000_NS6detail17trampoline_kernelINS0_14default_configENS1_27upper_bound_config_selectorIjjEEZNS1_14transform_implILb0ES3_S5_N6thrust23THRUST_200600_302600_NS17counting_iteratorIjNS8_11use_defaultESA_SA_EENS8_6detail15normal_iteratorINS8_10device_ptrIjEEEEZNS1_13binary_searchIS3_S5_SG_SB_SG_NS1_21upper_bound_search_opENSC_16wrapped_functionINS0_4lessIvEEbEEEE10hipError_tPvRmT1_T2_T3_mmT4_T5_P12ihipStream_tbEUlRKjE_EESN_SR_SS_mST_SW_bEUlT_E_NS1_11comp_targetILNS1_3genE8ELNS1_11target_archE1030ELNS1_3gpuE2ELNS1_3repE0EEENS1_30default_config_static_selectorELNS0_4arch9wavefront6targetE0EEEvSQ_ ; -- Begin function _ZN7rocprim17ROCPRIM_400000_NS6detail17trampoline_kernelINS0_14default_configENS1_27upper_bound_config_selectorIjjEEZNS1_14transform_implILb0ES3_S5_N6thrust23THRUST_200600_302600_NS17counting_iteratorIjNS8_11use_defaultESA_SA_EENS8_6detail15normal_iteratorINS8_10device_ptrIjEEEEZNS1_13binary_searchIS3_S5_SG_SB_SG_NS1_21upper_bound_search_opENSC_16wrapped_functionINS0_4lessIvEEbEEEE10hipError_tPvRmT1_T2_T3_mmT4_T5_P12ihipStream_tbEUlRKjE_EESN_SR_SS_mST_SW_bEUlT_E_NS1_11comp_targetILNS1_3genE8ELNS1_11target_archE1030ELNS1_3gpuE2ELNS1_3repE0EEENS1_30default_config_static_selectorELNS0_4arch9wavefront6targetE0EEEvSQ_
	.globl	_ZN7rocprim17ROCPRIM_400000_NS6detail17trampoline_kernelINS0_14default_configENS1_27upper_bound_config_selectorIjjEEZNS1_14transform_implILb0ES3_S5_N6thrust23THRUST_200600_302600_NS17counting_iteratorIjNS8_11use_defaultESA_SA_EENS8_6detail15normal_iteratorINS8_10device_ptrIjEEEEZNS1_13binary_searchIS3_S5_SG_SB_SG_NS1_21upper_bound_search_opENSC_16wrapped_functionINS0_4lessIvEEbEEEE10hipError_tPvRmT1_T2_T3_mmT4_T5_P12ihipStream_tbEUlRKjE_EESN_SR_SS_mST_SW_bEUlT_E_NS1_11comp_targetILNS1_3genE8ELNS1_11target_archE1030ELNS1_3gpuE2ELNS1_3repE0EEENS1_30default_config_static_selectorELNS0_4arch9wavefront6targetE0EEEvSQ_
	.p2align	8
	.type	_ZN7rocprim17ROCPRIM_400000_NS6detail17trampoline_kernelINS0_14default_configENS1_27upper_bound_config_selectorIjjEEZNS1_14transform_implILb0ES3_S5_N6thrust23THRUST_200600_302600_NS17counting_iteratorIjNS8_11use_defaultESA_SA_EENS8_6detail15normal_iteratorINS8_10device_ptrIjEEEEZNS1_13binary_searchIS3_S5_SG_SB_SG_NS1_21upper_bound_search_opENSC_16wrapped_functionINS0_4lessIvEEbEEEE10hipError_tPvRmT1_T2_T3_mmT4_T5_P12ihipStream_tbEUlRKjE_EESN_SR_SS_mST_SW_bEUlT_E_NS1_11comp_targetILNS1_3genE8ELNS1_11target_archE1030ELNS1_3gpuE2ELNS1_3repE0EEENS1_30default_config_static_selectorELNS0_4arch9wavefront6targetE0EEEvSQ_,@function
_ZN7rocprim17ROCPRIM_400000_NS6detail17trampoline_kernelINS0_14default_configENS1_27upper_bound_config_selectorIjjEEZNS1_14transform_implILb0ES3_S5_N6thrust23THRUST_200600_302600_NS17counting_iteratorIjNS8_11use_defaultESA_SA_EENS8_6detail15normal_iteratorINS8_10device_ptrIjEEEEZNS1_13binary_searchIS3_S5_SG_SB_SG_NS1_21upper_bound_search_opENSC_16wrapped_functionINS0_4lessIvEEbEEEE10hipError_tPvRmT1_T2_T3_mmT4_T5_P12ihipStream_tbEUlRKjE_EESN_SR_SS_mST_SW_bEUlT_E_NS1_11comp_targetILNS1_3genE8ELNS1_11target_archE1030ELNS1_3gpuE2ELNS1_3repE0EEENS1_30default_config_static_selectorELNS0_4arch9wavefront6targetE0EEEvSQ_: ; @_ZN7rocprim17ROCPRIM_400000_NS6detail17trampoline_kernelINS0_14default_configENS1_27upper_bound_config_selectorIjjEEZNS1_14transform_implILb0ES3_S5_N6thrust23THRUST_200600_302600_NS17counting_iteratorIjNS8_11use_defaultESA_SA_EENS8_6detail15normal_iteratorINS8_10device_ptrIjEEEEZNS1_13binary_searchIS3_S5_SG_SB_SG_NS1_21upper_bound_search_opENSC_16wrapped_functionINS0_4lessIvEEbEEEE10hipError_tPvRmT1_T2_T3_mmT4_T5_P12ihipStream_tbEUlRKjE_EESN_SR_SS_mST_SW_bEUlT_E_NS1_11comp_targetILNS1_3genE8ELNS1_11target_archE1030ELNS1_3gpuE2ELNS1_3repE0EEENS1_30default_config_static_selectorELNS0_4arch9wavefront6targetE0EEEvSQ_
; %bb.0:
	s_clause 0x4
	s_load_dword s7, s[4:5], 0x0
	s_load_dwordx2 s[8:9], s[4:5], 0x8
	s_load_dword s14, s[4:5], 0x38
	s_load_dwordx4 s[0:3], s[4:5], 0x18
	s_load_dwordx2 s[12:13], s[4:5], 0x28
	s_mov_b32 s11, 0
	s_lshl_b32 s10, s6, 8
                                        ; implicit-def: $vgpr1
	s_waitcnt lgkmcnt(0)
	s_add_i32 s7, s7, s8
	s_add_i32 s15, s14, -1
	s_mov_b32 s14, -1
	s_cmp_lg_u32 s6, s15
	s_mov_b32 s6, s11
	s_cbranch_scc1 .LBB247_4
; %bb.1:
	s_andn2_b32 vcc_lo, exec_lo, s14
	s_cbranch_vccz .LBB247_10
.LBB247_2:
	s_and_saveexec_b32 s2, s6
	s_cbranch_execnz .LBB247_18
.LBB247_3:
	s_endpgm
.LBB247_4:
	s_cmp_eq_u64 s[12:13], 0
	s_cbranch_scc1 .LBB247_8
; %bb.5:
	v_mov_b32_e32 v1, 0
	v_mov_b32_e32 v3, s12
	v_add3_u32 v5, s7, s10, v0
	v_mov_b32_e32 v2, 0
	v_mov_b32_e32 v4, s13
	s_mov_b32 s6, 0
	s_inst_prefetch 0x1
	.p2align	6
.LBB247_6:                              ; =>This Inner Loop Header: Depth=1
	v_sub_co_u32 v6, vcc_lo, v3, v1
	v_sub_co_ci_u32_e64 v7, null, v4, v2, vcc_lo
	v_lshrrev_b64 v[8:9], 1, v[6:7]
	v_lshrrev_b64 v[6:7], 6, v[6:7]
	v_add_co_u32 v8, vcc_lo, v8, v1
	v_add_co_ci_u32_e64 v9, null, v9, v2, vcc_lo
	v_add_co_u32 v6, vcc_lo, v8, v6
	v_add_co_ci_u32_e64 v7, null, v9, v7, vcc_lo
	v_lshlrev_b64 v[8:9], 2, v[6:7]
	v_add_co_u32 v8, vcc_lo, s2, v8
	v_add_co_ci_u32_e64 v9, null, s3, v9, vcc_lo
	global_load_dword v8, v[8:9], off
	v_add_co_u32 v9, vcc_lo, v6, 1
	v_add_co_ci_u32_e64 v10, null, 0, v7, vcc_lo
	s_waitcnt vmcnt(0)
	v_cmp_lt_u32_e32 vcc_lo, v5, v8
	v_cndmask_b32_e32 v4, v4, v7, vcc_lo
	v_cndmask_b32_e32 v3, v3, v6, vcc_lo
	;; [unrolled: 1-line block ×4, first 2 shown]
	v_cmp_ge_u64_e32 vcc_lo, v[1:2], v[3:4]
	s_or_b32 s6, vcc_lo, s6
	s_andn2_b32 exec_lo, exec_lo, s6
	s_cbranch_execnz .LBB247_6
; %bb.7:
	s_inst_prefetch 0x2
	s_or_b32 exec_lo, exec_lo, s6
	s_branch .LBB247_9
.LBB247_8:
	v_mov_b32_e32 v1, 0
.LBB247_9:
	s_mov_b32 s6, -1
	s_cbranch_execnz .LBB247_2
.LBB247_10:
	s_load_dword s4, s[4:5], 0x10
                                        ; implicit-def: $vgpr1
	s_waitcnt lgkmcnt(0)
	s_sub_i32 s4, s4, s10
	v_cmp_gt_u32_e32 vcc_lo, s4, v0
	s_and_saveexec_b32 s4, vcc_lo
	s_cbranch_execz .LBB247_17
; %bb.11:
	s_cmp_eq_u64 s[12:13], 0
	s_cbranch_scc1 .LBB247_15
; %bb.12:
	v_mov_b32_e32 v1, 0
	v_mov_b32_e32 v3, s12
	v_add3_u32 v5, s7, s10, v0
	v_mov_b32_e32 v2, 0
	v_mov_b32_e32 v4, s13
	s_mov_b32 s5, 0
	s_inst_prefetch 0x1
	.p2align	6
.LBB247_13:                             ; =>This Inner Loop Header: Depth=1
	v_sub_co_u32 v6, vcc_lo, v3, v1
	v_sub_co_ci_u32_e64 v7, null, v4, v2, vcc_lo
	v_lshrrev_b64 v[8:9], 1, v[6:7]
	v_lshrrev_b64 v[6:7], 6, v[6:7]
	v_add_co_u32 v8, vcc_lo, v8, v1
	v_add_co_ci_u32_e64 v9, null, v9, v2, vcc_lo
	v_add_co_u32 v6, vcc_lo, v8, v6
	v_add_co_ci_u32_e64 v7, null, v9, v7, vcc_lo
	v_lshlrev_b64 v[8:9], 2, v[6:7]
	v_add_co_u32 v8, vcc_lo, s2, v8
	v_add_co_ci_u32_e64 v9, null, s3, v9, vcc_lo
	global_load_dword v8, v[8:9], off
	v_add_co_u32 v9, vcc_lo, v6, 1
	v_add_co_ci_u32_e64 v10, null, 0, v7, vcc_lo
	s_waitcnt vmcnt(0)
	v_cmp_lt_u32_e32 vcc_lo, v5, v8
	v_cndmask_b32_e32 v4, v4, v7, vcc_lo
	v_cndmask_b32_e32 v3, v3, v6, vcc_lo
	;; [unrolled: 1-line block ×4, first 2 shown]
	v_cmp_ge_u64_e32 vcc_lo, v[1:2], v[3:4]
	s_or_b32 s5, vcc_lo, s5
	s_andn2_b32 exec_lo, exec_lo, s5
	s_cbranch_execnz .LBB247_13
; %bb.14:
	s_inst_prefetch 0x2
	s_or_b32 exec_lo, exec_lo, s5
	s_branch .LBB247_16
.LBB247_15:
	v_mov_b32_e32 v1, 0
.LBB247_16:
	s_or_b32 s6, s6, exec_lo
.LBB247_17:
	s_or_b32 exec_lo, exec_lo, s4
	s_and_saveexec_b32 s2, s6
	s_cbranch_execz .LBB247_3
.LBB247_18:
	s_lshl_b64 s[2:3], s[8:9], 2
	v_lshlrev_b32_e32 v0, 2, v0
	s_add_u32 s2, s0, s2
	s_addc_u32 s3, s1, s3
	s_lshl_b64 s[0:1], s[10:11], 2
	s_add_u32 s0, s2, s0
	s_addc_u32 s1, s3, s1
	v_add_co_u32 v2, s0, s0, v0
	v_add_co_ci_u32_e64 v3, null, s1, 0, s0
	flat_store_dword v[2:3], v1
	s_endpgm
	.section	.rodata,"a",@progbits
	.p2align	6, 0x0
	.amdhsa_kernel _ZN7rocprim17ROCPRIM_400000_NS6detail17trampoline_kernelINS0_14default_configENS1_27upper_bound_config_selectorIjjEEZNS1_14transform_implILb0ES3_S5_N6thrust23THRUST_200600_302600_NS17counting_iteratorIjNS8_11use_defaultESA_SA_EENS8_6detail15normal_iteratorINS8_10device_ptrIjEEEEZNS1_13binary_searchIS3_S5_SG_SB_SG_NS1_21upper_bound_search_opENSC_16wrapped_functionINS0_4lessIvEEbEEEE10hipError_tPvRmT1_T2_T3_mmT4_T5_P12ihipStream_tbEUlRKjE_EESN_SR_SS_mST_SW_bEUlT_E_NS1_11comp_targetILNS1_3genE8ELNS1_11target_archE1030ELNS1_3gpuE2ELNS1_3repE0EEENS1_30default_config_static_selectorELNS0_4arch9wavefront6targetE0EEEvSQ_
		.amdhsa_group_segment_fixed_size 0
		.amdhsa_private_segment_fixed_size 0
		.amdhsa_kernarg_size 312
		.amdhsa_user_sgpr_count 6
		.amdhsa_user_sgpr_private_segment_buffer 1
		.amdhsa_user_sgpr_dispatch_ptr 0
		.amdhsa_user_sgpr_queue_ptr 0
		.amdhsa_user_sgpr_kernarg_segment_ptr 1
		.amdhsa_user_sgpr_dispatch_id 0
		.amdhsa_user_sgpr_flat_scratch_init 0
		.amdhsa_user_sgpr_private_segment_size 0
		.amdhsa_wavefront_size32 1
		.amdhsa_uses_dynamic_stack 0
		.amdhsa_system_sgpr_private_segment_wavefront_offset 0
		.amdhsa_system_sgpr_workgroup_id_x 1
		.amdhsa_system_sgpr_workgroup_id_y 0
		.amdhsa_system_sgpr_workgroup_id_z 0
		.amdhsa_system_sgpr_workgroup_info 0
		.amdhsa_system_vgpr_workitem_id 0
		.amdhsa_next_free_vgpr 11
		.amdhsa_next_free_sgpr 16
		.amdhsa_reserve_vcc 1
		.amdhsa_reserve_flat_scratch 0
		.amdhsa_float_round_mode_32 0
		.amdhsa_float_round_mode_16_64 0
		.amdhsa_float_denorm_mode_32 3
		.amdhsa_float_denorm_mode_16_64 3
		.amdhsa_dx10_clamp 1
		.amdhsa_ieee_mode 1
		.amdhsa_fp16_overflow 0
		.amdhsa_workgroup_processor_mode 1
		.amdhsa_memory_ordered 1
		.amdhsa_forward_progress 1
		.amdhsa_shared_vgpr_count 0
		.amdhsa_exception_fp_ieee_invalid_op 0
		.amdhsa_exception_fp_denorm_src 0
		.amdhsa_exception_fp_ieee_div_zero 0
		.amdhsa_exception_fp_ieee_overflow 0
		.amdhsa_exception_fp_ieee_underflow 0
		.amdhsa_exception_fp_ieee_inexact 0
		.amdhsa_exception_int_div_zero 0
	.end_amdhsa_kernel
	.section	.text._ZN7rocprim17ROCPRIM_400000_NS6detail17trampoline_kernelINS0_14default_configENS1_27upper_bound_config_selectorIjjEEZNS1_14transform_implILb0ES3_S5_N6thrust23THRUST_200600_302600_NS17counting_iteratorIjNS8_11use_defaultESA_SA_EENS8_6detail15normal_iteratorINS8_10device_ptrIjEEEEZNS1_13binary_searchIS3_S5_SG_SB_SG_NS1_21upper_bound_search_opENSC_16wrapped_functionINS0_4lessIvEEbEEEE10hipError_tPvRmT1_T2_T3_mmT4_T5_P12ihipStream_tbEUlRKjE_EESN_SR_SS_mST_SW_bEUlT_E_NS1_11comp_targetILNS1_3genE8ELNS1_11target_archE1030ELNS1_3gpuE2ELNS1_3repE0EEENS1_30default_config_static_selectorELNS0_4arch9wavefront6targetE0EEEvSQ_,"axG",@progbits,_ZN7rocprim17ROCPRIM_400000_NS6detail17trampoline_kernelINS0_14default_configENS1_27upper_bound_config_selectorIjjEEZNS1_14transform_implILb0ES3_S5_N6thrust23THRUST_200600_302600_NS17counting_iteratorIjNS8_11use_defaultESA_SA_EENS8_6detail15normal_iteratorINS8_10device_ptrIjEEEEZNS1_13binary_searchIS3_S5_SG_SB_SG_NS1_21upper_bound_search_opENSC_16wrapped_functionINS0_4lessIvEEbEEEE10hipError_tPvRmT1_T2_T3_mmT4_T5_P12ihipStream_tbEUlRKjE_EESN_SR_SS_mST_SW_bEUlT_E_NS1_11comp_targetILNS1_3genE8ELNS1_11target_archE1030ELNS1_3gpuE2ELNS1_3repE0EEENS1_30default_config_static_selectorELNS0_4arch9wavefront6targetE0EEEvSQ_,comdat
.Lfunc_end247:
	.size	_ZN7rocprim17ROCPRIM_400000_NS6detail17trampoline_kernelINS0_14default_configENS1_27upper_bound_config_selectorIjjEEZNS1_14transform_implILb0ES3_S5_N6thrust23THRUST_200600_302600_NS17counting_iteratorIjNS8_11use_defaultESA_SA_EENS8_6detail15normal_iteratorINS8_10device_ptrIjEEEEZNS1_13binary_searchIS3_S5_SG_SB_SG_NS1_21upper_bound_search_opENSC_16wrapped_functionINS0_4lessIvEEbEEEE10hipError_tPvRmT1_T2_T3_mmT4_T5_P12ihipStream_tbEUlRKjE_EESN_SR_SS_mST_SW_bEUlT_E_NS1_11comp_targetILNS1_3genE8ELNS1_11target_archE1030ELNS1_3gpuE2ELNS1_3repE0EEENS1_30default_config_static_selectorELNS0_4arch9wavefront6targetE0EEEvSQ_, .Lfunc_end247-_ZN7rocprim17ROCPRIM_400000_NS6detail17trampoline_kernelINS0_14default_configENS1_27upper_bound_config_selectorIjjEEZNS1_14transform_implILb0ES3_S5_N6thrust23THRUST_200600_302600_NS17counting_iteratorIjNS8_11use_defaultESA_SA_EENS8_6detail15normal_iteratorINS8_10device_ptrIjEEEEZNS1_13binary_searchIS3_S5_SG_SB_SG_NS1_21upper_bound_search_opENSC_16wrapped_functionINS0_4lessIvEEbEEEE10hipError_tPvRmT1_T2_T3_mmT4_T5_P12ihipStream_tbEUlRKjE_EESN_SR_SS_mST_SW_bEUlT_E_NS1_11comp_targetILNS1_3genE8ELNS1_11target_archE1030ELNS1_3gpuE2ELNS1_3repE0EEENS1_30default_config_static_selectorELNS0_4arch9wavefront6targetE0EEEvSQ_
                                        ; -- End function
	.set _ZN7rocprim17ROCPRIM_400000_NS6detail17trampoline_kernelINS0_14default_configENS1_27upper_bound_config_selectorIjjEEZNS1_14transform_implILb0ES3_S5_N6thrust23THRUST_200600_302600_NS17counting_iteratorIjNS8_11use_defaultESA_SA_EENS8_6detail15normal_iteratorINS8_10device_ptrIjEEEEZNS1_13binary_searchIS3_S5_SG_SB_SG_NS1_21upper_bound_search_opENSC_16wrapped_functionINS0_4lessIvEEbEEEE10hipError_tPvRmT1_T2_T3_mmT4_T5_P12ihipStream_tbEUlRKjE_EESN_SR_SS_mST_SW_bEUlT_E_NS1_11comp_targetILNS1_3genE8ELNS1_11target_archE1030ELNS1_3gpuE2ELNS1_3repE0EEENS1_30default_config_static_selectorELNS0_4arch9wavefront6targetE0EEEvSQ_.num_vgpr, 11
	.set _ZN7rocprim17ROCPRIM_400000_NS6detail17trampoline_kernelINS0_14default_configENS1_27upper_bound_config_selectorIjjEEZNS1_14transform_implILb0ES3_S5_N6thrust23THRUST_200600_302600_NS17counting_iteratorIjNS8_11use_defaultESA_SA_EENS8_6detail15normal_iteratorINS8_10device_ptrIjEEEEZNS1_13binary_searchIS3_S5_SG_SB_SG_NS1_21upper_bound_search_opENSC_16wrapped_functionINS0_4lessIvEEbEEEE10hipError_tPvRmT1_T2_T3_mmT4_T5_P12ihipStream_tbEUlRKjE_EESN_SR_SS_mST_SW_bEUlT_E_NS1_11comp_targetILNS1_3genE8ELNS1_11target_archE1030ELNS1_3gpuE2ELNS1_3repE0EEENS1_30default_config_static_selectorELNS0_4arch9wavefront6targetE0EEEvSQ_.num_agpr, 0
	.set _ZN7rocprim17ROCPRIM_400000_NS6detail17trampoline_kernelINS0_14default_configENS1_27upper_bound_config_selectorIjjEEZNS1_14transform_implILb0ES3_S5_N6thrust23THRUST_200600_302600_NS17counting_iteratorIjNS8_11use_defaultESA_SA_EENS8_6detail15normal_iteratorINS8_10device_ptrIjEEEEZNS1_13binary_searchIS3_S5_SG_SB_SG_NS1_21upper_bound_search_opENSC_16wrapped_functionINS0_4lessIvEEbEEEE10hipError_tPvRmT1_T2_T3_mmT4_T5_P12ihipStream_tbEUlRKjE_EESN_SR_SS_mST_SW_bEUlT_E_NS1_11comp_targetILNS1_3genE8ELNS1_11target_archE1030ELNS1_3gpuE2ELNS1_3repE0EEENS1_30default_config_static_selectorELNS0_4arch9wavefront6targetE0EEEvSQ_.numbered_sgpr, 16
	.set _ZN7rocprim17ROCPRIM_400000_NS6detail17trampoline_kernelINS0_14default_configENS1_27upper_bound_config_selectorIjjEEZNS1_14transform_implILb0ES3_S5_N6thrust23THRUST_200600_302600_NS17counting_iteratorIjNS8_11use_defaultESA_SA_EENS8_6detail15normal_iteratorINS8_10device_ptrIjEEEEZNS1_13binary_searchIS3_S5_SG_SB_SG_NS1_21upper_bound_search_opENSC_16wrapped_functionINS0_4lessIvEEbEEEE10hipError_tPvRmT1_T2_T3_mmT4_T5_P12ihipStream_tbEUlRKjE_EESN_SR_SS_mST_SW_bEUlT_E_NS1_11comp_targetILNS1_3genE8ELNS1_11target_archE1030ELNS1_3gpuE2ELNS1_3repE0EEENS1_30default_config_static_selectorELNS0_4arch9wavefront6targetE0EEEvSQ_.num_named_barrier, 0
	.set _ZN7rocprim17ROCPRIM_400000_NS6detail17trampoline_kernelINS0_14default_configENS1_27upper_bound_config_selectorIjjEEZNS1_14transform_implILb0ES3_S5_N6thrust23THRUST_200600_302600_NS17counting_iteratorIjNS8_11use_defaultESA_SA_EENS8_6detail15normal_iteratorINS8_10device_ptrIjEEEEZNS1_13binary_searchIS3_S5_SG_SB_SG_NS1_21upper_bound_search_opENSC_16wrapped_functionINS0_4lessIvEEbEEEE10hipError_tPvRmT1_T2_T3_mmT4_T5_P12ihipStream_tbEUlRKjE_EESN_SR_SS_mST_SW_bEUlT_E_NS1_11comp_targetILNS1_3genE8ELNS1_11target_archE1030ELNS1_3gpuE2ELNS1_3repE0EEENS1_30default_config_static_selectorELNS0_4arch9wavefront6targetE0EEEvSQ_.private_seg_size, 0
	.set _ZN7rocprim17ROCPRIM_400000_NS6detail17trampoline_kernelINS0_14default_configENS1_27upper_bound_config_selectorIjjEEZNS1_14transform_implILb0ES3_S5_N6thrust23THRUST_200600_302600_NS17counting_iteratorIjNS8_11use_defaultESA_SA_EENS8_6detail15normal_iteratorINS8_10device_ptrIjEEEEZNS1_13binary_searchIS3_S5_SG_SB_SG_NS1_21upper_bound_search_opENSC_16wrapped_functionINS0_4lessIvEEbEEEE10hipError_tPvRmT1_T2_T3_mmT4_T5_P12ihipStream_tbEUlRKjE_EESN_SR_SS_mST_SW_bEUlT_E_NS1_11comp_targetILNS1_3genE8ELNS1_11target_archE1030ELNS1_3gpuE2ELNS1_3repE0EEENS1_30default_config_static_selectorELNS0_4arch9wavefront6targetE0EEEvSQ_.uses_vcc, 1
	.set _ZN7rocprim17ROCPRIM_400000_NS6detail17trampoline_kernelINS0_14default_configENS1_27upper_bound_config_selectorIjjEEZNS1_14transform_implILb0ES3_S5_N6thrust23THRUST_200600_302600_NS17counting_iteratorIjNS8_11use_defaultESA_SA_EENS8_6detail15normal_iteratorINS8_10device_ptrIjEEEEZNS1_13binary_searchIS3_S5_SG_SB_SG_NS1_21upper_bound_search_opENSC_16wrapped_functionINS0_4lessIvEEbEEEE10hipError_tPvRmT1_T2_T3_mmT4_T5_P12ihipStream_tbEUlRKjE_EESN_SR_SS_mST_SW_bEUlT_E_NS1_11comp_targetILNS1_3genE8ELNS1_11target_archE1030ELNS1_3gpuE2ELNS1_3repE0EEENS1_30default_config_static_selectorELNS0_4arch9wavefront6targetE0EEEvSQ_.uses_flat_scratch, 0
	.set _ZN7rocprim17ROCPRIM_400000_NS6detail17trampoline_kernelINS0_14default_configENS1_27upper_bound_config_selectorIjjEEZNS1_14transform_implILb0ES3_S5_N6thrust23THRUST_200600_302600_NS17counting_iteratorIjNS8_11use_defaultESA_SA_EENS8_6detail15normal_iteratorINS8_10device_ptrIjEEEEZNS1_13binary_searchIS3_S5_SG_SB_SG_NS1_21upper_bound_search_opENSC_16wrapped_functionINS0_4lessIvEEbEEEE10hipError_tPvRmT1_T2_T3_mmT4_T5_P12ihipStream_tbEUlRKjE_EESN_SR_SS_mST_SW_bEUlT_E_NS1_11comp_targetILNS1_3genE8ELNS1_11target_archE1030ELNS1_3gpuE2ELNS1_3repE0EEENS1_30default_config_static_selectorELNS0_4arch9wavefront6targetE0EEEvSQ_.has_dyn_sized_stack, 0
	.set _ZN7rocprim17ROCPRIM_400000_NS6detail17trampoline_kernelINS0_14default_configENS1_27upper_bound_config_selectorIjjEEZNS1_14transform_implILb0ES3_S5_N6thrust23THRUST_200600_302600_NS17counting_iteratorIjNS8_11use_defaultESA_SA_EENS8_6detail15normal_iteratorINS8_10device_ptrIjEEEEZNS1_13binary_searchIS3_S5_SG_SB_SG_NS1_21upper_bound_search_opENSC_16wrapped_functionINS0_4lessIvEEbEEEE10hipError_tPvRmT1_T2_T3_mmT4_T5_P12ihipStream_tbEUlRKjE_EESN_SR_SS_mST_SW_bEUlT_E_NS1_11comp_targetILNS1_3genE8ELNS1_11target_archE1030ELNS1_3gpuE2ELNS1_3repE0EEENS1_30default_config_static_selectorELNS0_4arch9wavefront6targetE0EEEvSQ_.has_recursion, 0
	.set _ZN7rocprim17ROCPRIM_400000_NS6detail17trampoline_kernelINS0_14default_configENS1_27upper_bound_config_selectorIjjEEZNS1_14transform_implILb0ES3_S5_N6thrust23THRUST_200600_302600_NS17counting_iteratorIjNS8_11use_defaultESA_SA_EENS8_6detail15normal_iteratorINS8_10device_ptrIjEEEEZNS1_13binary_searchIS3_S5_SG_SB_SG_NS1_21upper_bound_search_opENSC_16wrapped_functionINS0_4lessIvEEbEEEE10hipError_tPvRmT1_T2_T3_mmT4_T5_P12ihipStream_tbEUlRKjE_EESN_SR_SS_mST_SW_bEUlT_E_NS1_11comp_targetILNS1_3genE8ELNS1_11target_archE1030ELNS1_3gpuE2ELNS1_3repE0EEENS1_30default_config_static_selectorELNS0_4arch9wavefront6targetE0EEEvSQ_.has_indirect_call, 0
	.section	.AMDGPU.csdata,"",@progbits
; Kernel info:
; codeLenInByte = 688
; TotalNumSgprs: 18
; NumVgprs: 11
; ScratchSize: 0
; MemoryBound: 0
; FloatMode: 240
; IeeeMode: 1
; LDSByteSize: 0 bytes/workgroup (compile time only)
; SGPRBlocks: 0
; VGPRBlocks: 1
; NumSGPRsForWavesPerEU: 18
; NumVGPRsForWavesPerEU: 11
; Occupancy: 16
; WaveLimiterHint : 0
; COMPUTE_PGM_RSRC2:SCRATCH_EN: 0
; COMPUTE_PGM_RSRC2:USER_SGPR: 6
; COMPUTE_PGM_RSRC2:TRAP_HANDLER: 0
; COMPUTE_PGM_RSRC2:TGID_X_EN: 1
; COMPUTE_PGM_RSRC2:TGID_Y_EN: 0
; COMPUTE_PGM_RSRC2:TGID_Z_EN: 0
; COMPUTE_PGM_RSRC2:TIDIG_COMP_CNT: 0
	.section	.text._ZN6thrust23THRUST_200600_302600_NS11hip_rocprim14__parallel_for6kernelILj256ENS1_20__uninitialized_copy7functorINS0_10device_ptrINS0_5tupleIffNS0_9null_typeES8_S8_S8_S8_S8_S8_S8_EEEENS0_7pointerIS9_NS1_3tagENS0_11use_defaultESD_EEEEmLj1EEEvT0_T1_SH_,"axG",@progbits,_ZN6thrust23THRUST_200600_302600_NS11hip_rocprim14__parallel_for6kernelILj256ENS1_20__uninitialized_copy7functorINS0_10device_ptrINS0_5tupleIffNS0_9null_typeES8_S8_S8_S8_S8_S8_S8_EEEENS0_7pointerIS9_NS1_3tagENS0_11use_defaultESD_EEEEmLj1EEEvT0_T1_SH_,comdat
	.protected	_ZN6thrust23THRUST_200600_302600_NS11hip_rocprim14__parallel_for6kernelILj256ENS1_20__uninitialized_copy7functorINS0_10device_ptrINS0_5tupleIffNS0_9null_typeES8_S8_S8_S8_S8_S8_S8_EEEENS0_7pointerIS9_NS1_3tagENS0_11use_defaultESD_EEEEmLj1EEEvT0_T1_SH_ ; -- Begin function _ZN6thrust23THRUST_200600_302600_NS11hip_rocprim14__parallel_for6kernelILj256ENS1_20__uninitialized_copy7functorINS0_10device_ptrINS0_5tupleIffNS0_9null_typeES8_S8_S8_S8_S8_S8_S8_EEEENS0_7pointerIS9_NS1_3tagENS0_11use_defaultESD_EEEEmLj1EEEvT0_T1_SH_
	.globl	_ZN6thrust23THRUST_200600_302600_NS11hip_rocprim14__parallel_for6kernelILj256ENS1_20__uninitialized_copy7functorINS0_10device_ptrINS0_5tupleIffNS0_9null_typeES8_S8_S8_S8_S8_S8_S8_EEEENS0_7pointerIS9_NS1_3tagENS0_11use_defaultESD_EEEEmLj1EEEvT0_T1_SH_
	.p2align	8
	.type	_ZN6thrust23THRUST_200600_302600_NS11hip_rocprim14__parallel_for6kernelILj256ENS1_20__uninitialized_copy7functorINS0_10device_ptrINS0_5tupleIffNS0_9null_typeES8_S8_S8_S8_S8_S8_S8_EEEENS0_7pointerIS9_NS1_3tagENS0_11use_defaultESD_EEEEmLj1EEEvT0_T1_SH_,@function
_ZN6thrust23THRUST_200600_302600_NS11hip_rocprim14__parallel_for6kernelILj256ENS1_20__uninitialized_copy7functorINS0_10device_ptrINS0_5tupleIffNS0_9null_typeES8_S8_S8_S8_S8_S8_S8_EEEENS0_7pointerIS9_NS1_3tagENS0_11use_defaultESD_EEEEmLj1EEEvT0_T1_SH_: ; @_ZN6thrust23THRUST_200600_302600_NS11hip_rocprim14__parallel_for6kernelILj256ENS1_20__uninitialized_copy7functorINS0_10device_ptrINS0_5tupleIffNS0_9null_typeES8_S8_S8_S8_S8_S8_S8_EEEENS0_7pointerIS9_NS1_3tagENS0_11use_defaultESD_EEEEmLj1EEEvT0_T1_SH_
; %bb.0:
	s_load_dwordx8 s[8:15], s[4:5], 0x0
	s_lshl_b32 s0, s6, 8
	s_waitcnt lgkmcnt(0)
	s_add_u32 s2, s14, s0
	s_addc_u32 s3, s15, 0
	s_sub_u32 s0, s12, s2
	s_subb_u32 s1, s13, s3
	v_cmp_lt_u64_e64 s1, 0xff, s[0:1]
	s_and_b32 vcc_lo, exec_lo, s1
	s_mov_b32 s1, -1
	s_cbranch_vccz .LBB248_3
; %bb.1:
	s_andn2_b32 vcc_lo, exec_lo, s1
	s_cbranch_vccz .LBB248_6
.LBB248_2:
	s_endpgm
.LBB248_3:
	v_cmp_gt_u32_e32 vcc_lo, s0, v0
	s_and_saveexec_b32 s0, vcc_lo
	s_cbranch_execz .LBB248_5
; %bb.4:
	v_add_co_u32 v1, s1, s2, v0
	v_add_co_ci_u32_e64 v2, null, s3, 0, s1
	v_lshlrev_b64 v[1:2], 3, v[1:2]
	v_add_co_u32 v3, vcc_lo, s8, v1
	v_add_co_ci_u32_e64 v4, null, s9, v2, vcc_lo
	v_add_co_u32 v1, vcc_lo, s10, v1
	v_add_co_ci_u32_e64 v2, null, s11, v2, vcc_lo
	flat_load_dwordx2 v[3:4], v[3:4]
	s_waitcnt vmcnt(0) lgkmcnt(0)
	flat_store_dwordx2 v[1:2], v[3:4]
.LBB248_5:
	s_or_b32 exec_lo, exec_lo, s0
	s_cbranch_execnz .LBB248_2
.LBB248_6:
	v_add_co_u32 v0, s0, s2, v0
	v_add_co_ci_u32_e64 v1, null, s3, 0, s0
	v_lshlrev_b64 v[0:1], 3, v[0:1]
	v_add_co_u32 v2, vcc_lo, s8, v0
	v_add_co_ci_u32_e64 v3, null, s9, v1, vcc_lo
	v_add_co_u32 v0, vcc_lo, s10, v0
	v_add_co_ci_u32_e64 v1, null, s11, v1, vcc_lo
	flat_load_dwordx2 v[2:3], v[2:3]
	s_waitcnt vmcnt(0) lgkmcnt(0)
	flat_store_dwordx2 v[0:1], v[2:3]
	s_endpgm
	.section	.rodata,"a",@progbits
	.p2align	6, 0x0
	.amdhsa_kernel _ZN6thrust23THRUST_200600_302600_NS11hip_rocprim14__parallel_for6kernelILj256ENS1_20__uninitialized_copy7functorINS0_10device_ptrINS0_5tupleIffNS0_9null_typeES8_S8_S8_S8_S8_S8_S8_EEEENS0_7pointerIS9_NS1_3tagENS0_11use_defaultESD_EEEEmLj1EEEvT0_T1_SH_
		.amdhsa_group_segment_fixed_size 0
		.amdhsa_private_segment_fixed_size 0
		.amdhsa_kernarg_size 32
		.amdhsa_user_sgpr_count 6
		.amdhsa_user_sgpr_private_segment_buffer 1
		.amdhsa_user_sgpr_dispatch_ptr 0
		.amdhsa_user_sgpr_queue_ptr 0
		.amdhsa_user_sgpr_kernarg_segment_ptr 1
		.amdhsa_user_sgpr_dispatch_id 0
		.amdhsa_user_sgpr_flat_scratch_init 0
		.amdhsa_user_sgpr_private_segment_size 0
		.amdhsa_wavefront_size32 1
		.amdhsa_uses_dynamic_stack 0
		.amdhsa_system_sgpr_private_segment_wavefront_offset 0
		.amdhsa_system_sgpr_workgroup_id_x 1
		.amdhsa_system_sgpr_workgroup_id_y 0
		.amdhsa_system_sgpr_workgroup_id_z 0
		.amdhsa_system_sgpr_workgroup_info 0
		.amdhsa_system_vgpr_workitem_id 0
		.amdhsa_next_free_vgpr 5
		.amdhsa_next_free_sgpr 16
		.amdhsa_reserve_vcc 1
		.amdhsa_reserve_flat_scratch 0
		.amdhsa_float_round_mode_32 0
		.amdhsa_float_round_mode_16_64 0
		.amdhsa_float_denorm_mode_32 3
		.amdhsa_float_denorm_mode_16_64 3
		.amdhsa_dx10_clamp 1
		.amdhsa_ieee_mode 1
		.amdhsa_fp16_overflow 0
		.amdhsa_workgroup_processor_mode 1
		.amdhsa_memory_ordered 1
		.amdhsa_forward_progress 1
		.amdhsa_shared_vgpr_count 0
		.amdhsa_exception_fp_ieee_invalid_op 0
		.amdhsa_exception_fp_denorm_src 0
		.amdhsa_exception_fp_ieee_div_zero 0
		.amdhsa_exception_fp_ieee_overflow 0
		.amdhsa_exception_fp_ieee_underflow 0
		.amdhsa_exception_fp_ieee_inexact 0
		.amdhsa_exception_int_div_zero 0
	.end_amdhsa_kernel
	.section	.text._ZN6thrust23THRUST_200600_302600_NS11hip_rocprim14__parallel_for6kernelILj256ENS1_20__uninitialized_copy7functorINS0_10device_ptrINS0_5tupleIffNS0_9null_typeES8_S8_S8_S8_S8_S8_S8_EEEENS0_7pointerIS9_NS1_3tagENS0_11use_defaultESD_EEEEmLj1EEEvT0_T1_SH_,"axG",@progbits,_ZN6thrust23THRUST_200600_302600_NS11hip_rocprim14__parallel_for6kernelILj256ENS1_20__uninitialized_copy7functorINS0_10device_ptrINS0_5tupleIffNS0_9null_typeES8_S8_S8_S8_S8_S8_S8_EEEENS0_7pointerIS9_NS1_3tagENS0_11use_defaultESD_EEEEmLj1EEEvT0_T1_SH_,comdat
.Lfunc_end248:
	.size	_ZN6thrust23THRUST_200600_302600_NS11hip_rocprim14__parallel_for6kernelILj256ENS1_20__uninitialized_copy7functorINS0_10device_ptrINS0_5tupleIffNS0_9null_typeES8_S8_S8_S8_S8_S8_S8_EEEENS0_7pointerIS9_NS1_3tagENS0_11use_defaultESD_EEEEmLj1EEEvT0_T1_SH_, .Lfunc_end248-_ZN6thrust23THRUST_200600_302600_NS11hip_rocprim14__parallel_for6kernelILj256ENS1_20__uninitialized_copy7functorINS0_10device_ptrINS0_5tupleIffNS0_9null_typeES8_S8_S8_S8_S8_S8_S8_EEEENS0_7pointerIS9_NS1_3tagENS0_11use_defaultESD_EEEEmLj1EEEvT0_T1_SH_
                                        ; -- End function
	.set _ZN6thrust23THRUST_200600_302600_NS11hip_rocprim14__parallel_for6kernelILj256ENS1_20__uninitialized_copy7functorINS0_10device_ptrINS0_5tupleIffNS0_9null_typeES8_S8_S8_S8_S8_S8_S8_EEEENS0_7pointerIS9_NS1_3tagENS0_11use_defaultESD_EEEEmLj1EEEvT0_T1_SH_.num_vgpr, 5
	.set _ZN6thrust23THRUST_200600_302600_NS11hip_rocprim14__parallel_for6kernelILj256ENS1_20__uninitialized_copy7functorINS0_10device_ptrINS0_5tupleIffNS0_9null_typeES8_S8_S8_S8_S8_S8_S8_EEEENS0_7pointerIS9_NS1_3tagENS0_11use_defaultESD_EEEEmLj1EEEvT0_T1_SH_.num_agpr, 0
	.set _ZN6thrust23THRUST_200600_302600_NS11hip_rocprim14__parallel_for6kernelILj256ENS1_20__uninitialized_copy7functorINS0_10device_ptrINS0_5tupleIffNS0_9null_typeES8_S8_S8_S8_S8_S8_S8_EEEENS0_7pointerIS9_NS1_3tagENS0_11use_defaultESD_EEEEmLj1EEEvT0_T1_SH_.numbered_sgpr, 16
	.set _ZN6thrust23THRUST_200600_302600_NS11hip_rocprim14__parallel_for6kernelILj256ENS1_20__uninitialized_copy7functorINS0_10device_ptrINS0_5tupleIffNS0_9null_typeES8_S8_S8_S8_S8_S8_S8_EEEENS0_7pointerIS9_NS1_3tagENS0_11use_defaultESD_EEEEmLj1EEEvT0_T1_SH_.num_named_barrier, 0
	.set _ZN6thrust23THRUST_200600_302600_NS11hip_rocprim14__parallel_for6kernelILj256ENS1_20__uninitialized_copy7functorINS0_10device_ptrINS0_5tupleIffNS0_9null_typeES8_S8_S8_S8_S8_S8_S8_EEEENS0_7pointerIS9_NS1_3tagENS0_11use_defaultESD_EEEEmLj1EEEvT0_T1_SH_.private_seg_size, 0
	.set _ZN6thrust23THRUST_200600_302600_NS11hip_rocprim14__parallel_for6kernelILj256ENS1_20__uninitialized_copy7functorINS0_10device_ptrINS0_5tupleIffNS0_9null_typeES8_S8_S8_S8_S8_S8_S8_EEEENS0_7pointerIS9_NS1_3tagENS0_11use_defaultESD_EEEEmLj1EEEvT0_T1_SH_.uses_vcc, 1
	.set _ZN6thrust23THRUST_200600_302600_NS11hip_rocprim14__parallel_for6kernelILj256ENS1_20__uninitialized_copy7functorINS0_10device_ptrINS0_5tupleIffNS0_9null_typeES8_S8_S8_S8_S8_S8_S8_EEEENS0_7pointerIS9_NS1_3tagENS0_11use_defaultESD_EEEEmLj1EEEvT0_T1_SH_.uses_flat_scratch, 0
	.set _ZN6thrust23THRUST_200600_302600_NS11hip_rocprim14__parallel_for6kernelILj256ENS1_20__uninitialized_copy7functorINS0_10device_ptrINS0_5tupleIffNS0_9null_typeES8_S8_S8_S8_S8_S8_S8_EEEENS0_7pointerIS9_NS1_3tagENS0_11use_defaultESD_EEEEmLj1EEEvT0_T1_SH_.has_dyn_sized_stack, 0
	.set _ZN6thrust23THRUST_200600_302600_NS11hip_rocprim14__parallel_for6kernelILj256ENS1_20__uninitialized_copy7functorINS0_10device_ptrINS0_5tupleIffNS0_9null_typeES8_S8_S8_S8_S8_S8_S8_EEEENS0_7pointerIS9_NS1_3tagENS0_11use_defaultESD_EEEEmLj1EEEvT0_T1_SH_.has_recursion, 0
	.set _ZN6thrust23THRUST_200600_302600_NS11hip_rocprim14__parallel_for6kernelILj256ENS1_20__uninitialized_copy7functorINS0_10device_ptrINS0_5tupleIffNS0_9null_typeES8_S8_S8_S8_S8_S8_S8_EEEENS0_7pointerIS9_NS1_3tagENS0_11use_defaultESD_EEEEmLj1EEEvT0_T1_SH_.has_indirect_call, 0
	.section	.AMDGPU.csdata,"",@progbits
; Kernel info:
; codeLenInByte = 244
; TotalNumSgprs: 18
; NumVgprs: 5
; ScratchSize: 0
; MemoryBound: 0
; FloatMode: 240
; IeeeMode: 1
; LDSByteSize: 0 bytes/workgroup (compile time only)
; SGPRBlocks: 0
; VGPRBlocks: 0
; NumSGPRsForWavesPerEU: 18
; NumVGPRsForWavesPerEU: 5
; Occupancy: 16
; WaveLimiterHint : 0
; COMPUTE_PGM_RSRC2:SCRATCH_EN: 0
; COMPUTE_PGM_RSRC2:USER_SGPR: 6
; COMPUTE_PGM_RSRC2:TRAP_HANDLER: 0
; COMPUTE_PGM_RSRC2:TGID_X_EN: 1
; COMPUTE_PGM_RSRC2:TGID_Y_EN: 0
; COMPUTE_PGM_RSRC2:TGID_Z_EN: 0
; COMPUTE_PGM_RSRC2:TIDIG_COMP_CNT: 0
	.section	.AMDGPU.gpr_maximums,"",@progbits
	.set amdgpu.max_num_vgpr, 0
	.set amdgpu.max_num_agpr, 0
	.set amdgpu.max_num_sgpr, 0
	.section	.AMDGPU.csdata,"",@progbits
	.protected	_ZN7rocprim17ROCPRIM_400000_NS16block_radix_sortIjLj256ELj4EN6thrust23THRUST_200600_302600_NS5tupleIffNS3_9null_typeES5_S5_S5_S5_S5_S5_S5_EELj1ELj1ELj0ELNS0_26block_radix_rank_algorithmE1ELNS0_18block_padding_hintE2ELNS0_4arch9wavefront6targetE0EE19radix_bits_per_passE ; @_ZN7rocprim17ROCPRIM_400000_NS16block_radix_sortIjLj256ELj4EN6thrust23THRUST_200600_302600_NS5tupleIffNS3_9null_typeES5_S5_S5_S5_S5_S5_S5_EELj1ELj1ELj0ELNS0_26block_radix_rank_algorithmE1ELNS0_18block_padding_hintE2ELNS0_4arch9wavefront6targetE0EE19radix_bits_per_passE
	.type	_ZN7rocprim17ROCPRIM_400000_NS16block_radix_sortIjLj256ELj4EN6thrust23THRUST_200600_302600_NS5tupleIffNS3_9null_typeES5_S5_S5_S5_S5_S5_S5_EELj1ELj1ELj0ELNS0_26block_radix_rank_algorithmE1ELNS0_18block_padding_hintE2ELNS0_4arch9wavefront6targetE0EE19radix_bits_per_passE,@object
	.section	.rodata._ZN7rocprim17ROCPRIM_400000_NS16block_radix_sortIjLj256ELj4EN6thrust23THRUST_200600_302600_NS5tupleIffNS3_9null_typeES5_S5_S5_S5_S5_S5_S5_EELj1ELj1ELj0ELNS0_26block_radix_rank_algorithmE1ELNS0_18block_padding_hintE2ELNS0_4arch9wavefront6targetE0EE19radix_bits_per_passE,"aG",@progbits,_ZN7rocprim17ROCPRIM_400000_NS16block_radix_sortIjLj256ELj4EN6thrust23THRUST_200600_302600_NS5tupleIffNS3_9null_typeES5_S5_S5_S5_S5_S5_S5_EELj1ELj1ELj0ELNS0_26block_radix_rank_algorithmE1ELNS0_18block_padding_hintE2ELNS0_4arch9wavefront6targetE0EE19radix_bits_per_passE,comdat
	.weak	_ZN7rocprim17ROCPRIM_400000_NS16block_radix_sortIjLj256ELj4EN6thrust23THRUST_200600_302600_NS5tupleIffNS3_9null_typeES5_S5_S5_S5_S5_S5_S5_EELj1ELj1ELj0ELNS0_26block_radix_rank_algorithmE1ELNS0_18block_padding_hintE2ELNS0_4arch9wavefront6targetE0EE19radix_bits_per_passE
	.p2align	2, 0x0
_ZN7rocprim17ROCPRIM_400000_NS16block_radix_sortIjLj256ELj4EN6thrust23THRUST_200600_302600_NS5tupleIffNS3_9null_typeES5_S5_S5_S5_S5_S5_S5_EELj1ELj1ELj0ELNS0_26block_radix_rank_algorithmE1ELNS0_18block_padding_hintE2ELNS0_4arch9wavefront6targetE0EE19radix_bits_per_passE:
	.long	8                               ; 0x8
	.size	_ZN7rocprim17ROCPRIM_400000_NS16block_radix_sortIjLj256ELj4EN6thrust23THRUST_200600_302600_NS5tupleIffNS3_9null_typeES5_S5_S5_S5_S5_S5_S5_EELj1ELj1ELj0ELNS0_26block_radix_rank_algorithmE1ELNS0_18block_padding_hintE2ELNS0_4arch9wavefront6targetE0EE19radix_bits_per_passE, 4

	.type	__hip_cuid_9c69262fb8177472,@object ; @__hip_cuid_9c69262fb8177472
	.section	.bss,"aw",@nobits
	.globl	__hip_cuid_9c69262fb8177472
__hip_cuid_9c69262fb8177472:
	.byte	0                               ; 0x0
	.size	__hip_cuid_9c69262fb8177472, 1

	.ident	"AMD clang version 22.0.0git (https://github.com/RadeonOpenCompute/llvm-project roc-7.2.4 26084 f58b06dce1f9c15707c5f808fd002e18c2accf7e)"
	.section	".note.GNU-stack","",@progbits
	.addrsig
	.addrsig_sym __hip_cuid_9c69262fb8177472
	.amdgpu_metadata
---
amdhsa.kernels:
  - .args:
      - .offset:         0
        .size:           16
        .value_kind:     by_value
      - .offset:         16
        .size:           8
        .value_kind:     by_value
      - .offset:         24
        .size:           8
        .value_kind:     by_value
    .group_segment_fixed_size: 0
    .kernarg_segment_align: 8
    .kernarg_segment_size: 32
    .language:       OpenCL C
    .language_version:
      - 2
      - 0
    .max_flat_workgroup_size: 256
    .name:           _ZN6thrust23THRUST_200600_302600_NS11hip_rocprim14__parallel_for6kernelILj256ENS1_10for_each_fINS0_7pointerINS0_5tupleIffNS0_9null_typeES7_S7_S7_S7_S7_S7_S7_EENS1_3tagENS0_11use_defaultESA_EENS0_6detail16wrapped_functionINSC_23allocator_traits_detail24construct1_via_allocatorINSC_18no_throw_allocatorINSC_19temporary_allocatorIS8_S9_EEEEEEvEEEEmLj1EEEvT0_T1_SO_
    .private_segment_fixed_size: 0
    .sgpr_count:     14
    .sgpr_spill_count: 0
    .symbol:         _ZN6thrust23THRUST_200600_302600_NS11hip_rocprim14__parallel_for6kernelILj256ENS1_10for_each_fINS0_7pointerINS0_5tupleIffNS0_9null_typeES7_S7_S7_S7_S7_S7_S7_EENS1_3tagENS0_11use_defaultESA_EENS0_6detail16wrapped_functionINSC_23allocator_traits_detail24construct1_via_allocatorINSC_18no_throw_allocatorINSC_19temporary_allocatorIS8_S9_EEEEEEvEEEEmLj1EEEvT0_T1_SO_.kd
    .uniform_work_group_size: 1
    .uses_dynamic_stack: false
    .vgpr_count:     5
    .vgpr_spill_count: 0
    .wavefront_size: 32
    .workgroup_processor_mode: 1
  - .args:
      - .offset:         0
        .size:           16
        .value_kind:     by_value
      - .offset:         16
        .size:           8
        .value_kind:     by_value
      - .offset:         24
        .size:           8
        .value_kind:     by_value
    .group_segment_fixed_size: 0
    .kernarg_segment_align: 8
    .kernarg_segment_size: 32
    .language:       OpenCL C
    .language_version:
      - 2
      - 0
    .max_flat_workgroup_size: 256
    .name:           _ZN6thrust23THRUST_200600_302600_NS11hip_rocprim14__parallel_for6kernelILj256ENS1_10for_each_fINS0_7pointerINS0_5tupleIffNS0_9null_typeES7_S7_S7_S7_S7_S7_S7_EENS1_3tagENS0_11use_defaultESA_EENS0_6detail16wrapped_functionINSC_23allocator_traits_detail5gozerEvEEEElLj1EEEvT0_T1_SJ_
    .private_segment_fixed_size: 0
    .sgpr_count:     0
    .sgpr_spill_count: 0
    .symbol:         _ZN6thrust23THRUST_200600_302600_NS11hip_rocprim14__parallel_for6kernelILj256ENS1_10for_each_fINS0_7pointerINS0_5tupleIffNS0_9null_typeES7_S7_S7_S7_S7_S7_S7_EENS1_3tagENS0_11use_defaultESA_EENS0_6detail16wrapped_functionINSC_23allocator_traits_detail5gozerEvEEEElLj1EEEvT0_T1_SJ_.kd
    .uniform_work_group_size: 1
    .uses_dynamic_stack: false
    .vgpr_count:     0
    .vgpr_spill_count: 0
    .wavefront_size: 32
    .workgroup_processor_mode: 1
  - .args:
      - .offset:         0
        .size:           24
        .value_kind:     by_value
      - .offset:         24
        .size:           8
        .value_kind:     by_value
      - .offset:         32
        .size:           8
        .value_kind:     by_value
    .group_segment_fixed_size: 0
    .kernarg_segment_align: 8
    .kernarg_segment_size: 40
    .language:       OpenCL C
    .language_version:
      - 2
      - 0
    .max_flat_workgroup_size: 256
    .name:           _ZN6thrust23THRUST_200600_302600_NS11hip_rocprim14__parallel_for6kernelILj256ENS1_11__transform17unary_transform_fINS0_7pointerINS0_5tupleIffNS0_9null_typeES8_S8_S8_S8_S8_S8_S8_EENS1_3tagENS0_11use_defaultESB_EENS0_10device_ptrIS9_EENS4_14no_stencil_tagENS0_8identityIS9_EENS4_21always_true_predicateEEElLj1EEEvT0_T1_SL_
    .private_segment_fixed_size: 0
    .sgpr_count:     14
    .sgpr_spill_count: 0
    .symbol:         _ZN6thrust23THRUST_200600_302600_NS11hip_rocprim14__parallel_for6kernelILj256ENS1_11__transform17unary_transform_fINS0_7pointerINS0_5tupleIffNS0_9null_typeES8_S8_S8_S8_S8_S8_S8_EENS1_3tagENS0_11use_defaultESB_EENS0_10device_ptrIS9_EENS4_14no_stencil_tagENS0_8identityIS9_EENS4_21always_true_predicateEEElLj1EEEvT0_T1_SL_.kd
    .uniform_work_group_size: 1
    .uses_dynamic_stack: false
    .vgpr_count:     5
    .vgpr_spill_count: 0
    .wavefront_size: 32
    .workgroup_processor_mode: 1
  - .args:
      - .offset:         0
        .size:           16
        .value_kind:     by_value
      - .offset:         16
        .size:           8
        .value_kind:     by_value
      - .offset:         24
        .size:           8
        .value_kind:     by_value
    .group_segment_fixed_size: 0
    .kernarg_segment_align: 8
    .kernarg_segment_size: 32
    .language:       OpenCL C
    .language_version:
      - 2
      - 0
    .max_flat_workgroup_size: 256
    .name:           _ZN6thrust23THRUST_200600_302600_NS11hip_rocprim14__parallel_for6kernelILj256ENS1_20__uninitialized_copy7functorINS0_7pointerINS0_5tupleIffNS0_9null_typeES8_S8_S8_S8_S8_S8_S8_EENS1_3tagENS0_11use_defaultESB_EESC_EEmLj1EEEvT0_T1_SF_
    .private_segment_fixed_size: 0
    .sgpr_count:     18
    .sgpr_spill_count: 0
    .symbol:         _ZN6thrust23THRUST_200600_302600_NS11hip_rocprim14__parallel_for6kernelILj256ENS1_20__uninitialized_copy7functorINS0_7pointerINS0_5tupleIffNS0_9null_typeES8_S8_S8_S8_S8_S8_S8_EENS1_3tagENS0_11use_defaultESB_EESC_EEmLj1EEEvT0_T1_SF_.kd
    .uniform_work_group_size: 1
    .uses_dynamic_stack: false
    .vgpr_count:     5
    .vgpr_spill_count: 0
    .wavefront_size: 32
    .workgroup_processor_mode: 1
  - .args:
      - .offset:         0
        .size:           16
        .value_kind:     by_value
      - .offset:         16
        .size:           8
        .value_kind:     by_value
      - .offset:         24
        .size:           8
        .value_kind:     by_value
    .group_segment_fixed_size: 0
    .kernarg_segment_align: 8
    .kernarg_segment_size: 32
    .language:       OpenCL C
    .language_version:
      - 2
      - 0
    .max_flat_workgroup_size: 256
    .name:           _ZN6thrust23THRUST_200600_302600_NS11hip_rocprim14__parallel_for6kernelILj256ENS1_10for_each_fINS0_10device_ptrINS0_5tupleIffNS0_9null_typeES7_S7_S7_S7_S7_S7_S7_EEEENS0_6detail16wrapped_functionINSA_23allocator_traits_detail5gozerEvEEEElLj1EEEvT0_T1_SH_
    .private_segment_fixed_size: 0
    .sgpr_count:     0
    .sgpr_spill_count: 0
    .symbol:         _ZN6thrust23THRUST_200600_302600_NS11hip_rocprim14__parallel_for6kernelILj256ENS1_10for_each_fINS0_10device_ptrINS0_5tupleIffNS0_9null_typeES7_S7_S7_S7_S7_S7_S7_EEEENS0_6detail16wrapped_functionINSA_23allocator_traits_detail5gozerEvEEEElLj1EEEvT0_T1_SH_.kd
    .uniform_work_group_size: 1
    .uses_dynamic_stack: false
    .vgpr_count:     0
    .vgpr_spill_count: 0
    .wavefront_size: 32
    .workgroup_processor_mode: 1
  - .args:
      - .offset:         0
        .size:           16
        .value_kind:     by_value
      - .offset:         16
        .size:           8
        .value_kind:     by_value
      - .offset:         24
        .size:           8
        .value_kind:     by_value
    .group_segment_fixed_size: 0
    .kernarg_segment_align: 8
    .kernarg_segment_size: 32
    .language:       OpenCL C
    .language_version:
      - 2
      - 0
    .max_flat_workgroup_size: 256
    .name:           _ZN6thrust23THRUST_200600_302600_NS11hip_rocprim14__parallel_for6kernelILj256ENS1_20__uninitialized_fill7functorINS0_10device_ptrIjEEjEEmLj1EEEvT0_T1_SA_
    .private_segment_fixed_size: 0
    .sgpr_count:     14
    .sgpr_spill_count: 0
    .symbol:         _ZN6thrust23THRUST_200600_302600_NS11hip_rocprim14__parallel_for6kernelILj256ENS1_20__uninitialized_fill7functorINS0_10device_ptrIjEEjEEmLj1EEEvT0_T1_SA_.kd
    .uniform_work_group_size: 1
    .uses_dynamic_stack: false
    .vgpr_count:     4
    .vgpr_spill_count: 0
    .wavefront_size: 32
    .workgroup_processor_mode: 1
  - .args:
      - .offset:         0
        .size:           32
        .value_kind:     by_value
      - .offset:         32
        .size:           8
        .value_kind:     by_value
      - .offset:         40
        .size:           8
        .value_kind:     by_value
    .group_segment_fixed_size: 0
    .kernarg_segment_align: 8
    .kernarg_segment_size: 48
    .language:       OpenCL C
    .language_version:
      - 2
      - 0
    .max_flat_workgroup_size: 256
    .name:           _ZN6thrust23THRUST_200600_302600_NS11hip_rocprim14__parallel_for6kernelILj256ENS1_11__transform17unary_transform_fINS0_6detail15normal_iteratorINS0_10device_ptrINS0_5tupleIffNS0_9null_typeESA_SA_SA_SA_SA_SA_SA_EEEEEENS7_INS8_IjEEEENS4_14no_stencil_tagE21point_to_bucket_indexNS4_21always_true_predicateEEElLj1EEEvT0_T1_SL_
    .private_segment_fixed_size: 0
    .sgpr_count:     14
    .sgpr_spill_count: 0
    .symbol:         _ZN6thrust23THRUST_200600_302600_NS11hip_rocprim14__parallel_for6kernelILj256ENS1_11__transform17unary_transform_fINS0_6detail15normal_iteratorINS0_10device_ptrINS0_5tupleIffNS0_9null_typeESA_SA_SA_SA_SA_SA_SA_EEEEEENS7_INS8_IjEEEENS4_14no_stencil_tagE21point_to_bucket_indexNS4_21always_true_predicateEEElLj1EEEvT0_T1_SL_.kd
    .uniform_work_group_size: 1
    .uses_dynamic_stack: false
    .vgpr_count:     7
    .vgpr_spill_count: 0
    .wavefront_size: 32
    .workgroup_processor_mode: 1
  - .args:
      - .offset:         0
        .size:           48
        .value_kind:     by_value
    .group_segment_fixed_size: 0
    .kernarg_segment_align: 8
    .kernarg_segment_size: 48
    .language:       OpenCL C
    .language_version:
      - 2
      - 0
    .max_flat_workgroup_size: 256
    .name:           _ZN7rocprim17ROCPRIM_400000_NS6detail17trampoline_kernelINS0_13kernel_configILj256ELj4ELj4294967295EEENS1_37radix_sort_block_sort_config_selectorIjN6thrust23THRUST_200600_302600_NS5tupleIffNS7_9null_typeES9_S9_S9_S9_S9_S9_S9_EEEEZNS1_21radix_sort_block_sortIS4_Lb0ENS7_6detail15normal_iteratorINS7_10device_ptrIjEEEESH_NSE_INSF_ISA_EEEESJ_NS0_19identity_decomposerEEE10hipError_tT1_T2_T3_T4_jRjT5_jjP12ihipStream_tbEUlT_E_NS1_11comp_targetILNS1_3genE0ELNS1_11target_archE4294967295ELNS1_3gpuE0ELNS1_3repE0EEENS1_44radix_sort_block_sort_config_static_selectorELNS0_4arch9wavefront6targetE0EEEvSM_
    .private_segment_fixed_size: 0
    .sgpr_count:     0
    .sgpr_spill_count: 0
    .symbol:         _ZN7rocprim17ROCPRIM_400000_NS6detail17trampoline_kernelINS0_13kernel_configILj256ELj4ELj4294967295EEENS1_37radix_sort_block_sort_config_selectorIjN6thrust23THRUST_200600_302600_NS5tupleIffNS7_9null_typeES9_S9_S9_S9_S9_S9_S9_EEEEZNS1_21radix_sort_block_sortIS4_Lb0ENS7_6detail15normal_iteratorINS7_10device_ptrIjEEEESH_NSE_INSF_ISA_EEEESJ_NS0_19identity_decomposerEEE10hipError_tT1_T2_T3_T4_jRjT5_jjP12ihipStream_tbEUlT_E_NS1_11comp_targetILNS1_3genE0ELNS1_11target_archE4294967295ELNS1_3gpuE0ELNS1_3repE0EEENS1_44radix_sort_block_sort_config_static_selectorELNS0_4arch9wavefront6targetE0EEEvSM_.kd
    .uniform_work_group_size: 1
    .uses_dynamic_stack: false
    .vgpr_count:     0
    .vgpr_spill_count: 0
    .wavefront_size: 32
    .workgroup_processor_mode: 1
  - .args:
      - .offset:         0
        .size:           48
        .value_kind:     by_value
    .group_segment_fixed_size: 0
    .kernarg_segment_align: 8
    .kernarg_segment_size: 48
    .language:       OpenCL C
    .language_version:
      - 2
      - 0
    .max_flat_workgroup_size: 256
    .name:           _ZN7rocprim17ROCPRIM_400000_NS6detail17trampoline_kernelINS0_13kernel_configILj256ELj4ELj4294967295EEENS1_37radix_sort_block_sort_config_selectorIjN6thrust23THRUST_200600_302600_NS5tupleIffNS7_9null_typeES9_S9_S9_S9_S9_S9_S9_EEEEZNS1_21radix_sort_block_sortIS4_Lb0ENS7_6detail15normal_iteratorINS7_10device_ptrIjEEEESH_NSE_INSF_ISA_EEEESJ_NS0_19identity_decomposerEEE10hipError_tT1_T2_T3_T4_jRjT5_jjP12ihipStream_tbEUlT_E_NS1_11comp_targetILNS1_3genE5ELNS1_11target_archE942ELNS1_3gpuE9ELNS1_3repE0EEENS1_44radix_sort_block_sort_config_static_selectorELNS0_4arch9wavefront6targetE0EEEvSM_
    .private_segment_fixed_size: 0
    .sgpr_count:     0
    .sgpr_spill_count: 0
    .symbol:         _ZN7rocprim17ROCPRIM_400000_NS6detail17trampoline_kernelINS0_13kernel_configILj256ELj4ELj4294967295EEENS1_37radix_sort_block_sort_config_selectorIjN6thrust23THRUST_200600_302600_NS5tupleIffNS7_9null_typeES9_S9_S9_S9_S9_S9_S9_EEEEZNS1_21radix_sort_block_sortIS4_Lb0ENS7_6detail15normal_iteratorINS7_10device_ptrIjEEEESH_NSE_INSF_ISA_EEEESJ_NS0_19identity_decomposerEEE10hipError_tT1_T2_T3_T4_jRjT5_jjP12ihipStream_tbEUlT_E_NS1_11comp_targetILNS1_3genE5ELNS1_11target_archE942ELNS1_3gpuE9ELNS1_3repE0EEENS1_44radix_sort_block_sort_config_static_selectorELNS0_4arch9wavefront6targetE0EEEvSM_.kd
    .uniform_work_group_size: 1
    .uses_dynamic_stack: false
    .vgpr_count:     0
    .vgpr_spill_count: 0
    .wavefront_size: 32
    .workgroup_processor_mode: 1
  - .args:
      - .offset:         0
        .size:           48
        .value_kind:     by_value
    .group_segment_fixed_size: 0
    .kernarg_segment_align: 8
    .kernarg_segment_size: 48
    .language:       OpenCL C
    .language_version:
      - 2
      - 0
    .max_flat_workgroup_size: 256
    .name:           _ZN7rocprim17ROCPRIM_400000_NS6detail17trampoline_kernelINS0_13kernel_configILj256ELj4ELj4294967295EEENS1_37radix_sort_block_sort_config_selectorIjN6thrust23THRUST_200600_302600_NS5tupleIffNS7_9null_typeES9_S9_S9_S9_S9_S9_S9_EEEEZNS1_21radix_sort_block_sortIS4_Lb0ENS7_6detail15normal_iteratorINS7_10device_ptrIjEEEESH_NSE_INSF_ISA_EEEESJ_NS0_19identity_decomposerEEE10hipError_tT1_T2_T3_T4_jRjT5_jjP12ihipStream_tbEUlT_E_NS1_11comp_targetILNS1_3genE4ELNS1_11target_archE910ELNS1_3gpuE8ELNS1_3repE0EEENS1_44radix_sort_block_sort_config_static_selectorELNS0_4arch9wavefront6targetE0EEEvSM_
    .private_segment_fixed_size: 0
    .sgpr_count:     0
    .sgpr_spill_count: 0
    .symbol:         _ZN7rocprim17ROCPRIM_400000_NS6detail17trampoline_kernelINS0_13kernel_configILj256ELj4ELj4294967295EEENS1_37radix_sort_block_sort_config_selectorIjN6thrust23THRUST_200600_302600_NS5tupleIffNS7_9null_typeES9_S9_S9_S9_S9_S9_S9_EEEEZNS1_21radix_sort_block_sortIS4_Lb0ENS7_6detail15normal_iteratorINS7_10device_ptrIjEEEESH_NSE_INSF_ISA_EEEESJ_NS0_19identity_decomposerEEE10hipError_tT1_T2_T3_T4_jRjT5_jjP12ihipStream_tbEUlT_E_NS1_11comp_targetILNS1_3genE4ELNS1_11target_archE910ELNS1_3gpuE8ELNS1_3repE0EEENS1_44radix_sort_block_sort_config_static_selectorELNS0_4arch9wavefront6targetE0EEEvSM_.kd
    .uniform_work_group_size: 1
    .uses_dynamic_stack: false
    .vgpr_count:     0
    .vgpr_spill_count: 0
    .wavefront_size: 32
    .workgroup_processor_mode: 1
  - .args:
      - .offset:         0
        .size:           48
        .value_kind:     by_value
    .group_segment_fixed_size: 0
    .kernarg_segment_align: 8
    .kernarg_segment_size: 48
    .language:       OpenCL C
    .language_version:
      - 2
      - 0
    .max_flat_workgroup_size: 256
    .name:           _ZN7rocprim17ROCPRIM_400000_NS6detail17trampoline_kernelINS0_13kernel_configILj256ELj4ELj4294967295EEENS1_37radix_sort_block_sort_config_selectorIjN6thrust23THRUST_200600_302600_NS5tupleIffNS7_9null_typeES9_S9_S9_S9_S9_S9_S9_EEEEZNS1_21radix_sort_block_sortIS4_Lb0ENS7_6detail15normal_iteratorINS7_10device_ptrIjEEEESH_NSE_INSF_ISA_EEEESJ_NS0_19identity_decomposerEEE10hipError_tT1_T2_T3_T4_jRjT5_jjP12ihipStream_tbEUlT_E_NS1_11comp_targetILNS1_3genE3ELNS1_11target_archE908ELNS1_3gpuE7ELNS1_3repE0EEENS1_44radix_sort_block_sort_config_static_selectorELNS0_4arch9wavefront6targetE0EEEvSM_
    .private_segment_fixed_size: 0
    .sgpr_count:     0
    .sgpr_spill_count: 0
    .symbol:         _ZN7rocprim17ROCPRIM_400000_NS6detail17trampoline_kernelINS0_13kernel_configILj256ELj4ELj4294967295EEENS1_37radix_sort_block_sort_config_selectorIjN6thrust23THRUST_200600_302600_NS5tupleIffNS7_9null_typeES9_S9_S9_S9_S9_S9_S9_EEEEZNS1_21radix_sort_block_sortIS4_Lb0ENS7_6detail15normal_iteratorINS7_10device_ptrIjEEEESH_NSE_INSF_ISA_EEEESJ_NS0_19identity_decomposerEEE10hipError_tT1_T2_T3_T4_jRjT5_jjP12ihipStream_tbEUlT_E_NS1_11comp_targetILNS1_3genE3ELNS1_11target_archE908ELNS1_3gpuE7ELNS1_3repE0EEENS1_44radix_sort_block_sort_config_static_selectorELNS0_4arch9wavefront6targetE0EEEvSM_.kd
    .uniform_work_group_size: 1
    .uses_dynamic_stack: false
    .vgpr_count:     0
    .vgpr_spill_count: 0
    .wavefront_size: 32
    .workgroup_processor_mode: 1
  - .args:
      - .offset:         0
        .size:           48
        .value_kind:     by_value
    .group_segment_fixed_size: 0
    .kernarg_segment_align: 8
    .kernarg_segment_size: 48
    .language:       OpenCL C
    .language_version:
      - 2
      - 0
    .max_flat_workgroup_size: 256
    .name:           _ZN7rocprim17ROCPRIM_400000_NS6detail17trampoline_kernelINS0_13kernel_configILj256ELj4ELj4294967295EEENS1_37radix_sort_block_sort_config_selectorIjN6thrust23THRUST_200600_302600_NS5tupleIffNS7_9null_typeES9_S9_S9_S9_S9_S9_S9_EEEEZNS1_21radix_sort_block_sortIS4_Lb0ENS7_6detail15normal_iteratorINS7_10device_ptrIjEEEESH_NSE_INSF_ISA_EEEESJ_NS0_19identity_decomposerEEE10hipError_tT1_T2_T3_T4_jRjT5_jjP12ihipStream_tbEUlT_E_NS1_11comp_targetILNS1_3genE2ELNS1_11target_archE906ELNS1_3gpuE6ELNS1_3repE0EEENS1_44radix_sort_block_sort_config_static_selectorELNS0_4arch9wavefront6targetE0EEEvSM_
    .private_segment_fixed_size: 0
    .sgpr_count:     0
    .sgpr_spill_count: 0
    .symbol:         _ZN7rocprim17ROCPRIM_400000_NS6detail17trampoline_kernelINS0_13kernel_configILj256ELj4ELj4294967295EEENS1_37radix_sort_block_sort_config_selectorIjN6thrust23THRUST_200600_302600_NS5tupleIffNS7_9null_typeES9_S9_S9_S9_S9_S9_S9_EEEEZNS1_21radix_sort_block_sortIS4_Lb0ENS7_6detail15normal_iteratorINS7_10device_ptrIjEEEESH_NSE_INSF_ISA_EEEESJ_NS0_19identity_decomposerEEE10hipError_tT1_T2_T3_T4_jRjT5_jjP12ihipStream_tbEUlT_E_NS1_11comp_targetILNS1_3genE2ELNS1_11target_archE906ELNS1_3gpuE6ELNS1_3repE0EEENS1_44radix_sort_block_sort_config_static_selectorELNS0_4arch9wavefront6targetE0EEEvSM_.kd
    .uniform_work_group_size: 1
    .uses_dynamic_stack: false
    .vgpr_count:     0
    .vgpr_spill_count: 0
    .wavefront_size: 32
    .workgroup_processor_mode: 1
  - .args:
      - .offset:         0
        .size:           48
        .value_kind:     by_value
    .group_segment_fixed_size: 0
    .kernarg_segment_align: 8
    .kernarg_segment_size: 48
    .language:       OpenCL C
    .language_version:
      - 2
      - 0
    .max_flat_workgroup_size: 256
    .name:           _ZN7rocprim17ROCPRIM_400000_NS6detail17trampoline_kernelINS0_13kernel_configILj256ELj4ELj4294967295EEENS1_37radix_sort_block_sort_config_selectorIjN6thrust23THRUST_200600_302600_NS5tupleIffNS7_9null_typeES9_S9_S9_S9_S9_S9_S9_EEEEZNS1_21radix_sort_block_sortIS4_Lb0ENS7_6detail15normal_iteratorINS7_10device_ptrIjEEEESH_NSE_INSF_ISA_EEEESJ_NS0_19identity_decomposerEEE10hipError_tT1_T2_T3_T4_jRjT5_jjP12ihipStream_tbEUlT_E_NS1_11comp_targetILNS1_3genE10ELNS1_11target_archE1201ELNS1_3gpuE5ELNS1_3repE0EEENS1_44radix_sort_block_sort_config_static_selectorELNS0_4arch9wavefront6targetE0EEEvSM_
    .private_segment_fixed_size: 0
    .sgpr_count:     0
    .sgpr_spill_count: 0
    .symbol:         _ZN7rocprim17ROCPRIM_400000_NS6detail17trampoline_kernelINS0_13kernel_configILj256ELj4ELj4294967295EEENS1_37radix_sort_block_sort_config_selectorIjN6thrust23THRUST_200600_302600_NS5tupleIffNS7_9null_typeES9_S9_S9_S9_S9_S9_S9_EEEEZNS1_21radix_sort_block_sortIS4_Lb0ENS7_6detail15normal_iteratorINS7_10device_ptrIjEEEESH_NSE_INSF_ISA_EEEESJ_NS0_19identity_decomposerEEE10hipError_tT1_T2_T3_T4_jRjT5_jjP12ihipStream_tbEUlT_E_NS1_11comp_targetILNS1_3genE10ELNS1_11target_archE1201ELNS1_3gpuE5ELNS1_3repE0EEENS1_44radix_sort_block_sort_config_static_selectorELNS0_4arch9wavefront6targetE0EEEvSM_.kd
    .uniform_work_group_size: 1
    .uses_dynamic_stack: false
    .vgpr_count:     0
    .vgpr_spill_count: 0
    .wavefront_size: 32
    .workgroup_processor_mode: 1
  - .args:
      - .offset:         0
        .size:           48
        .value_kind:     by_value
    .group_segment_fixed_size: 0
    .kernarg_segment_align: 8
    .kernarg_segment_size: 48
    .language:       OpenCL C
    .language_version:
      - 2
      - 0
    .max_flat_workgroup_size: 256
    .name:           _ZN7rocprim17ROCPRIM_400000_NS6detail17trampoline_kernelINS0_13kernel_configILj256ELj4ELj4294967295EEENS1_37radix_sort_block_sort_config_selectorIjN6thrust23THRUST_200600_302600_NS5tupleIffNS7_9null_typeES9_S9_S9_S9_S9_S9_S9_EEEEZNS1_21radix_sort_block_sortIS4_Lb0ENS7_6detail15normal_iteratorINS7_10device_ptrIjEEEESH_NSE_INSF_ISA_EEEESJ_NS0_19identity_decomposerEEE10hipError_tT1_T2_T3_T4_jRjT5_jjP12ihipStream_tbEUlT_E_NS1_11comp_targetILNS1_3genE10ELNS1_11target_archE1200ELNS1_3gpuE4ELNS1_3repE0EEENS1_44radix_sort_block_sort_config_static_selectorELNS0_4arch9wavefront6targetE0EEEvSM_
    .private_segment_fixed_size: 0
    .sgpr_count:     0
    .sgpr_spill_count: 0
    .symbol:         _ZN7rocprim17ROCPRIM_400000_NS6detail17trampoline_kernelINS0_13kernel_configILj256ELj4ELj4294967295EEENS1_37radix_sort_block_sort_config_selectorIjN6thrust23THRUST_200600_302600_NS5tupleIffNS7_9null_typeES9_S9_S9_S9_S9_S9_S9_EEEEZNS1_21radix_sort_block_sortIS4_Lb0ENS7_6detail15normal_iteratorINS7_10device_ptrIjEEEESH_NSE_INSF_ISA_EEEESJ_NS0_19identity_decomposerEEE10hipError_tT1_T2_T3_T4_jRjT5_jjP12ihipStream_tbEUlT_E_NS1_11comp_targetILNS1_3genE10ELNS1_11target_archE1200ELNS1_3gpuE4ELNS1_3repE0EEENS1_44radix_sort_block_sort_config_static_selectorELNS0_4arch9wavefront6targetE0EEEvSM_.kd
    .uniform_work_group_size: 1
    .uses_dynamic_stack: false
    .vgpr_count:     0
    .vgpr_spill_count: 0
    .wavefront_size: 32
    .workgroup_processor_mode: 1
  - .args:
      - .offset:         0
        .size:           48
        .value_kind:     by_value
    .group_segment_fixed_size: 0
    .kernarg_segment_align: 8
    .kernarg_segment_size: 48
    .language:       OpenCL C
    .language_version:
      - 2
      - 0
    .max_flat_workgroup_size: 256
    .name:           _ZN7rocprim17ROCPRIM_400000_NS6detail17trampoline_kernelINS0_13kernel_configILj256ELj4ELj4294967295EEENS1_37radix_sort_block_sort_config_selectorIjN6thrust23THRUST_200600_302600_NS5tupleIffNS7_9null_typeES9_S9_S9_S9_S9_S9_S9_EEEEZNS1_21radix_sort_block_sortIS4_Lb0ENS7_6detail15normal_iteratorINS7_10device_ptrIjEEEESH_NSE_INSF_ISA_EEEESJ_NS0_19identity_decomposerEEE10hipError_tT1_T2_T3_T4_jRjT5_jjP12ihipStream_tbEUlT_E_NS1_11comp_targetILNS1_3genE9ELNS1_11target_archE1100ELNS1_3gpuE3ELNS1_3repE0EEENS1_44radix_sort_block_sort_config_static_selectorELNS0_4arch9wavefront6targetE0EEEvSM_
    .private_segment_fixed_size: 0
    .sgpr_count:     0
    .sgpr_spill_count: 0
    .symbol:         _ZN7rocprim17ROCPRIM_400000_NS6detail17trampoline_kernelINS0_13kernel_configILj256ELj4ELj4294967295EEENS1_37radix_sort_block_sort_config_selectorIjN6thrust23THRUST_200600_302600_NS5tupleIffNS7_9null_typeES9_S9_S9_S9_S9_S9_S9_EEEEZNS1_21radix_sort_block_sortIS4_Lb0ENS7_6detail15normal_iteratorINS7_10device_ptrIjEEEESH_NSE_INSF_ISA_EEEESJ_NS0_19identity_decomposerEEE10hipError_tT1_T2_T3_T4_jRjT5_jjP12ihipStream_tbEUlT_E_NS1_11comp_targetILNS1_3genE9ELNS1_11target_archE1100ELNS1_3gpuE3ELNS1_3repE0EEENS1_44radix_sort_block_sort_config_static_selectorELNS0_4arch9wavefront6targetE0EEEvSM_.kd
    .uniform_work_group_size: 1
    .uses_dynamic_stack: false
    .vgpr_count:     0
    .vgpr_spill_count: 0
    .wavefront_size: 32
    .workgroup_processor_mode: 1
  - .args:
      - .offset:         0
        .size:           48
        .value_kind:     by_value
      - .offset:         48
        .size:           4
        .value_kind:     hidden_block_count_x
      - .offset:         52
        .size:           4
        .value_kind:     hidden_block_count_y
      - .offset:         56
        .size:           4
        .value_kind:     hidden_block_count_z
      - .offset:         60
        .size:           2
        .value_kind:     hidden_group_size_x
      - .offset:         62
        .size:           2
        .value_kind:     hidden_group_size_y
      - .offset:         64
        .size:           2
        .value_kind:     hidden_group_size_z
      - .offset:         66
        .size:           2
        .value_kind:     hidden_remainder_x
      - .offset:         68
        .size:           2
        .value_kind:     hidden_remainder_y
      - .offset:         70
        .size:           2
        .value_kind:     hidden_remainder_z
      - .offset:         88
        .size:           8
        .value_kind:     hidden_global_offset_x
      - .offset:         96
        .size:           8
        .value_kind:     hidden_global_offset_y
      - .offset:         104
        .size:           8
        .value_kind:     hidden_global_offset_z
      - .offset:         112
        .size:           2
        .value_kind:     hidden_grid_dims
    .group_segment_fixed_size: 8224
    .kernarg_segment_align: 8
    .kernarg_segment_size: 304
    .language:       OpenCL C
    .language_version:
      - 2
      - 0
    .max_flat_workgroup_size: 256
    .name:           _ZN7rocprim17ROCPRIM_400000_NS6detail17trampoline_kernelINS0_13kernel_configILj256ELj4ELj4294967295EEENS1_37radix_sort_block_sort_config_selectorIjN6thrust23THRUST_200600_302600_NS5tupleIffNS7_9null_typeES9_S9_S9_S9_S9_S9_S9_EEEEZNS1_21radix_sort_block_sortIS4_Lb0ENS7_6detail15normal_iteratorINS7_10device_ptrIjEEEESH_NSE_INSF_ISA_EEEESJ_NS0_19identity_decomposerEEE10hipError_tT1_T2_T3_T4_jRjT5_jjP12ihipStream_tbEUlT_E_NS1_11comp_targetILNS1_3genE8ELNS1_11target_archE1030ELNS1_3gpuE2ELNS1_3repE0EEENS1_44radix_sort_block_sort_config_static_selectorELNS0_4arch9wavefront6targetE0EEEvSM_
    .private_segment_fixed_size: 0
    .sgpr_count:     34
    .sgpr_spill_count: 0
    .symbol:         _ZN7rocprim17ROCPRIM_400000_NS6detail17trampoline_kernelINS0_13kernel_configILj256ELj4ELj4294967295EEENS1_37radix_sort_block_sort_config_selectorIjN6thrust23THRUST_200600_302600_NS5tupleIffNS7_9null_typeES9_S9_S9_S9_S9_S9_S9_EEEEZNS1_21radix_sort_block_sortIS4_Lb0ENS7_6detail15normal_iteratorINS7_10device_ptrIjEEEESH_NSE_INSF_ISA_EEEESJ_NS0_19identity_decomposerEEE10hipError_tT1_T2_T3_T4_jRjT5_jjP12ihipStream_tbEUlT_E_NS1_11comp_targetILNS1_3genE8ELNS1_11target_archE1030ELNS1_3gpuE2ELNS1_3repE0EEENS1_44radix_sort_block_sort_config_static_selectorELNS0_4arch9wavefront6targetE0EEEvSM_.kd
    .uniform_work_group_size: 1
    .uses_dynamic_stack: false
    .vgpr_count:     48
    .vgpr_spill_count: 0
    .wavefront_size: 32
    .workgroup_processor_mode: 1
  - .args:           []
    .group_segment_fixed_size: 0
    .kernarg_segment_align: 4
    .kernarg_segment_size: 0
    .language:       OpenCL C
    .language_version:
      - 2
      - 0
    .max_flat_workgroup_size: 1024
    .name:           _ZN7rocprim17ROCPRIM_400000_NS6detail44device_merge_sort_compile_time_verifier_archINS1_11comp_targetILNS1_3genE0ELNS1_11target_archE4294967295ELNS1_3gpuE0ELNS1_3repE0EEES8_NS1_28merge_sort_block_sort_configILj256ELj4ELNS0_20block_sort_algorithmE0EEENS0_14default_configENS1_37merge_sort_block_sort_config_selectorIjN6thrust23THRUST_200600_302600_NS5tupleIffNSF_9null_typeESH_SH_SH_SH_SH_SH_SH_EEEENS1_38merge_sort_block_merge_config_selectorIjSI_EEEEvv
    .private_segment_fixed_size: 0
    .sgpr_count:     0
    .sgpr_spill_count: 0
    .symbol:         _ZN7rocprim17ROCPRIM_400000_NS6detail44device_merge_sort_compile_time_verifier_archINS1_11comp_targetILNS1_3genE0ELNS1_11target_archE4294967295ELNS1_3gpuE0ELNS1_3repE0EEES8_NS1_28merge_sort_block_sort_configILj256ELj4ELNS0_20block_sort_algorithmE0EEENS0_14default_configENS1_37merge_sort_block_sort_config_selectorIjN6thrust23THRUST_200600_302600_NS5tupleIffNSF_9null_typeESH_SH_SH_SH_SH_SH_SH_EEEENS1_38merge_sort_block_merge_config_selectorIjSI_EEEEvv.kd
    .uniform_work_group_size: 1
    .uses_dynamic_stack: false
    .vgpr_count:     0
    .vgpr_spill_count: 0
    .wavefront_size: 32
    .workgroup_processor_mode: 1
  - .args:           []
    .group_segment_fixed_size: 0
    .kernarg_segment_align: 4
    .kernarg_segment_size: 0
    .language:       OpenCL C
    .language_version:
      - 2
      - 0
    .max_flat_workgroup_size: 1024
    .name:           _ZN7rocprim17ROCPRIM_400000_NS6detail44device_merge_sort_compile_time_verifier_archINS1_11comp_targetILNS1_3genE5ELNS1_11target_archE942ELNS1_3gpuE9ELNS1_3repE0EEES8_NS1_28merge_sort_block_sort_configILj256ELj4ELNS0_20block_sort_algorithmE0EEENS0_14default_configENS1_37merge_sort_block_sort_config_selectorIjN6thrust23THRUST_200600_302600_NS5tupleIffNSF_9null_typeESH_SH_SH_SH_SH_SH_SH_EEEENS1_38merge_sort_block_merge_config_selectorIjSI_EEEEvv
    .private_segment_fixed_size: 0
    .sgpr_count:     0
    .sgpr_spill_count: 0
    .symbol:         _ZN7rocprim17ROCPRIM_400000_NS6detail44device_merge_sort_compile_time_verifier_archINS1_11comp_targetILNS1_3genE5ELNS1_11target_archE942ELNS1_3gpuE9ELNS1_3repE0EEES8_NS1_28merge_sort_block_sort_configILj256ELj4ELNS0_20block_sort_algorithmE0EEENS0_14default_configENS1_37merge_sort_block_sort_config_selectorIjN6thrust23THRUST_200600_302600_NS5tupleIffNSF_9null_typeESH_SH_SH_SH_SH_SH_SH_EEEENS1_38merge_sort_block_merge_config_selectorIjSI_EEEEvv.kd
    .uniform_work_group_size: 1
    .uses_dynamic_stack: false
    .vgpr_count:     0
    .vgpr_spill_count: 0
    .wavefront_size: 32
    .workgroup_processor_mode: 1
  - .args:           []
    .group_segment_fixed_size: 0
    .kernarg_segment_align: 4
    .kernarg_segment_size: 0
    .language:       OpenCL C
    .language_version:
      - 2
      - 0
    .max_flat_workgroup_size: 1024
    .name:           _ZN7rocprim17ROCPRIM_400000_NS6detail44device_merge_sort_compile_time_verifier_archINS1_11comp_targetILNS1_3genE4ELNS1_11target_archE910ELNS1_3gpuE8ELNS1_3repE0EEES8_NS1_28merge_sort_block_sort_configILj256ELj4ELNS0_20block_sort_algorithmE0EEENS0_14default_configENS1_37merge_sort_block_sort_config_selectorIjN6thrust23THRUST_200600_302600_NS5tupleIffNSF_9null_typeESH_SH_SH_SH_SH_SH_SH_EEEENS1_38merge_sort_block_merge_config_selectorIjSI_EEEEvv
    .private_segment_fixed_size: 0
    .sgpr_count:     0
    .sgpr_spill_count: 0
    .symbol:         _ZN7rocprim17ROCPRIM_400000_NS6detail44device_merge_sort_compile_time_verifier_archINS1_11comp_targetILNS1_3genE4ELNS1_11target_archE910ELNS1_3gpuE8ELNS1_3repE0EEES8_NS1_28merge_sort_block_sort_configILj256ELj4ELNS0_20block_sort_algorithmE0EEENS0_14default_configENS1_37merge_sort_block_sort_config_selectorIjN6thrust23THRUST_200600_302600_NS5tupleIffNSF_9null_typeESH_SH_SH_SH_SH_SH_SH_EEEENS1_38merge_sort_block_merge_config_selectorIjSI_EEEEvv.kd
    .uniform_work_group_size: 1
    .uses_dynamic_stack: false
    .vgpr_count:     0
    .vgpr_spill_count: 0
    .wavefront_size: 32
    .workgroup_processor_mode: 1
  - .args:           []
    .group_segment_fixed_size: 0
    .kernarg_segment_align: 4
    .kernarg_segment_size: 0
    .language:       OpenCL C
    .language_version:
      - 2
      - 0
    .max_flat_workgroup_size: 1024
    .name:           _ZN7rocprim17ROCPRIM_400000_NS6detail44device_merge_sort_compile_time_verifier_archINS1_11comp_targetILNS1_3genE3ELNS1_11target_archE908ELNS1_3gpuE7ELNS1_3repE0EEES8_NS1_28merge_sort_block_sort_configILj256ELj4ELNS0_20block_sort_algorithmE0EEENS0_14default_configENS1_37merge_sort_block_sort_config_selectorIjN6thrust23THRUST_200600_302600_NS5tupleIffNSF_9null_typeESH_SH_SH_SH_SH_SH_SH_EEEENS1_38merge_sort_block_merge_config_selectorIjSI_EEEEvv
    .private_segment_fixed_size: 0
    .sgpr_count:     0
    .sgpr_spill_count: 0
    .symbol:         _ZN7rocprim17ROCPRIM_400000_NS6detail44device_merge_sort_compile_time_verifier_archINS1_11comp_targetILNS1_3genE3ELNS1_11target_archE908ELNS1_3gpuE7ELNS1_3repE0EEES8_NS1_28merge_sort_block_sort_configILj256ELj4ELNS0_20block_sort_algorithmE0EEENS0_14default_configENS1_37merge_sort_block_sort_config_selectorIjN6thrust23THRUST_200600_302600_NS5tupleIffNSF_9null_typeESH_SH_SH_SH_SH_SH_SH_EEEENS1_38merge_sort_block_merge_config_selectorIjSI_EEEEvv.kd
    .uniform_work_group_size: 1
    .uses_dynamic_stack: false
    .vgpr_count:     0
    .vgpr_spill_count: 0
    .wavefront_size: 32
    .workgroup_processor_mode: 1
  - .args:           []
    .group_segment_fixed_size: 0
    .kernarg_segment_align: 4
    .kernarg_segment_size: 0
    .language:       OpenCL C
    .language_version:
      - 2
      - 0
    .max_flat_workgroup_size: 1024
    .name:           _ZN7rocprim17ROCPRIM_400000_NS6detail44device_merge_sort_compile_time_verifier_archINS1_11comp_targetILNS1_3genE2ELNS1_11target_archE906ELNS1_3gpuE6ELNS1_3repE0EEES8_NS1_28merge_sort_block_sort_configILj256ELj4ELNS0_20block_sort_algorithmE0EEENS0_14default_configENS1_37merge_sort_block_sort_config_selectorIjN6thrust23THRUST_200600_302600_NS5tupleIffNSF_9null_typeESH_SH_SH_SH_SH_SH_SH_EEEENS1_38merge_sort_block_merge_config_selectorIjSI_EEEEvv
    .private_segment_fixed_size: 0
    .sgpr_count:     0
    .sgpr_spill_count: 0
    .symbol:         _ZN7rocprim17ROCPRIM_400000_NS6detail44device_merge_sort_compile_time_verifier_archINS1_11comp_targetILNS1_3genE2ELNS1_11target_archE906ELNS1_3gpuE6ELNS1_3repE0EEES8_NS1_28merge_sort_block_sort_configILj256ELj4ELNS0_20block_sort_algorithmE0EEENS0_14default_configENS1_37merge_sort_block_sort_config_selectorIjN6thrust23THRUST_200600_302600_NS5tupleIffNSF_9null_typeESH_SH_SH_SH_SH_SH_SH_EEEENS1_38merge_sort_block_merge_config_selectorIjSI_EEEEvv.kd
    .uniform_work_group_size: 1
    .uses_dynamic_stack: false
    .vgpr_count:     0
    .vgpr_spill_count: 0
    .wavefront_size: 32
    .workgroup_processor_mode: 1
  - .args:           []
    .group_segment_fixed_size: 0
    .kernarg_segment_align: 4
    .kernarg_segment_size: 0
    .language:       OpenCL C
    .language_version:
      - 2
      - 0
    .max_flat_workgroup_size: 1024
    .name:           _ZN7rocprim17ROCPRIM_400000_NS6detail44device_merge_sort_compile_time_verifier_archINS1_11comp_targetILNS1_3genE10ELNS1_11target_archE1201ELNS1_3gpuE5ELNS1_3repE0EEES8_NS1_28merge_sort_block_sort_configILj256ELj4ELNS0_20block_sort_algorithmE0EEENS0_14default_configENS1_37merge_sort_block_sort_config_selectorIjN6thrust23THRUST_200600_302600_NS5tupleIffNSF_9null_typeESH_SH_SH_SH_SH_SH_SH_EEEENS1_38merge_sort_block_merge_config_selectorIjSI_EEEEvv
    .private_segment_fixed_size: 0
    .sgpr_count:     0
    .sgpr_spill_count: 0
    .symbol:         _ZN7rocprim17ROCPRIM_400000_NS6detail44device_merge_sort_compile_time_verifier_archINS1_11comp_targetILNS1_3genE10ELNS1_11target_archE1201ELNS1_3gpuE5ELNS1_3repE0EEES8_NS1_28merge_sort_block_sort_configILj256ELj4ELNS0_20block_sort_algorithmE0EEENS0_14default_configENS1_37merge_sort_block_sort_config_selectorIjN6thrust23THRUST_200600_302600_NS5tupleIffNSF_9null_typeESH_SH_SH_SH_SH_SH_SH_EEEENS1_38merge_sort_block_merge_config_selectorIjSI_EEEEvv.kd
    .uniform_work_group_size: 1
    .uses_dynamic_stack: false
    .vgpr_count:     0
    .vgpr_spill_count: 0
    .wavefront_size: 32
    .workgroup_processor_mode: 1
  - .args:           []
    .group_segment_fixed_size: 0
    .kernarg_segment_align: 4
    .kernarg_segment_size: 0
    .language:       OpenCL C
    .language_version:
      - 2
      - 0
    .max_flat_workgroup_size: 1024
    .name:           _ZN7rocprim17ROCPRIM_400000_NS6detail44device_merge_sort_compile_time_verifier_archINS1_11comp_targetILNS1_3genE10ELNS1_11target_archE1200ELNS1_3gpuE4ELNS1_3repE0EEENS3_ILS4_10ELS5_1201ELS6_5ELS7_0EEENS1_28merge_sort_block_sort_configILj256ELj4ELNS0_20block_sort_algorithmE0EEENS0_14default_configENS1_37merge_sort_block_sort_config_selectorIjN6thrust23THRUST_200600_302600_NS5tupleIffNSG_9null_typeESI_SI_SI_SI_SI_SI_SI_EEEENS1_38merge_sort_block_merge_config_selectorIjSJ_EEEEvv
    .private_segment_fixed_size: 0
    .sgpr_count:     0
    .sgpr_spill_count: 0
    .symbol:         _ZN7rocprim17ROCPRIM_400000_NS6detail44device_merge_sort_compile_time_verifier_archINS1_11comp_targetILNS1_3genE10ELNS1_11target_archE1200ELNS1_3gpuE4ELNS1_3repE0EEENS3_ILS4_10ELS5_1201ELS6_5ELS7_0EEENS1_28merge_sort_block_sort_configILj256ELj4ELNS0_20block_sort_algorithmE0EEENS0_14default_configENS1_37merge_sort_block_sort_config_selectorIjN6thrust23THRUST_200600_302600_NS5tupleIffNSG_9null_typeESI_SI_SI_SI_SI_SI_SI_EEEENS1_38merge_sort_block_merge_config_selectorIjSJ_EEEEvv.kd
    .uniform_work_group_size: 1
    .uses_dynamic_stack: false
    .vgpr_count:     0
    .vgpr_spill_count: 0
    .wavefront_size: 32
    .workgroup_processor_mode: 1
  - .args:           []
    .group_segment_fixed_size: 0
    .kernarg_segment_align: 4
    .kernarg_segment_size: 0
    .language:       OpenCL C
    .language_version:
      - 2
      - 0
    .max_flat_workgroup_size: 1024
    .name:           _ZN7rocprim17ROCPRIM_400000_NS6detail44device_merge_sort_compile_time_verifier_archINS1_11comp_targetILNS1_3genE9ELNS1_11target_archE1100ELNS1_3gpuE3ELNS1_3repE0EEES8_NS1_28merge_sort_block_sort_configILj256ELj4ELNS0_20block_sort_algorithmE0EEENS0_14default_configENS1_37merge_sort_block_sort_config_selectorIjN6thrust23THRUST_200600_302600_NS5tupleIffNSF_9null_typeESH_SH_SH_SH_SH_SH_SH_EEEENS1_38merge_sort_block_merge_config_selectorIjSI_EEEEvv
    .private_segment_fixed_size: 0
    .sgpr_count:     0
    .sgpr_spill_count: 0
    .symbol:         _ZN7rocprim17ROCPRIM_400000_NS6detail44device_merge_sort_compile_time_verifier_archINS1_11comp_targetILNS1_3genE9ELNS1_11target_archE1100ELNS1_3gpuE3ELNS1_3repE0EEES8_NS1_28merge_sort_block_sort_configILj256ELj4ELNS0_20block_sort_algorithmE0EEENS0_14default_configENS1_37merge_sort_block_sort_config_selectorIjN6thrust23THRUST_200600_302600_NS5tupleIffNSF_9null_typeESH_SH_SH_SH_SH_SH_SH_EEEENS1_38merge_sort_block_merge_config_selectorIjSI_EEEEvv.kd
    .uniform_work_group_size: 1
    .uses_dynamic_stack: false
    .vgpr_count:     0
    .vgpr_spill_count: 0
    .wavefront_size: 32
    .workgroup_processor_mode: 1
  - .args:           []
    .group_segment_fixed_size: 0
    .kernarg_segment_align: 4
    .kernarg_segment_size: 0
    .language:       OpenCL C
    .language_version:
      - 2
      - 0
    .max_flat_workgroup_size: 1024
    .name:           _ZN7rocprim17ROCPRIM_400000_NS6detail44device_merge_sort_compile_time_verifier_archINS1_11comp_targetILNS1_3genE8ELNS1_11target_archE1030ELNS1_3gpuE2ELNS1_3repE0EEES8_NS1_28merge_sort_block_sort_configILj256ELj4ELNS0_20block_sort_algorithmE0EEENS0_14default_configENS1_37merge_sort_block_sort_config_selectorIjN6thrust23THRUST_200600_302600_NS5tupleIffNSF_9null_typeESH_SH_SH_SH_SH_SH_SH_EEEENS1_38merge_sort_block_merge_config_selectorIjSI_EEEEvv
    .private_segment_fixed_size: 0
    .sgpr_count:     0
    .sgpr_spill_count: 0
    .symbol:         _ZN7rocprim17ROCPRIM_400000_NS6detail44device_merge_sort_compile_time_verifier_archINS1_11comp_targetILNS1_3genE8ELNS1_11target_archE1030ELNS1_3gpuE2ELNS1_3repE0EEES8_NS1_28merge_sort_block_sort_configILj256ELj4ELNS0_20block_sort_algorithmE0EEENS0_14default_configENS1_37merge_sort_block_sort_config_selectorIjN6thrust23THRUST_200600_302600_NS5tupleIffNSF_9null_typeESH_SH_SH_SH_SH_SH_SH_EEEENS1_38merge_sort_block_merge_config_selectorIjSI_EEEEvv.kd
    .uniform_work_group_size: 1
    .uses_dynamic_stack: false
    .vgpr_count:     0
    .vgpr_spill_count: 0
    .wavefront_size: 32
    .workgroup_processor_mode: 1
  - .args:
      - .offset:         0
        .size:           40
        .value_kind:     by_value
    .group_segment_fixed_size: 0
    .kernarg_segment_align: 8
    .kernarg_segment_size: 40
    .language:       OpenCL C
    .language_version:
      - 2
      - 0
    .max_flat_workgroup_size: 128
    .name:           _ZN7rocprim17ROCPRIM_400000_NS6detail17trampoline_kernelINS0_14default_configENS1_38merge_sort_block_merge_config_selectorIjN6thrust23THRUST_200600_302600_NS5tupleIffNS6_9null_typeES8_S8_S8_S8_S8_S8_S8_EEEEZZNS1_27merge_sort_block_merge_implIS3_NS6_6detail15normal_iteratorINS6_10device_ptrIjEEEENSD_INSE_IS9_EEEEjNS1_19radix_merge_compareILb0ELb0EjNS0_19identity_decomposerEEEEE10hipError_tT0_T1_T2_jT3_P12ihipStream_tbPNSt15iterator_traitsISN_E10value_typeEPNST_ISO_E10value_typeEPSP_NS1_7vsmem_tEENKUlT_SN_SO_SP_E_clIPjSG_PS9_SI_EESM_S12_SN_SO_SP_EUlS12_E_NS1_11comp_targetILNS1_3genE0ELNS1_11target_archE4294967295ELNS1_3gpuE0ELNS1_3repE0EEENS1_48merge_mergepath_partition_config_static_selectorELNS0_4arch9wavefront6targetE0EEEvSO_
    .private_segment_fixed_size: 0
    .sgpr_count:     0
    .sgpr_spill_count: 0
    .symbol:         _ZN7rocprim17ROCPRIM_400000_NS6detail17trampoline_kernelINS0_14default_configENS1_38merge_sort_block_merge_config_selectorIjN6thrust23THRUST_200600_302600_NS5tupleIffNS6_9null_typeES8_S8_S8_S8_S8_S8_S8_EEEEZZNS1_27merge_sort_block_merge_implIS3_NS6_6detail15normal_iteratorINS6_10device_ptrIjEEEENSD_INSE_IS9_EEEEjNS1_19radix_merge_compareILb0ELb0EjNS0_19identity_decomposerEEEEE10hipError_tT0_T1_T2_jT3_P12ihipStream_tbPNSt15iterator_traitsISN_E10value_typeEPNST_ISO_E10value_typeEPSP_NS1_7vsmem_tEENKUlT_SN_SO_SP_E_clIPjSG_PS9_SI_EESM_S12_SN_SO_SP_EUlS12_E_NS1_11comp_targetILNS1_3genE0ELNS1_11target_archE4294967295ELNS1_3gpuE0ELNS1_3repE0EEENS1_48merge_mergepath_partition_config_static_selectorELNS0_4arch9wavefront6targetE0EEEvSO_.kd
    .uniform_work_group_size: 1
    .uses_dynamic_stack: false
    .vgpr_count:     0
    .vgpr_spill_count: 0
    .wavefront_size: 32
    .workgroup_processor_mode: 1
  - .args:
      - .offset:         0
        .size:           40
        .value_kind:     by_value
    .group_segment_fixed_size: 0
    .kernarg_segment_align: 8
    .kernarg_segment_size: 40
    .language:       OpenCL C
    .language_version:
      - 2
      - 0
    .max_flat_workgroup_size: 128
    .name:           _ZN7rocprim17ROCPRIM_400000_NS6detail17trampoline_kernelINS0_14default_configENS1_38merge_sort_block_merge_config_selectorIjN6thrust23THRUST_200600_302600_NS5tupleIffNS6_9null_typeES8_S8_S8_S8_S8_S8_S8_EEEEZZNS1_27merge_sort_block_merge_implIS3_NS6_6detail15normal_iteratorINS6_10device_ptrIjEEEENSD_INSE_IS9_EEEEjNS1_19radix_merge_compareILb0ELb0EjNS0_19identity_decomposerEEEEE10hipError_tT0_T1_T2_jT3_P12ihipStream_tbPNSt15iterator_traitsISN_E10value_typeEPNST_ISO_E10value_typeEPSP_NS1_7vsmem_tEENKUlT_SN_SO_SP_E_clIPjSG_PS9_SI_EESM_S12_SN_SO_SP_EUlS12_E_NS1_11comp_targetILNS1_3genE10ELNS1_11target_archE1201ELNS1_3gpuE5ELNS1_3repE0EEENS1_48merge_mergepath_partition_config_static_selectorELNS0_4arch9wavefront6targetE0EEEvSO_
    .private_segment_fixed_size: 0
    .sgpr_count:     0
    .sgpr_spill_count: 0
    .symbol:         _ZN7rocprim17ROCPRIM_400000_NS6detail17trampoline_kernelINS0_14default_configENS1_38merge_sort_block_merge_config_selectorIjN6thrust23THRUST_200600_302600_NS5tupleIffNS6_9null_typeES8_S8_S8_S8_S8_S8_S8_EEEEZZNS1_27merge_sort_block_merge_implIS3_NS6_6detail15normal_iteratorINS6_10device_ptrIjEEEENSD_INSE_IS9_EEEEjNS1_19radix_merge_compareILb0ELb0EjNS0_19identity_decomposerEEEEE10hipError_tT0_T1_T2_jT3_P12ihipStream_tbPNSt15iterator_traitsISN_E10value_typeEPNST_ISO_E10value_typeEPSP_NS1_7vsmem_tEENKUlT_SN_SO_SP_E_clIPjSG_PS9_SI_EESM_S12_SN_SO_SP_EUlS12_E_NS1_11comp_targetILNS1_3genE10ELNS1_11target_archE1201ELNS1_3gpuE5ELNS1_3repE0EEENS1_48merge_mergepath_partition_config_static_selectorELNS0_4arch9wavefront6targetE0EEEvSO_.kd
    .uniform_work_group_size: 1
    .uses_dynamic_stack: false
    .vgpr_count:     0
    .vgpr_spill_count: 0
    .wavefront_size: 32
    .workgroup_processor_mode: 1
  - .args:
      - .offset:         0
        .size:           40
        .value_kind:     by_value
    .group_segment_fixed_size: 0
    .kernarg_segment_align: 8
    .kernarg_segment_size: 40
    .language:       OpenCL C
    .language_version:
      - 2
      - 0
    .max_flat_workgroup_size: 128
    .name:           _ZN7rocprim17ROCPRIM_400000_NS6detail17trampoline_kernelINS0_14default_configENS1_38merge_sort_block_merge_config_selectorIjN6thrust23THRUST_200600_302600_NS5tupleIffNS6_9null_typeES8_S8_S8_S8_S8_S8_S8_EEEEZZNS1_27merge_sort_block_merge_implIS3_NS6_6detail15normal_iteratorINS6_10device_ptrIjEEEENSD_INSE_IS9_EEEEjNS1_19radix_merge_compareILb0ELb0EjNS0_19identity_decomposerEEEEE10hipError_tT0_T1_T2_jT3_P12ihipStream_tbPNSt15iterator_traitsISN_E10value_typeEPNST_ISO_E10value_typeEPSP_NS1_7vsmem_tEENKUlT_SN_SO_SP_E_clIPjSG_PS9_SI_EESM_S12_SN_SO_SP_EUlS12_E_NS1_11comp_targetILNS1_3genE5ELNS1_11target_archE942ELNS1_3gpuE9ELNS1_3repE0EEENS1_48merge_mergepath_partition_config_static_selectorELNS0_4arch9wavefront6targetE0EEEvSO_
    .private_segment_fixed_size: 0
    .sgpr_count:     0
    .sgpr_spill_count: 0
    .symbol:         _ZN7rocprim17ROCPRIM_400000_NS6detail17trampoline_kernelINS0_14default_configENS1_38merge_sort_block_merge_config_selectorIjN6thrust23THRUST_200600_302600_NS5tupleIffNS6_9null_typeES8_S8_S8_S8_S8_S8_S8_EEEEZZNS1_27merge_sort_block_merge_implIS3_NS6_6detail15normal_iteratorINS6_10device_ptrIjEEEENSD_INSE_IS9_EEEEjNS1_19radix_merge_compareILb0ELb0EjNS0_19identity_decomposerEEEEE10hipError_tT0_T1_T2_jT3_P12ihipStream_tbPNSt15iterator_traitsISN_E10value_typeEPNST_ISO_E10value_typeEPSP_NS1_7vsmem_tEENKUlT_SN_SO_SP_E_clIPjSG_PS9_SI_EESM_S12_SN_SO_SP_EUlS12_E_NS1_11comp_targetILNS1_3genE5ELNS1_11target_archE942ELNS1_3gpuE9ELNS1_3repE0EEENS1_48merge_mergepath_partition_config_static_selectorELNS0_4arch9wavefront6targetE0EEEvSO_.kd
    .uniform_work_group_size: 1
    .uses_dynamic_stack: false
    .vgpr_count:     0
    .vgpr_spill_count: 0
    .wavefront_size: 32
    .workgroup_processor_mode: 1
  - .args:
      - .offset:         0
        .size:           40
        .value_kind:     by_value
    .group_segment_fixed_size: 0
    .kernarg_segment_align: 8
    .kernarg_segment_size: 40
    .language:       OpenCL C
    .language_version:
      - 2
      - 0
    .max_flat_workgroup_size: 128
    .name:           _ZN7rocprim17ROCPRIM_400000_NS6detail17trampoline_kernelINS0_14default_configENS1_38merge_sort_block_merge_config_selectorIjN6thrust23THRUST_200600_302600_NS5tupleIffNS6_9null_typeES8_S8_S8_S8_S8_S8_S8_EEEEZZNS1_27merge_sort_block_merge_implIS3_NS6_6detail15normal_iteratorINS6_10device_ptrIjEEEENSD_INSE_IS9_EEEEjNS1_19radix_merge_compareILb0ELb0EjNS0_19identity_decomposerEEEEE10hipError_tT0_T1_T2_jT3_P12ihipStream_tbPNSt15iterator_traitsISN_E10value_typeEPNST_ISO_E10value_typeEPSP_NS1_7vsmem_tEENKUlT_SN_SO_SP_E_clIPjSG_PS9_SI_EESM_S12_SN_SO_SP_EUlS12_E_NS1_11comp_targetILNS1_3genE4ELNS1_11target_archE910ELNS1_3gpuE8ELNS1_3repE0EEENS1_48merge_mergepath_partition_config_static_selectorELNS0_4arch9wavefront6targetE0EEEvSO_
    .private_segment_fixed_size: 0
    .sgpr_count:     0
    .sgpr_spill_count: 0
    .symbol:         _ZN7rocprim17ROCPRIM_400000_NS6detail17trampoline_kernelINS0_14default_configENS1_38merge_sort_block_merge_config_selectorIjN6thrust23THRUST_200600_302600_NS5tupleIffNS6_9null_typeES8_S8_S8_S8_S8_S8_S8_EEEEZZNS1_27merge_sort_block_merge_implIS3_NS6_6detail15normal_iteratorINS6_10device_ptrIjEEEENSD_INSE_IS9_EEEEjNS1_19radix_merge_compareILb0ELb0EjNS0_19identity_decomposerEEEEE10hipError_tT0_T1_T2_jT3_P12ihipStream_tbPNSt15iterator_traitsISN_E10value_typeEPNST_ISO_E10value_typeEPSP_NS1_7vsmem_tEENKUlT_SN_SO_SP_E_clIPjSG_PS9_SI_EESM_S12_SN_SO_SP_EUlS12_E_NS1_11comp_targetILNS1_3genE4ELNS1_11target_archE910ELNS1_3gpuE8ELNS1_3repE0EEENS1_48merge_mergepath_partition_config_static_selectorELNS0_4arch9wavefront6targetE0EEEvSO_.kd
    .uniform_work_group_size: 1
    .uses_dynamic_stack: false
    .vgpr_count:     0
    .vgpr_spill_count: 0
    .wavefront_size: 32
    .workgroup_processor_mode: 1
  - .args:
      - .offset:         0
        .size:           40
        .value_kind:     by_value
    .group_segment_fixed_size: 0
    .kernarg_segment_align: 8
    .kernarg_segment_size: 40
    .language:       OpenCL C
    .language_version:
      - 2
      - 0
    .max_flat_workgroup_size: 128
    .name:           _ZN7rocprim17ROCPRIM_400000_NS6detail17trampoline_kernelINS0_14default_configENS1_38merge_sort_block_merge_config_selectorIjN6thrust23THRUST_200600_302600_NS5tupleIffNS6_9null_typeES8_S8_S8_S8_S8_S8_S8_EEEEZZNS1_27merge_sort_block_merge_implIS3_NS6_6detail15normal_iteratorINS6_10device_ptrIjEEEENSD_INSE_IS9_EEEEjNS1_19radix_merge_compareILb0ELb0EjNS0_19identity_decomposerEEEEE10hipError_tT0_T1_T2_jT3_P12ihipStream_tbPNSt15iterator_traitsISN_E10value_typeEPNST_ISO_E10value_typeEPSP_NS1_7vsmem_tEENKUlT_SN_SO_SP_E_clIPjSG_PS9_SI_EESM_S12_SN_SO_SP_EUlS12_E_NS1_11comp_targetILNS1_3genE3ELNS1_11target_archE908ELNS1_3gpuE7ELNS1_3repE0EEENS1_48merge_mergepath_partition_config_static_selectorELNS0_4arch9wavefront6targetE0EEEvSO_
    .private_segment_fixed_size: 0
    .sgpr_count:     0
    .sgpr_spill_count: 0
    .symbol:         _ZN7rocprim17ROCPRIM_400000_NS6detail17trampoline_kernelINS0_14default_configENS1_38merge_sort_block_merge_config_selectorIjN6thrust23THRUST_200600_302600_NS5tupleIffNS6_9null_typeES8_S8_S8_S8_S8_S8_S8_EEEEZZNS1_27merge_sort_block_merge_implIS3_NS6_6detail15normal_iteratorINS6_10device_ptrIjEEEENSD_INSE_IS9_EEEEjNS1_19radix_merge_compareILb0ELb0EjNS0_19identity_decomposerEEEEE10hipError_tT0_T1_T2_jT3_P12ihipStream_tbPNSt15iterator_traitsISN_E10value_typeEPNST_ISO_E10value_typeEPSP_NS1_7vsmem_tEENKUlT_SN_SO_SP_E_clIPjSG_PS9_SI_EESM_S12_SN_SO_SP_EUlS12_E_NS1_11comp_targetILNS1_3genE3ELNS1_11target_archE908ELNS1_3gpuE7ELNS1_3repE0EEENS1_48merge_mergepath_partition_config_static_selectorELNS0_4arch9wavefront6targetE0EEEvSO_.kd
    .uniform_work_group_size: 1
    .uses_dynamic_stack: false
    .vgpr_count:     0
    .vgpr_spill_count: 0
    .wavefront_size: 32
    .workgroup_processor_mode: 1
  - .args:
      - .offset:         0
        .size:           40
        .value_kind:     by_value
    .group_segment_fixed_size: 0
    .kernarg_segment_align: 8
    .kernarg_segment_size: 40
    .language:       OpenCL C
    .language_version:
      - 2
      - 0
    .max_flat_workgroup_size: 128
    .name:           _ZN7rocprim17ROCPRIM_400000_NS6detail17trampoline_kernelINS0_14default_configENS1_38merge_sort_block_merge_config_selectorIjN6thrust23THRUST_200600_302600_NS5tupleIffNS6_9null_typeES8_S8_S8_S8_S8_S8_S8_EEEEZZNS1_27merge_sort_block_merge_implIS3_NS6_6detail15normal_iteratorINS6_10device_ptrIjEEEENSD_INSE_IS9_EEEEjNS1_19radix_merge_compareILb0ELb0EjNS0_19identity_decomposerEEEEE10hipError_tT0_T1_T2_jT3_P12ihipStream_tbPNSt15iterator_traitsISN_E10value_typeEPNST_ISO_E10value_typeEPSP_NS1_7vsmem_tEENKUlT_SN_SO_SP_E_clIPjSG_PS9_SI_EESM_S12_SN_SO_SP_EUlS12_E_NS1_11comp_targetILNS1_3genE2ELNS1_11target_archE906ELNS1_3gpuE6ELNS1_3repE0EEENS1_48merge_mergepath_partition_config_static_selectorELNS0_4arch9wavefront6targetE0EEEvSO_
    .private_segment_fixed_size: 0
    .sgpr_count:     0
    .sgpr_spill_count: 0
    .symbol:         _ZN7rocprim17ROCPRIM_400000_NS6detail17trampoline_kernelINS0_14default_configENS1_38merge_sort_block_merge_config_selectorIjN6thrust23THRUST_200600_302600_NS5tupleIffNS6_9null_typeES8_S8_S8_S8_S8_S8_S8_EEEEZZNS1_27merge_sort_block_merge_implIS3_NS6_6detail15normal_iteratorINS6_10device_ptrIjEEEENSD_INSE_IS9_EEEEjNS1_19radix_merge_compareILb0ELb0EjNS0_19identity_decomposerEEEEE10hipError_tT0_T1_T2_jT3_P12ihipStream_tbPNSt15iterator_traitsISN_E10value_typeEPNST_ISO_E10value_typeEPSP_NS1_7vsmem_tEENKUlT_SN_SO_SP_E_clIPjSG_PS9_SI_EESM_S12_SN_SO_SP_EUlS12_E_NS1_11comp_targetILNS1_3genE2ELNS1_11target_archE906ELNS1_3gpuE6ELNS1_3repE0EEENS1_48merge_mergepath_partition_config_static_selectorELNS0_4arch9wavefront6targetE0EEEvSO_.kd
    .uniform_work_group_size: 1
    .uses_dynamic_stack: false
    .vgpr_count:     0
    .vgpr_spill_count: 0
    .wavefront_size: 32
    .workgroup_processor_mode: 1
  - .args:
      - .offset:         0
        .size:           40
        .value_kind:     by_value
    .group_segment_fixed_size: 0
    .kernarg_segment_align: 8
    .kernarg_segment_size: 40
    .language:       OpenCL C
    .language_version:
      - 2
      - 0
    .max_flat_workgroup_size: 128
    .name:           _ZN7rocprim17ROCPRIM_400000_NS6detail17trampoline_kernelINS0_14default_configENS1_38merge_sort_block_merge_config_selectorIjN6thrust23THRUST_200600_302600_NS5tupleIffNS6_9null_typeES8_S8_S8_S8_S8_S8_S8_EEEEZZNS1_27merge_sort_block_merge_implIS3_NS6_6detail15normal_iteratorINS6_10device_ptrIjEEEENSD_INSE_IS9_EEEEjNS1_19radix_merge_compareILb0ELb0EjNS0_19identity_decomposerEEEEE10hipError_tT0_T1_T2_jT3_P12ihipStream_tbPNSt15iterator_traitsISN_E10value_typeEPNST_ISO_E10value_typeEPSP_NS1_7vsmem_tEENKUlT_SN_SO_SP_E_clIPjSG_PS9_SI_EESM_S12_SN_SO_SP_EUlS12_E_NS1_11comp_targetILNS1_3genE9ELNS1_11target_archE1100ELNS1_3gpuE3ELNS1_3repE0EEENS1_48merge_mergepath_partition_config_static_selectorELNS0_4arch9wavefront6targetE0EEEvSO_
    .private_segment_fixed_size: 0
    .sgpr_count:     0
    .sgpr_spill_count: 0
    .symbol:         _ZN7rocprim17ROCPRIM_400000_NS6detail17trampoline_kernelINS0_14default_configENS1_38merge_sort_block_merge_config_selectorIjN6thrust23THRUST_200600_302600_NS5tupleIffNS6_9null_typeES8_S8_S8_S8_S8_S8_S8_EEEEZZNS1_27merge_sort_block_merge_implIS3_NS6_6detail15normal_iteratorINS6_10device_ptrIjEEEENSD_INSE_IS9_EEEEjNS1_19radix_merge_compareILb0ELb0EjNS0_19identity_decomposerEEEEE10hipError_tT0_T1_T2_jT3_P12ihipStream_tbPNSt15iterator_traitsISN_E10value_typeEPNST_ISO_E10value_typeEPSP_NS1_7vsmem_tEENKUlT_SN_SO_SP_E_clIPjSG_PS9_SI_EESM_S12_SN_SO_SP_EUlS12_E_NS1_11comp_targetILNS1_3genE9ELNS1_11target_archE1100ELNS1_3gpuE3ELNS1_3repE0EEENS1_48merge_mergepath_partition_config_static_selectorELNS0_4arch9wavefront6targetE0EEEvSO_.kd
    .uniform_work_group_size: 1
    .uses_dynamic_stack: false
    .vgpr_count:     0
    .vgpr_spill_count: 0
    .wavefront_size: 32
    .workgroup_processor_mode: 1
  - .args:
      - .offset:         0
        .size:           40
        .value_kind:     by_value
    .group_segment_fixed_size: 0
    .kernarg_segment_align: 8
    .kernarg_segment_size: 40
    .language:       OpenCL C
    .language_version:
      - 2
      - 0
    .max_flat_workgroup_size: 128
    .name:           _ZN7rocprim17ROCPRIM_400000_NS6detail17trampoline_kernelINS0_14default_configENS1_38merge_sort_block_merge_config_selectorIjN6thrust23THRUST_200600_302600_NS5tupleIffNS6_9null_typeES8_S8_S8_S8_S8_S8_S8_EEEEZZNS1_27merge_sort_block_merge_implIS3_NS6_6detail15normal_iteratorINS6_10device_ptrIjEEEENSD_INSE_IS9_EEEEjNS1_19radix_merge_compareILb0ELb0EjNS0_19identity_decomposerEEEEE10hipError_tT0_T1_T2_jT3_P12ihipStream_tbPNSt15iterator_traitsISN_E10value_typeEPNST_ISO_E10value_typeEPSP_NS1_7vsmem_tEENKUlT_SN_SO_SP_E_clIPjSG_PS9_SI_EESM_S12_SN_SO_SP_EUlS12_E_NS1_11comp_targetILNS1_3genE8ELNS1_11target_archE1030ELNS1_3gpuE2ELNS1_3repE0EEENS1_48merge_mergepath_partition_config_static_selectorELNS0_4arch9wavefront6targetE0EEEvSO_
    .private_segment_fixed_size: 0
    .sgpr_count:     9
    .sgpr_spill_count: 0
    .symbol:         _ZN7rocprim17ROCPRIM_400000_NS6detail17trampoline_kernelINS0_14default_configENS1_38merge_sort_block_merge_config_selectorIjN6thrust23THRUST_200600_302600_NS5tupleIffNS6_9null_typeES8_S8_S8_S8_S8_S8_S8_EEEEZZNS1_27merge_sort_block_merge_implIS3_NS6_6detail15normal_iteratorINS6_10device_ptrIjEEEENSD_INSE_IS9_EEEEjNS1_19radix_merge_compareILb0ELb0EjNS0_19identity_decomposerEEEEE10hipError_tT0_T1_T2_jT3_P12ihipStream_tbPNSt15iterator_traitsISN_E10value_typeEPNST_ISO_E10value_typeEPSP_NS1_7vsmem_tEENKUlT_SN_SO_SP_E_clIPjSG_PS9_SI_EESM_S12_SN_SO_SP_EUlS12_E_NS1_11comp_targetILNS1_3genE8ELNS1_11target_archE1030ELNS1_3gpuE2ELNS1_3repE0EEENS1_48merge_mergepath_partition_config_static_selectorELNS0_4arch9wavefront6targetE0EEEvSO_.kd
    .uniform_work_group_size: 1
    .uses_dynamic_stack: false
    .vgpr_count:     15
    .vgpr_spill_count: 0
    .wavefront_size: 32
    .workgroup_processor_mode: 1
  - .args:
      - .offset:         0
        .size:           64
        .value_kind:     by_value
    .group_segment_fixed_size: 0
    .kernarg_segment_align: 8
    .kernarg_segment_size: 64
    .language:       OpenCL C
    .language_version:
      - 2
      - 0
    .max_flat_workgroup_size: 512
    .name:           _ZN7rocprim17ROCPRIM_400000_NS6detail17trampoline_kernelINS0_14default_configENS1_38merge_sort_block_merge_config_selectorIjN6thrust23THRUST_200600_302600_NS5tupleIffNS6_9null_typeES8_S8_S8_S8_S8_S8_S8_EEEEZZNS1_27merge_sort_block_merge_implIS3_NS6_6detail15normal_iteratorINS6_10device_ptrIjEEEENSD_INSE_IS9_EEEEjNS1_19radix_merge_compareILb0ELb0EjNS0_19identity_decomposerEEEEE10hipError_tT0_T1_T2_jT3_P12ihipStream_tbPNSt15iterator_traitsISN_E10value_typeEPNST_ISO_E10value_typeEPSP_NS1_7vsmem_tEENKUlT_SN_SO_SP_E_clIPjSG_PS9_SI_EESM_S12_SN_SO_SP_EUlS12_E0_NS1_11comp_targetILNS1_3genE0ELNS1_11target_archE4294967295ELNS1_3gpuE0ELNS1_3repE0EEENS1_38merge_mergepath_config_static_selectorELNS0_4arch9wavefront6targetE0EEEvSO_
    .private_segment_fixed_size: 0
    .sgpr_count:     0
    .sgpr_spill_count: 0
    .symbol:         _ZN7rocprim17ROCPRIM_400000_NS6detail17trampoline_kernelINS0_14default_configENS1_38merge_sort_block_merge_config_selectorIjN6thrust23THRUST_200600_302600_NS5tupleIffNS6_9null_typeES8_S8_S8_S8_S8_S8_S8_EEEEZZNS1_27merge_sort_block_merge_implIS3_NS6_6detail15normal_iteratorINS6_10device_ptrIjEEEENSD_INSE_IS9_EEEEjNS1_19radix_merge_compareILb0ELb0EjNS0_19identity_decomposerEEEEE10hipError_tT0_T1_T2_jT3_P12ihipStream_tbPNSt15iterator_traitsISN_E10value_typeEPNST_ISO_E10value_typeEPSP_NS1_7vsmem_tEENKUlT_SN_SO_SP_E_clIPjSG_PS9_SI_EESM_S12_SN_SO_SP_EUlS12_E0_NS1_11comp_targetILNS1_3genE0ELNS1_11target_archE4294967295ELNS1_3gpuE0ELNS1_3repE0EEENS1_38merge_mergepath_config_static_selectorELNS0_4arch9wavefront6targetE0EEEvSO_.kd
    .uniform_work_group_size: 1
    .uses_dynamic_stack: false
    .vgpr_count:     0
    .vgpr_spill_count: 0
    .wavefront_size: 32
    .workgroup_processor_mode: 1
  - .args:
      - .offset:         0
        .size:           64
        .value_kind:     by_value
    .group_segment_fixed_size: 0
    .kernarg_segment_align: 8
    .kernarg_segment_size: 64
    .language:       OpenCL C
    .language_version:
      - 2
      - 0
    .max_flat_workgroup_size: 512
    .name:           _ZN7rocprim17ROCPRIM_400000_NS6detail17trampoline_kernelINS0_14default_configENS1_38merge_sort_block_merge_config_selectorIjN6thrust23THRUST_200600_302600_NS5tupleIffNS6_9null_typeES8_S8_S8_S8_S8_S8_S8_EEEEZZNS1_27merge_sort_block_merge_implIS3_NS6_6detail15normal_iteratorINS6_10device_ptrIjEEEENSD_INSE_IS9_EEEEjNS1_19radix_merge_compareILb0ELb0EjNS0_19identity_decomposerEEEEE10hipError_tT0_T1_T2_jT3_P12ihipStream_tbPNSt15iterator_traitsISN_E10value_typeEPNST_ISO_E10value_typeEPSP_NS1_7vsmem_tEENKUlT_SN_SO_SP_E_clIPjSG_PS9_SI_EESM_S12_SN_SO_SP_EUlS12_E0_NS1_11comp_targetILNS1_3genE10ELNS1_11target_archE1201ELNS1_3gpuE5ELNS1_3repE0EEENS1_38merge_mergepath_config_static_selectorELNS0_4arch9wavefront6targetE0EEEvSO_
    .private_segment_fixed_size: 0
    .sgpr_count:     0
    .sgpr_spill_count: 0
    .symbol:         _ZN7rocprim17ROCPRIM_400000_NS6detail17trampoline_kernelINS0_14default_configENS1_38merge_sort_block_merge_config_selectorIjN6thrust23THRUST_200600_302600_NS5tupleIffNS6_9null_typeES8_S8_S8_S8_S8_S8_S8_EEEEZZNS1_27merge_sort_block_merge_implIS3_NS6_6detail15normal_iteratorINS6_10device_ptrIjEEEENSD_INSE_IS9_EEEEjNS1_19radix_merge_compareILb0ELb0EjNS0_19identity_decomposerEEEEE10hipError_tT0_T1_T2_jT3_P12ihipStream_tbPNSt15iterator_traitsISN_E10value_typeEPNST_ISO_E10value_typeEPSP_NS1_7vsmem_tEENKUlT_SN_SO_SP_E_clIPjSG_PS9_SI_EESM_S12_SN_SO_SP_EUlS12_E0_NS1_11comp_targetILNS1_3genE10ELNS1_11target_archE1201ELNS1_3gpuE5ELNS1_3repE0EEENS1_38merge_mergepath_config_static_selectorELNS0_4arch9wavefront6targetE0EEEvSO_.kd
    .uniform_work_group_size: 1
    .uses_dynamic_stack: false
    .vgpr_count:     0
    .vgpr_spill_count: 0
    .wavefront_size: 32
    .workgroup_processor_mode: 1
  - .args:
      - .offset:         0
        .size:           64
        .value_kind:     by_value
    .group_segment_fixed_size: 0
    .kernarg_segment_align: 8
    .kernarg_segment_size: 64
    .language:       OpenCL C
    .language_version:
      - 2
      - 0
    .max_flat_workgroup_size: 256
    .name:           _ZN7rocprim17ROCPRIM_400000_NS6detail17trampoline_kernelINS0_14default_configENS1_38merge_sort_block_merge_config_selectorIjN6thrust23THRUST_200600_302600_NS5tupleIffNS6_9null_typeES8_S8_S8_S8_S8_S8_S8_EEEEZZNS1_27merge_sort_block_merge_implIS3_NS6_6detail15normal_iteratorINS6_10device_ptrIjEEEENSD_INSE_IS9_EEEEjNS1_19radix_merge_compareILb0ELb0EjNS0_19identity_decomposerEEEEE10hipError_tT0_T1_T2_jT3_P12ihipStream_tbPNSt15iterator_traitsISN_E10value_typeEPNST_ISO_E10value_typeEPSP_NS1_7vsmem_tEENKUlT_SN_SO_SP_E_clIPjSG_PS9_SI_EESM_S12_SN_SO_SP_EUlS12_E0_NS1_11comp_targetILNS1_3genE5ELNS1_11target_archE942ELNS1_3gpuE9ELNS1_3repE0EEENS1_38merge_mergepath_config_static_selectorELNS0_4arch9wavefront6targetE0EEEvSO_
    .private_segment_fixed_size: 0
    .sgpr_count:     0
    .sgpr_spill_count: 0
    .symbol:         _ZN7rocprim17ROCPRIM_400000_NS6detail17trampoline_kernelINS0_14default_configENS1_38merge_sort_block_merge_config_selectorIjN6thrust23THRUST_200600_302600_NS5tupleIffNS6_9null_typeES8_S8_S8_S8_S8_S8_S8_EEEEZZNS1_27merge_sort_block_merge_implIS3_NS6_6detail15normal_iteratorINS6_10device_ptrIjEEEENSD_INSE_IS9_EEEEjNS1_19radix_merge_compareILb0ELb0EjNS0_19identity_decomposerEEEEE10hipError_tT0_T1_T2_jT3_P12ihipStream_tbPNSt15iterator_traitsISN_E10value_typeEPNST_ISO_E10value_typeEPSP_NS1_7vsmem_tEENKUlT_SN_SO_SP_E_clIPjSG_PS9_SI_EESM_S12_SN_SO_SP_EUlS12_E0_NS1_11comp_targetILNS1_3genE5ELNS1_11target_archE942ELNS1_3gpuE9ELNS1_3repE0EEENS1_38merge_mergepath_config_static_selectorELNS0_4arch9wavefront6targetE0EEEvSO_.kd
    .uniform_work_group_size: 1
    .uses_dynamic_stack: false
    .vgpr_count:     0
    .vgpr_spill_count: 0
    .wavefront_size: 32
    .workgroup_processor_mode: 1
  - .args:
      - .offset:         0
        .size:           64
        .value_kind:     by_value
    .group_segment_fixed_size: 0
    .kernarg_segment_align: 8
    .kernarg_segment_size: 64
    .language:       OpenCL C
    .language_version:
      - 2
      - 0
    .max_flat_workgroup_size: 256
    .name:           _ZN7rocprim17ROCPRIM_400000_NS6detail17trampoline_kernelINS0_14default_configENS1_38merge_sort_block_merge_config_selectorIjN6thrust23THRUST_200600_302600_NS5tupleIffNS6_9null_typeES8_S8_S8_S8_S8_S8_S8_EEEEZZNS1_27merge_sort_block_merge_implIS3_NS6_6detail15normal_iteratorINS6_10device_ptrIjEEEENSD_INSE_IS9_EEEEjNS1_19radix_merge_compareILb0ELb0EjNS0_19identity_decomposerEEEEE10hipError_tT0_T1_T2_jT3_P12ihipStream_tbPNSt15iterator_traitsISN_E10value_typeEPNST_ISO_E10value_typeEPSP_NS1_7vsmem_tEENKUlT_SN_SO_SP_E_clIPjSG_PS9_SI_EESM_S12_SN_SO_SP_EUlS12_E0_NS1_11comp_targetILNS1_3genE4ELNS1_11target_archE910ELNS1_3gpuE8ELNS1_3repE0EEENS1_38merge_mergepath_config_static_selectorELNS0_4arch9wavefront6targetE0EEEvSO_
    .private_segment_fixed_size: 0
    .sgpr_count:     0
    .sgpr_spill_count: 0
    .symbol:         _ZN7rocprim17ROCPRIM_400000_NS6detail17trampoline_kernelINS0_14default_configENS1_38merge_sort_block_merge_config_selectorIjN6thrust23THRUST_200600_302600_NS5tupleIffNS6_9null_typeES8_S8_S8_S8_S8_S8_S8_EEEEZZNS1_27merge_sort_block_merge_implIS3_NS6_6detail15normal_iteratorINS6_10device_ptrIjEEEENSD_INSE_IS9_EEEEjNS1_19radix_merge_compareILb0ELb0EjNS0_19identity_decomposerEEEEE10hipError_tT0_T1_T2_jT3_P12ihipStream_tbPNSt15iterator_traitsISN_E10value_typeEPNST_ISO_E10value_typeEPSP_NS1_7vsmem_tEENKUlT_SN_SO_SP_E_clIPjSG_PS9_SI_EESM_S12_SN_SO_SP_EUlS12_E0_NS1_11comp_targetILNS1_3genE4ELNS1_11target_archE910ELNS1_3gpuE8ELNS1_3repE0EEENS1_38merge_mergepath_config_static_selectorELNS0_4arch9wavefront6targetE0EEEvSO_.kd
    .uniform_work_group_size: 1
    .uses_dynamic_stack: false
    .vgpr_count:     0
    .vgpr_spill_count: 0
    .wavefront_size: 32
    .workgroup_processor_mode: 1
  - .args:
      - .offset:         0
        .size:           64
        .value_kind:     by_value
    .group_segment_fixed_size: 0
    .kernarg_segment_align: 8
    .kernarg_segment_size: 64
    .language:       OpenCL C
    .language_version:
      - 2
      - 0
    .max_flat_workgroup_size: 512
    .name:           _ZN7rocprim17ROCPRIM_400000_NS6detail17trampoline_kernelINS0_14default_configENS1_38merge_sort_block_merge_config_selectorIjN6thrust23THRUST_200600_302600_NS5tupleIffNS6_9null_typeES8_S8_S8_S8_S8_S8_S8_EEEEZZNS1_27merge_sort_block_merge_implIS3_NS6_6detail15normal_iteratorINS6_10device_ptrIjEEEENSD_INSE_IS9_EEEEjNS1_19radix_merge_compareILb0ELb0EjNS0_19identity_decomposerEEEEE10hipError_tT0_T1_T2_jT3_P12ihipStream_tbPNSt15iterator_traitsISN_E10value_typeEPNST_ISO_E10value_typeEPSP_NS1_7vsmem_tEENKUlT_SN_SO_SP_E_clIPjSG_PS9_SI_EESM_S12_SN_SO_SP_EUlS12_E0_NS1_11comp_targetILNS1_3genE3ELNS1_11target_archE908ELNS1_3gpuE7ELNS1_3repE0EEENS1_38merge_mergepath_config_static_selectorELNS0_4arch9wavefront6targetE0EEEvSO_
    .private_segment_fixed_size: 0
    .sgpr_count:     0
    .sgpr_spill_count: 0
    .symbol:         _ZN7rocprim17ROCPRIM_400000_NS6detail17trampoline_kernelINS0_14default_configENS1_38merge_sort_block_merge_config_selectorIjN6thrust23THRUST_200600_302600_NS5tupleIffNS6_9null_typeES8_S8_S8_S8_S8_S8_S8_EEEEZZNS1_27merge_sort_block_merge_implIS3_NS6_6detail15normal_iteratorINS6_10device_ptrIjEEEENSD_INSE_IS9_EEEEjNS1_19radix_merge_compareILb0ELb0EjNS0_19identity_decomposerEEEEE10hipError_tT0_T1_T2_jT3_P12ihipStream_tbPNSt15iterator_traitsISN_E10value_typeEPNST_ISO_E10value_typeEPSP_NS1_7vsmem_tEENKUlT_SN_SO_SP_E_clIPjSG_PS9_SI_EESM_S12_SN_SO_SP_EUlS12_E0_NS1_11comp_targetILNS1_3genE3ELNS1_11target_archE908ELNS1_3gpuE7ELNS1_3repE0EEENS1_38merge_mergepath_config_static_selectorELNS0_4arch9wavefront6targetE0EEEvSO_.kd
    .uniform_work_group_size: 1
    .uses_dynamic_stack: false
    .vgpr_count:     0
    .vgpr_spill_count: 0
    .wavefront_size: 32
    .workgroup_processor_mode: 1
  - .args:
      - .offset:         0
        .size:           64
        .value_kind:     by_value
    .group_segment_fixed_size: 0
    .kernarg_segment_align: 8
    .kernarg_segment_size: 64
    .language:       OpenCL C
    .language_version:
      - 2
      - 0
    .max_flat_workgroup_size: 256
    .name:           _ZN7rocprim17ROCPRIM_400000_NS6detail17trampoline_kernelINS0_14default_configENS1_38merge_sort_block_merge_config_selectorIjN6thrust23THRUST_200600_302600_NS5tupleIffNS6_9null_typeES8_S8_S8_S8_S8_S8_S8_EEEEZZNS1_27merge_sort_block_merge_implIS3_NS6_6detail15normal_iteratorINS6_10device_ptrIjEEEENSD_INSE_IS9_EEEEjNS1_19radix_merge_compareILb0ELb0EjNS0_19identity_decomposerEEEEE10hipError_tT0_T1_T2_jT3_P12ihipStream_tbPNSt15iterator_traitsISN_E10value_typeEPNST_ISO_E10value_typeEPSP_NS1_7vsmem_tEENKUlT_SN_SO_SP_E_clIPjSG_PS9_SI_EESM_S12_SN_SO_SP_EUlS12_E0_NS1_11comp_targetILNS1_3genE2ELNS1_11target_archE906ELNS1_3gpuE6ELNS1_3repE0EEENS1_38merge_mergepath_config_static_selectorELNS0_4arch9wavefront6targetE0EEEvSO_
    .private_segment_fixed_size: 0
    .sgpr_count:     0
    .sgpr_spill_count: 0
    .symbol:         _ZN7rocprim17ROCPRIM_400000_NS6detail17trampoline_kernelINS0_14default_configENS1_38merge_sort_block_merge_config_selectorIjN6thrust23THRUST_200600_302600_NS5tupleIffNS6_9null_typeES8_S8_S8_S8_S8_S8_S8_EEEEZZNS1_27merge_sort_block_merge_implIS3_NS6_6detail15normal_iteratorINS6_10device_ptrIjEEEENSD_INSE_IS9_EEEEjNS1_19radix_merge_compareILb0ELb0EjNS0_19identity_decomposerEEEEE10hipError_tT0_T1_T2_jT3_P12ihipStream_tbPNSt15iterator_traitsISN_E10value_typeEPNST_ISO_E10value_typeEPSP_NS1_7vsmem_tEENKUlT_SN_SO_SP_E_clIPjSG_PS9_SI_EESM_S12_SN_SO_SP_EUlS12_E0_NS1_11comp_targetILNS1_3genE2ELNS1_11target_archE906ELNS1_3gpuE6ELNS1_3repE0EEENS1_38merge_mergepath_config_static_selectorELNS0_4arch9wavefront6targetE0EEEvSO_.kd
    .uniform_work_group_size: 1
    .uses_dynamic_stack: false
    .vgpr_count:     0
    .vgpr_spill_count: 0
    .wavefront_size: 32
    .workgroup_processor_mode: 1
  - .args:
      - .offset:         0
        .size:           64
        .value_kind:     by_value
    .group_segment_fixed_size: 0
    .kernarg_segment_align: 8
    .kernarg_segment_size: 64
    .language:       OpenCL C
    .language_version:
      - 2
      - 0
    .max_flat_workgroup_size: 512
    .name:           _ZN7rocprim17ROCPRIM_400000_NS6detail17trampoline_kernelINS0_14default_configENS1_38merge_sort_block_merge_config_selectorIjN6thrust23THRUST_200600_302600_NS5tupleIffNS6_9null_typeES8_S8_S8_S8_S8_S8_S8_EEEEZZNS1_27merge_sort_block_merge_implIS3_NS6_6detail15normal_iteratorINS6_10device_ptrIjEEEENSD_INSE_IS9_EEEEjNS1_19radix_merge_compareILb0ELb0EjNS0_19identity_decomposerEEEEE10hipError_tT0_T1_T2_jT3_P12ihipStream_tbPNSt15iterator_traitsISN_E10value_typeEPNST_ISO_E10value_typeEPSP_NS1_7vsmem_tEENKUlT_SN_SO_SP_E_clIPjSG_PS9_SI_EESM_S12_SN_SO_SP_EUlS12_E0_NS1_11comp_targetILNS1_3genE9ELNS1_11target_archE1100ELNS1_3gpuE3ELNS1_3repE0EEENS1_38merge_mergepath_config_static_selectorELNS0_4arch9wavefront6targetE0EEEvSO_
    .private_segment_fixed_size: 0
    .sgpr_count:     0
    .sgpr_spill_count: 0
    .symbol:         _ZN7rocprim17ROCPRIM_400000_NS6detail17trampoline_kernelINS0_14default_configENS1_38merge_sort_block_merge_config_selectorIjN6thrust23THRUST_200600_302600_NS5tupleIffNS6_9null_typeES8_S8_S8_S8_S8_S8_S8_EEEEZZNS1_27merge_sort_block_merge_implIS3_NS6_6detail15normal_iteratorINS6_10device_ptrIjEEEENSD_INSE_IS9_EEEEjNS1_19radix_merge_compareILb0ELb0EjNS0_19identity_decomposerEEEEE10hipError_tT0_T1_T2_jT3_P12ihipStream_tbPNSt15iterator_traitsISN_E10value_typeEPNST_ISO_E10value_typeEPSP_NS1_7vsmem_tEENKUlT_SN_SO_SP_E_clIPjSG_PS9_SI_EESM_S12_SN_SO_SP_EUlS12_E0_NS1_11comp_targetILNS1_3genE9ELNS1_11target_archE1100ELNS1_3gpuE3ELNS1_3repE0EEENS1_38merge_mergepath_config_static_selectorELNS0_4arch9wavefront6targetE0EEEvSO_.kd
    .uniform_work_group_size: 1
    .uses_dynamic_stack: false
    .vgpr_count:     0
    .vgpr_spill_count: 0
    .wavefront_size: 32
    .workgroup_processor_mode: 1
  - .args:
      - .offset:         0
        .size:           64
        .value_kind:     by_value
      - .offset:         64
        .size:           4
        .value_kind:     hidden_block_count_x
      - .offset:         68
        .size:           4
        .value_kind:     hidden_block_count_y
      - .offset:         72
        .size:           4
        .value_kind:     hidden_block_count_z
      - .offset:         76
        .size:           2
        .value_kind:     hidden_group_size_x
      - .offset:         78
        .size:           2
        .value_kind:     hidden_group_size_y
      - .offset:         80
        .size:           2
        .value_kind:     hidden_group_size_z
      - .offset:         82
        .size:           2
        .value_kind:     hidden_remainder_x
      - .offset:         84
        .size:           2
        .value_kind:     hidden_remainder_y
      - .offset:         86
        .size:           2
        .value_kind:     hidden_remainder_z
      - .offset:         104
        .size:           8
        .value_kind:     hidden_global_offset_x
      - .offset:         112
        .size:           8
        .value_kind:     hidden_global_offset_y
      - .offset:         120
        .size:           8
        .value_kind:     hidden_global_offset_z
      - .offset:         128
        .size:           2
        .value_kind:     hidden_grid_dims
    .group_segment_fixed_size: 8208
    .kernarg_segment_align: 8
    .kernarg_segment_size: 320
    .language:       OpenCL C
    .language_version:
      - 2
      - 0
    .max_flat_workgroup_size: 1024
    .name:           _ZN7rocprim17ROCPRIM_400000_NS6detail17trampoline_kernelINS0_14default_configENS1_38merge_sort_block_merge_config_selectorIjN6thrust23THRUST_200600_302600_NS5tupleIffNS6_9null_typeES8_S8_S8_S8_S8_S8_S8_EEEEZZNS1_27merge_sort_block_merge_implIS3_NS6_6detail15normal_iteratorINS6_10device_ptrIjEEEENSD_INSE_IS9_EEEEjNS1_19radix_merge_compareILb0ELb0EjNS0_19identity_decomposerEEEEE10hipError_tT0_T1_T2_jT3_P12ihipStream_tbPNSt15iterator_traitsISN_E10value_typeEPNST_ISO_E10value_typeEPSP_NS1_7vsmem_tEENKUlT_SN_SO_SP_E_clIPjSG_PS9_SI_EESM_S12_SN_SO_SP_EUlS12_E0_NS1_11comp_targetILNS1_3genE8ELNS1_11target_archE1030ELNS1_3gpuE2ELNS1_3repE0EEENS1_38merge_mergepath_config_static_selectorELNS0_4arch9wavefront6targetE0EEEvSO_
    .private_segment_fixed_size: 0
    .sgpr_count:     24
    .sgpr_spill_count: 0
    .symbol:         _ZN7rocprim17ROCPRIM_400000_NS6detail17trampoline_kernelINS0_14default_configENS1_38merge_sort_block_merge_config_selectorIjN6thrust23THRUST_200600_302600_NS5tupleIffNS6_9null_typeES8_S8_S8_S8_S8_S8_S8_EEEEZZNS1_27merge_sort_block_merge_implIS3_NS6_6detail15normal_iteratorINS6_10device_ptrIjEEEENSD_INSE_IS9_EEEEjNS1_19radix_merge_compareILb0ELb0EjNS0_19identity_decomposerEEEEE10hipError_tT0_T1_T2_jT3_P12ihipStream_tbPNSt15iterator_traitsISN_E10value_typeEPNST_ISO_E10value_typeEPSP_NS1_7vsmem_tEENKUlT_SN_SO_SP_E_clIPjSG_PS9_SI_EESM_S12_SN_SO_SP_EUlS12_E0_NS1_11comp_targetILNS1_3genE8ELNS1_11target_archE1030ELNS1_3gpuE2ELNS1_3repE0EEENS1_38merge_mergepath_config_static_selectorELNS0_4arch9wavefront6targetE0EEEvSO_.kd
    .uniform_work_group_size: 1
    .uses_dynamic_stack: false
    .vgpr_count:     14
    .vgpr_spill_count: 0
    .wavefront_size: 32
    .workgroup_processor_mode: 1
  - .args:
      - .offset:         0
        .size:           48
        .value_kind:     by_value
    .group_segment_fixed_size: 0
    .kernarg_segment_align: 8
    .kernarg_segment_size: 48
    .language:       OpenCL C
    .language_version:
      - 2
      - 0
    .max_flat_workgroup_size: 256
    .name:           _ZN7rocprim17ROCPRIM_400000_NS6detail17trampoline_kernelINS0_14default_configENS1_38merge_sort_block_merge_config_selectorIjN6thrust23THRUST_200600_302600_NS5tupleIffNS6_9null_typeES8_S8_S8_S8_S8_S8_S8_EEEEZZNS1_27merge_sort_block_merge_implIS3_NS6_6detail15normal_iteratorINS6_10device_ptrIjEEEENSD_INSE_IS9_EEEEjNS1_19radix_merge_compareILb0ELb0EjNS0_19identity_decomposerEEEEE10hipError_tT0_T1_T2_jT3_P12ihipStream_tbPNSt15iterator_traitsISN_E10value_typeEPNST_ISO_E10value_typeEPSP_NS1_7vsmem_tEENKUlT_SN_SO_SP_E_clIPjSG_PS9_SI_EESM_S12_SN_SO_SP_EUlS12_E1_NS1_11comp_targetILNS1_3genE0ELNS1_11target_archE4294967295ELNS1_3gpuE0ELNS1_3repE0EEENS1_36merge_oddeven_config_static_selectorELNS0_4arch9wavefront6targetE0EEEvSO_
    .private_segment_fixed_size: 0
    .sgpr_count:     0
    .sgpr_spill_count: 0
    .symbol:         _ZN7rocprim17ROCPRIM_400000_NS6detail17trampoline_kernelINS0_14default_configENS1_38merge_sort_block_merge_config_selectorIjN6thrust23THRUST_200600_302600_NS5tupleIffNS6_9null_typeES8_S8_S8_S8_S8_S8_S8_EEEEZZNS1_27merge_sort_block_merge_implIS3_NS6_6detail15normal_iteratorINS6_10device_ptrIjEEEENSD_INSE_IS9_EEEEjNS1_19radix_merge_compareILb0ELb0EjNS0_19identity_decomposerEEEEE10hipError_tT0_T1_T2_jT3_P12ihipStream_tbPNSt15iterator_traitsISN_E10value_typeEPNST_ISO_E10value_typeEPSP_NS1_7vsmem_tEENKUlT_SN_SO_SP_E_clIPjSG_PS9_SI_EESM_S12_SN_SO_SP_EUlS12_E1_NS1_11comp_targetILNS1_3genE0ELNS1_11target_archE4294967295ELNS1_3gpuE0ELNS1_3repE0EEENS1_36merge_oddeven_config_static_selectorELNS0_4arch9wavefront6targetE0EEEvSO_.kd
    .uniform_work_group_size: 1
    .uses_dynamic_stack: false
    .vgpr_count:     0
    .vgpr_spill_count: 0
    .wavefront_size: 32
    .workgroup_processor_mode: 1
  - .args:
      - .offset:         0
        .size:           48
        .value_kind:     by_value
    .group_segment_fixed_size: 0
    .kernarg_segment_align: 8
    .kernarg_segment_size: 48
    .language:       OpenCL C
    .language_version:
      - 2
      - 0
    .max_flat_workgroup_size: 256
    .name:           _ZN7rocprim17ROCPRIM_400000_NS6detail17trampoline_kernelINS0_14default_configENS1_38merge_sort_block_merge_config_selectorIjN6thrust23THRUST_200600_302600_NS5tupleIffNS6_9null_typeES8_S8_S8_S8_S8_S8_S8_EEEEZZNS1_27merge_sort_block_merge_implIS3_NS6_6detail15normal_iteratorINS6_10device_ptrIjEEEENSD_INSE_IS9_EEEEjNS1_19radix_merge_compareILb0ELb0EjNS0_19identity_decomposerEEEEE10hipError_tT0_T1_T2_jT3_P12ihipStream_tbPNSt15iterator_traitsISN_E10value_typeEPNST_ISO_E10value_typeEPSP_NS1_7vsmem_tEENKUlT_SN_SO_SP_E_clIPjSG_PS9_SI_EESM_S12_SN_SO_SP_EUlS12_E1_NS1_11comp_targetILNS1_3genE10ELNS1_11target_archE1201ELNS1_3gpuE5ELNS1_3repE0EEENS1_36merge_oddeven_config_static_selectorELNS0_4arch9wavefront6targetE0EEEvSO_
    .private_segment_fixed_size: 0
    .sgpr_count:     0
    .sgpr_spill_count: 0
    .symbol:         _ZN7rocprim17ROCPRIM_400000_NS6detail17trampoline_kernelINS0_14default_configENS1_38merge_sort_block_merge_config_selectorIjN6thrust23THRUST_200600_302600_NS5tupleIffNS6_9null_typeES8_S8_S8_S8_S8_S8_S8_EEEEZZNS1_27merge_sort_block_merge_implIS3_NS6_6detail15normal_iteratorINS6_10device_ptrIjEEEENSD_INSE_IS9_EEEEjNS1_19radix_merge_compareILb0ELb0EjNS0_19identity_decomposerEEEEE10hipError_tT0_T1_T2_jT3_P12ihipStream_tbPNSt15iterator_traitsISN_E10value_typeEPNST_ISO_E10value_typeEPSP_NS1_7vsmem_tEENKUlT_SN_SO_SP_E_clIPjSG_PS9_SI_EESM_S12_SN_SO_SP_EUlS12_E1_NS1_11comp_targetILNS1_3genE10ELNS1_11target_archE1201ELNS1_3gpuE5ELNS1_3repE0EEENS1_36merge_oddeven_config_static_selectorELNS0_4arch9wavefront6targetE0EEEvSO_.kd
    .uniform_work_group_size: 1
    .uses_dynamic_stack: false
    .vgpr_count:     0
    .vgpr_spill_count: 0
    .wavefront_size: 32
    .workgroup_processor_mode: 1
  - .args:
      - .offset:         0
        .size:           48
        .value_kind:     by_value
    .group_segment_fixed_size: 0
    .kernarg_segment_align: 8
    .kernarg_segment_size: 48
    .language:       OpenCL C
    .language_version:
      - 2
      - 0
    .max_flat_workgroup_size: 256
    .name:           _ZN7rocprim17ROCPRIM_400000_NS6detail17trampoline_kernelINS0_14default_configENS1_38merge_sort_block_merge_config_selectorIjN6thrust23THRUST_200600_302600_NS5tupleIffNS6_9null_typeES8_S8_S8_S8_S8_S8_S8_EEEEZZNS1_27merge_sort_block_merge_implIS3_NS6_6detail15normal_iteratorINS6_10device_ptrIjEEEENSD_INSE_IS9_EEEEjNS1_19radix_merge_compareILb0ELb0EjNS0_19identity_decomposerEEEEE10hipError_tT0_T1_T2_jT3_P12ihipStream_tbPNSt15iterator_traitsISN_E10value_typeEPNST_ISO_E10value_typeEPSP_NS1_7vsmem_tEENKUlT_SN_SO_SP_E_clIPjSG_PS9_SI_EESM_S12_SN_SO_SP_EUlS12_E1_NS1_11comp_targetILNS1_3genE5ELNS1_11target_archE942ELNS1_3gpuE9ELNS1_3repE0EEENS1_36merge_oddeven_config_static_selectorELNS0_4arch9wavefront6targetE0EEEvSO_
    .private_segment_fixed_size: 0
    .sgpr_count:     0
    .sgpr_spill_count: 0
    .symbol:         _ZN7rocprim17ROCPRIM_400000_NS6detail17trampoline_kernelINS0_14default_configENS1_38merge_sort_block_merge_config_selectorIjN6thrust23THRUST_200600_302600_NS5tupleIffNS6_9null_typeES8_S8_S8_S8_S8_S8_S8_EEEEZZNS1_27merge_sort_block_merge_implIS3_NS6_6detail15normal_iteratorINS6_10device_ptrIjEEEENSD_INSE_IS9_EEEEjNS1_19radix_merge_compareILb0ELb0EjNS0_19identity_decomposerEEEEE10hipError_tT0_T1_T2_jT3_P12ihipStream_tbPNSt15iterator_traitsISN_E10value_typeEPNST_ISO_E10value_typeEPSP_NS1_7vsmem_tEENKUlT_SN_SO_SP_E_clIPjSG_PS9_SI_EESM_S12_SN_SO_SP_EUlS12_E1_NS1_11comp_targetILNS1_3genE5ELNS1_11target_archE942ELNS1_3gpuE9ELNS1_3repE0EEENS1_36merge_oddeven_config_static_selectorELNS0_4arch9wavefront6targetE0EEEvSO_.kd
    .uniform_work_group_size: 1
    .uses_dynamic_stack: false
    .vgpr_count:     0
    .vgpr_spill_count: 0
    .wavefront_size: 32
    .workgroup_processor_mode: 1
  - .args:
      - .offset:         0
        .size:           48
        .value_kind:     by_value
    .group_segment_fixed_size: 0
    .kernarg_segment_align: 8
    .kernarg_segment_size: 48
    .language:       OpenCL C
    .language_version:
      - 2
      - 0
    .max_flat_workgroup_size: 256
    .name:           _ZN7rocprim17ROCPRIM_400000_NS6detail17trampoline_kernelINS0_14default_configENS1_38merge_sort_block_merge_config_selectorIjN6thrust23THRUST_200600_302600_NS5tupleIffNS6_9null_typeES8_S8_S8_S8_S8_S8_S8_EEEEZZNS1_27merge_sort_block_merge_implIS3_NS6_6detail15normal_iteratorINS6_10device_ptrIjEEEENSD_INSE_IS9_EEEEjNS1_19radix_merge_compareILb0ELb0EjNS0_19identity_decomposerEEEEE10hipError_tT0_T1_T2_jT3_P12ihipStream_tbPNSt15iterator_traitsISN_E10value_typeEPNST_ISO_E10value_typeEPSP_NS1_7vsmem_tEENKUlT_SN_SO_SP_E_clIPjSG_PS9_SI_EESM_S12_SN_SO_SP_EUlS12_E1_NS1_11comp_targetILNS1_3genE4ELNS1_11target_archE910ELNS1_3gpuE8ELNS1_3repE0EEENS1_36merge_oddeven_config_static_selectorELNS0_4arch9wavefront6targetE0EEEvSO_
    .private_segment_fixed_size: 0
    .sgpr_count:     0
    .sgpr_spill_count: 0
    .symbol:         _ZN7rocprim17ROCPRIM_400000_NS6detail17trampoline_kernelINS0_14default_configENS1_38merge_sort_block_merge_config_selectorIjN6thrust23THRUST_200600_302600_NS5tupleIffNS6_9null_typeES8_S8_S8_S8_S8_S8_S8_EEEEZZNS1_27merge_sort_block_merge_implIS3_NS6_6detail15normal_iteratorINS6_10device_ptrIjEEEENSD_INSE_IS9_EEEEjNS1_19radix_merge_compareILb0ELb0EjNS0_19identity_decomposerEEEEE10hipError_tT0_T1_T2_jT3_P12ihipStream_tbPNSt15iterator_traitsISN_E10value_typeEPNST_ISO_E10value_typeEPSP_NS1_7vsmem_tEENKUlT_SN_SO_SP_E_clIPjSG_PS9_SI_EESM_S12_SN_SO_SP_EUlS12_E1_NS1_11comp_targetILNS1_3genE4ELNS1_11target_archE910ELNS1_3gpuE8ELNS1_3repE0EEENS1_36merge_oddeven_config_static_selectorELNS0_4arch9wavefront6targetE0EEEvSO_.kd
    .uniform_work_group_size: 1
    .uses_dynamic_stack: false
    .vgpr_count:     0
    .vgpr_spill_count: 0
    .wavefront_size: 32
    .workgroup_processor_mode: 1
  - .args:
      - .offset:         0
        .size:           48
        .value_kind:     by_value
    .group_segment_fixed_size: 0
    .kernarg_segment_align: 8
    .kernarg_segment_size: 48
    .language:       OpenCL C
    .language_version:
      - 2
      - 0
    .max_flat_workgroup_size: 256
    .name:           _ZN7rocprim17ROCPRIM_400000_NS6detail17trampoline_kernelINS0_14default_configENS1_38merge_sort_block_merge_config_selectorIjN6thrust23THRUST_200600_302600_NS5tupleIffNS6_9null_typeES8_S8_S8_S8_S8_S8_S8_EEEEZZNS1_27merge_sort_block_merge_implIS3_NS6_6detail15normal_iteratorINS6_10device_ptrIjEEEENSD_INSE_IS9_EEEEjNS1_19radix_merge_compareILb0ELb0EjNS0_19identity_decomposerEEEEE10hipError_tT0_T1_T2_jT3_P12ihipStream_tbPNSt15iterator_traitsISN_E10value_typeEPNST_ISO_E10value_typeEPSP_NS1_7vsmem_tEENKUlT_SN_SO_SP_E_clIPjSG_PS9_SI_EESM_S12_SN_SO_SP_EUlS12_E1_NS1_11comp_targetILNS1_3genE3ELNS1_11target_archE908ELNS1_3gpuE7ELNS1_3repE0EEENS1_36merge_oddeven_config_static_selectorELNS0_4arch9wavefront6targetE0EEEvSO_
    .private_segment_fixed_size: 0
    .sgpr_count:     0
    .sgpr_spill_count: 0
    .symbol:         _ZN7rocprim17ROCPRIM_400000_NS6detail17trampoline_kernelINS0_14default_configENS1_38merge_sort_block_merge_config_selectorIjN6thrust23THRUST_200600_302600_NS5tupleIffNS6_9null_typeES8_S8_S8_S8_S8_S8_S8_EEEEZZNS1_27merge_sort_block_merge_implIS3_NS6_6detail15normal_iteratorINS6_10device_ptrIjEEEENSD_INSE_IS9_EEEEjNS1_19radix_merge_compareILb0ELb0EjNS0_19identity_decomposerEEEEE10hipError_tT0_T1_T2_jT3_P12ihipStream_tbPNSt15iterator_traitsISN_E10value_typeEPNST_ISO_E10value_typeEPSP_NS1_7vsmem_tEENKUlT_SN_SO_SP_E_clIPjSG_PS9_SI_EESM_S12_SN_SO_SP_EUlS12_E1_NS1_11comp_targetILNS1_3genE3ELNS1_11target_archE908ELNS1_3gpuE7ELNS1_3repE0EEENS1_36merge_oddeven_config_static_selectorELNS0_4arch9wavefront6targetE0EEEvSO_.kd
    .uniform_work_group_size: 1
    .uses_dynamic_stack: false
    .vgpr_count:     0
    .vgpr_spill_count: 0
    .wavefront_size: 32
    .workgroup_processor_mode: 1
  - .args:
      - .offset:         0
        .size:           48
        .value_kind:     by_value
    .group_segment_fixed_size: 0
    .kernarg_segment_align: 8
    .kernarg_segment_size: 48
    .language:       OpenCL C
    .language_version:
      - 2
      - 0
    .max_flat_workgroup_size: 256
    .name:           _ZN7rocprim17ROCPRIM_400000_NS6detail17trampoline_kernelINS0_14default_configENS1_38merge_sort_block_merge_config_selectorIjN6thrust23THRUST_200600_302600_NS5tupleIffNS6_9null_typeES8_S8_S8_S8_S8_S8_S8_EEEEZZNS1_27merge_sort_block_merge_implIS3_NS6_6detail15normal_iteratorINS6_10device_ptrIjEEEENSD_INSE_IS9_EEEEjNS1_19radix_merge_compareILb0ELb0EjNS0_19identity_decomposerEEEEE10hipError_tT0_T1_T2_jT3_P12ihipStream_tbPNSt15iterator_traitsISN_E10value_typeEPNST_ISO_E10value_typeEPSP_NS1_7vsmem_tEENKUlT_SN_SO_SP_E_clIPjSG_PS9_SI_EESM_S12_SN_SO_SP_EUlS12_E1_NS1_11comp_targetILNS1_3genE2ELNS1_11target_archE906ELNS1_3gpuE6ELNS1_3repE0EEENS1_36merge_oddeven_config_static_selectorELNS0_4arch9wavefront6targetE0EEEvSO_
    .private_segment_fixed_size: 0
    .sgpr_count:     0
    .sgpr_spill_count: 0
    .symbol:         _ZN7rocprim17ROCPRIM_400000_NS6detail17trampoline_kernelINS0_14default_configENS1_38merge_sort_block_merge_config_selectorIjN6thrust23THRUST_200600_302600_NS5tupleIffNS6_9null_typeES8_S8_S8_S8_S8_S8_S8_EEEEZZNS1_27merge_sort_block_merge_implIS3_NS6_6detail15normal_iteratorINS6_10device_ptrIjEEEENSD_INSE_IS9_EEEEjNS1_19radix_merge_compareILb0ELb0EjNS0_19identity_decomposerEEEEE10hipError_tT0_T1_T2_jT3_P12ihipStream_tbPNSt15iterator_traitsISN_E10value_typeEPNST_ISO_E10value_typeEPSP_NS1_7vsmem_tEENKUlT_SN_SO_SP_E_clIPjSG_PS9_SI_EESM_S12_SN_SO_SP_EUlS12_E1_NS1_11comp_targetILNS1_3genE2ELNS1_11target_archE906ELNS1_3gpuE6ELNS1_3repE0EEENS1_36merge_oddeven_config_static_selectorELNS0_4arch9wavefront6targetE0EEEvSO_.kd
    .uniform_work_group_size: 1
    .uses_dynamic_stack: false
    .vgpr_count:     0
    .vgpr_spill_count: 0
    .wavefront_size: 32
    .workgroup_processor_mode: 1
  - .args:
      - .offset:         0
        .size:           48
        .value_kind:     by_value
    .group_segment_fixed_size: 0
    .kernarg_segment_align: 8
    .kernarg_segment_size: 48
    .language:       OpenCL C
    .language_version:
      - 2
      - 0
    .max_flat_workgroup_size: 256
    .name:           _ZN7rocprim17ROCPRIM_400000_NS6detail17trampoline_kernelINS0_14default_configENS1_38merge_sort_block_merge_config_selectorIjN6thrust23THRUST_200600_302600_NS5tupleIffNS6_9null_typeES8_S8_S8_S8_S8_S8_S8_EEEEZZNS1_27merge_sort_block_merge_implIS3_NS6_6detail15normal_iteratorINS6_10device_ptrIjEEEENSD_INSE_IS9_EEEEjNS1_19radix_merge_compareILb0ELb0EjNS0_19identity_decomposerEEEEE10hipError_tT0_T1_T2_jT3_P12ihipStream_tbPNSt15iterator_traitsISN_E10value_typeEPNST_ISO_E10value_typeEPSP_NS1_7vsmem_tEENKUlT_SN_SO_SP_E_clIPjSG_PS9_SI_EESM_S12_SN_SO_SP_EUlS12_E1_NS1_11comp_targetILNS1_3genE9ELNS1_11target_archE1100ELNS1_3gpuE3ELNS1_3repE0EEENS1_36merge_oddeven_config_static_selectorELNS0_4arch9wavefront6targetE0EEEvSO_
    .private_segment_fixed_size: 0
    .sgpr_count:     0
    .sgpr_spill_count: 0
    .symbol:         _ZN7rocprim17ROCPRIM_400000_NS6detail17trampoline_kernelINS0_14default_configENS1_38merge_sort_block_merge_config_selectorIjN6thrust23THRUST_200600_302600_NS5tupleIffNS6_9null_typeES8_S8_S8_S8_S8_S8_S8_EEEEZZNS1_27merge_sort_block_merge_implIS3_NS6_6detail15normal_iteratorINS6_10device_ptrIjEEEENSD_INSE_IS9_EEEEjNS1_19radix_merge_compareILb0ELb0EjNS0_19identity_decomposerEEEEE10hipError_tT0_T1_T2_jT3_P12ihipStream_tbPNSt15iterator_traitsISN_E10value_typeEPNST_ISO_E10value_typeEPSP_NS1_7vsmem_tEENKUlT_SN_SO_SP_E_clIPjSG_PS9_SI_EESM_S12_SN_SO_SP_EUlS12_E1_NS1_11comp_targetILNS1_3genE9ELNS1_11target_archE1100ELNS1_3gpuE3ELNS1_3repE0EEENS1_36merge_oddeven_config_static_selectorELNS0_4arch9wavefront6targetE0EEEvSO_.kd
    .uniform_work_group_size: 1
    .uses_dynamic_stack: false
    .vgpr_count:     0
    .vgpr_spill_count: 0
    .wavefront_size: 32
    .workgroup_processor_mode: 1
  - .args:
      - .offset:         0
        .size:           48
        .value_kind:     by_value
    .group_segment_fixed_size: 0
    .kernarg_segment_align: 8
    .kernarg_segment_size: 48
    .language:       OpenCL C
    .language_version:
      - 2
      - 0
    .max_flat_workgroup_size: 256
    .name:           _ZN7rocprim17ROCPRIM_400000_NS6detail17trampoline_kernelINS0_14default_configENS1_38merge_sort_block_merge_config_selectorIjN6thrust23THRUST_200600_302600_NS5tupleIffNS6_9null_typeES8_S8_S8_S8_S8_S8_S8_EEEEZZNS1_27merge_sort_block_merge_implIS3_NS6_6detail15normal_iteratorINS6_10device_ptrIjEEEENSD_INSE_IS9_EEEEjNS1_19radix_merge_compareILb0ELb0EjNS0_19identity_decomposerEEEEE10hipError_tT0_T1_T2_jT3_P12ihipStream_tbPNSt15iterator_traitsISN_E10value_typeEPNST_ISO_E10value_typeEPSP_NS1_7vsmem_tEENKUlT_SN_SO_SP_E_clIPjSG_PS9_SI_EESM_S12_SN_SO_SP_EUlS12_E1_NS1_11comp_targetILNS1_3genE8ELNS1_11target_archE1030ELNS1_3gpuE2ELNS1_3repE0EEENS1_36merge_oddeven_config_static_selectorELNS0_4arch9wavefront6targetE0EEEvSO_
    .private_segment_fixed_size: 0
    .sgpr_count:     24
    .sgpr_spill_count: 0
    .symbol:         _ZN7rocprim17ROCPRIM_400000_NS6detail17trampoline_kernelINS0_14default_configENS1_38merge_sort_block_merge_config_selectorIjN6thrust23THRUST_200600_302600_NS5tupleIffNS6_9null_typeES8_S8_S8_S8_S8_S8_S8_EEEEZZNS1_27merge_sort_block_merge_implIS3_NS6_6detail15normal_iteratorINS6_10device_ptrIjEEEENSD_INSE_IS9_EEEEjNS1_19radix_merge_compareILb0ELb0EjNS0_19identity_decomposerEEEEE10hipError_tT0_T1_T2_jT3_P12ihipStream_tbPNSt15iterator_traitsISN_E10value_typeEPNST_ISO_E10value_typeEPSP_NS1_7vsmem_tEENKUlT_SN_SO_SP_E_clIPjSG_PS9_SI_EESM_S12_SN_SO_SP_EUlS12_E1_NS1_11comp_targetILNS1_3genE8ELNS1_11target_archE1030ELNS1_3gpuE2ELNS1_3repE0EEENS1_36merge_oddeven_config_static_selectorELNS0_4arch9wavefront6targetE0EEEvSO_.kd
    .uniform_work_group_size: 1
    .uses_dynamic_stack: false
    .vgpr_count:     10
    .vgpr_spill_count: 0
    .wavefront_size: 32
    .workgroup_processor_mode: 1
  - .args:
      - .offset:         0
        .size:           40
        .value_kind:     by_value
    .group_segment_fixed_size: 0
    .kernarg_segment_align: 8
    .kernarg_segment_size: 40
    .language:       OpenCL C
    .language_version:
      - 2
      - 0
    .max_flat_workgroup_size: 128
    .name:           _ZN7rocprim17ROCPRIM_400000_NS6detail17trampoline_kernelINS0_14default_configENS1_38merge_sort_block_merge_config_selectorIjN6thrust23THRUST_200600_302600_NS5tupleIffNS6_9null_typeES8_S8_S8_S8_S8_S8_S8_EEEEZZNS1_27merge_sort_block_merge_implIS3_NS6_6detail15normal_iteratorINS6_10device_ptrIjEEEENSD_INSE_IS9_EEEEjNS1_19radix_merge_compareILb0ELb0EjNS0_19identity_decomposerEEEEE10hipError_tT0_T1_T2_jT3_P12ihipStream_tbPNSt15iterator_traitsISN_E10value_typeEPNST_ISO_E10value_typeEPSP_NS1_7vsmem_tEENKUlT_SN_SO_SP_E_clISG_PjSI_PS9_EESM_S12_SN_SO_SP_EUlS12_E_NS1_11comp_targetILNS1_3genE0ELNS1_11target_archE4294967295ELNS1_3gpuE0ELNS1_3repE0EEENS1_48merge_mergepath_partition_config_static_selectorELNS0_4arch9wavefront6targetE0EEEvSO_
    .private_segment_fixed_size: 0
    .sgpr_count:     0
    .sgpr_spill_count: 0
    .symbol:         _ZN7rocprim17ROCPRIM_400000_NS6detail17trampoline_kernelINS0_14default_configENS1_38merge_sort_block_merge_config_selectorIjN6thrust23THRUST_200600_302600_NS5tupleIffNS6_9null_typeES8_S8_S8_S8_S8_S8_S8_EEEEZZNS1_27merge_sort_block_merge_implIS3_NS6_6detail15normal_iteratorINS6_10device_ptrIjEEEENSD_INSE_IS9_EEEEjNS1_19radix_merge_compareILb0ELb0EjNS0_19identity_decomposerEEEEE10hipError_tT0_T1_T2_jT3_P12ihipStream_tbPNSt15iterator_traitsISN_E10value_typeEPNST_ISO_E10value_typeEPSP_NS1_7vsmem_tEENKUlT_SN_SO_SP_E_clISG_PjSI_PS9_EESM_S12_SN_SO_SP_EUlS12_E_NS1_11comp_targetILNS1_3genE0ELNS1_11target_archE4294967295ELNS1_3gpuE0ELNS1_3repE0EEENS1_48merge_mergepath_partition_config_static_selectorELNS0_4arch9wavefront6targetE0EEEvSO_.kd
    .uniform_work_group_size: 1
    .uses_dynamic_stack: false
    .vgpr_count:     0
    .vgpr_spill_count: 0
    .wavefront_size: 32
    .workgroup_processor_mode: 1
  - .args:
      - .offset:         0
        .size:           40
        .value_kind:     by_value
    .group_segment_fixed_size: 0
    .kernarg_segment_align: 8
    .kernarg_segment_size: 40
    .language:       OpenCL C
    .language_version:
      - 2
      - 0
    .max_flat_workgroup_size: 128
    .name:           _ZN7rocprim17ROCPRIM_400000_NS6detail17trampoline_kernelINS0_14default_configENS1_38merge_sort_block_merge_config_selectorIjN6thrust23THRUST_200600_302600_NS5tupleIffNS6_9null_typeES8_S8_S8_S8_S8_S8_S8_EEEEZZNS1_27merge_sort_block_merge_implIS3_NS6_6detail15normal_iteratorINS6_10device_ptrIjEEEENSD_INSE_IS9_EEEEjNS1_19radix_merge_compareILb0ELb0EjNS0_19identity_decomposerEEEEE10hipError_tT0_T1_T2_jT3_P12ihipStream_tbPNSt15iterator_traitsISN_E10value_typeEPNST_ISO_E10value_typeEPSP_NS1_7vsmem_tEENKUlT_SN_SO_SP_E_clISG_PjSI_PS9_EESM_S12_SN_SO_SP_EUlS12_E_NS1_11comp_targetILNS1_3genE10ELNS1_11target_archE1201ELNS1_3gpuE5ELNS1_3repE0EEENS1_48merge_mergepath_partition_config_static_selectorELNS0_4arch9wavefront6targetE0EEEvSO_
    .private_segment_fixed_size: 0
    .sgpr_count:     0
    .sgpr_spill_count: 0
    .symbol:         _ZN7rocprim17ROCPRIM_400000_NS6detail17trampoline_kernelINS0_14default_configENS1_38merge_sort_block_merge_config_selectorIjN6thrust23THRUST_200600_302600_NS5tupleIffNS6_9null_typeES8_S8_S8_S8_S8_S8_S8_EEEEZZNS1_27merge_sort_block_merge_implIS3_NS6_6detail15normal_iteratorINS6_10device_ptrIjEEEENSD_INSE_IS9_EEEEjNS1_19radix_merge_compareILb0ELb0EjNS0_19identity_decomposerEEEEE10hipError_tT0_T1_T2_jT3_P12ihipStream_tbPNSt15iterator_traitsISN_E10value_typeEPNST_ISO_E10value_typeEPSP_NS1_7vsmem_tEENKUlT_SN_SO_SP_E_clISG_PjSI_PS9_EESM_S12_SN_SO_SP_EUlS12_E_NS1_11comp_targetILNS1_3genE10ELNS1_11target_archE1201ELNS1_3gpuE5ELNS1_3repE0EEENS1_48merge_mergepath_partition_config_static_selectorELNS0_4arch9wavefront6targetE0EEEvSO_.kd
    .uniform_work_group_size: 1
    .uses_dynamic_stack: false
    .vgpr_count:     0
    .vgpr_spill_count: 0
    .wavefront_size: 32
    .workgroup_processor_mode: 1
  - .args:
      - .offset:         0
        .size:           40
        .value_kind:     by_value
    .group_segment_fixed_size: 0
    .kernarg_segment_align: 8
    .kernarg_segment_size: 40
    .language:       OpenCL C
    .language_version:
      - 2
      - 0
    .max_flat_workgroup_size: 128
    .name:           _ZN7rocprim17ROCPRIM_400000_NS6detail17trampoline_kernelINS0_14default_configENS1_38merge_sort_block_merge_config_selectorIjN6thrust23THRUST_200600_302600_NS5tupleIffNS6_9null_typeES8_S8_S8_S8_S8_S8_S8_EEEEZZNS1_27merge_sort_block_merge_implIS3_NS6_6detail15normal_iteratorINS6_10device_ptrIjEEEENSD_INSE_IS9_EEEEjNS1_19radix_merge_compareILb0ELb0EjNS0_19identity_decomposerEEEEE10hipError_tT0_T1_T2_jT3_P12ihipStream_tbPNSt15iterator_traitsISN_E10value_typeEPNST_ISO_E10value_typeEPSP_NS1_7vsmem_tEENKUlT_SN_SO_SP_E_clISG_PjSI_PS9_EESM_S12_SN_SO_SP_EUlS12_E_NS1_11comp_targetILNS1_3genE5ELNS1_11target_archE942ELNS1_3gpuE9ELNS1_3repE0EEENS1_48merge_mergepath_partition_config_static_selectorELNS0_4arch9wavefront6targetE0EEEvSO_
    .private_segment_fixed_size: 0
    .sgpr_count:     0
    .sgpr_spill_count: 0
    .symbol:         _ZN7rocprim17ROCPRIM_400000_NS6detail17trampoline_kernelINS0_14default_configENS1_38merge_sort_block_merge_config_selectorIjN6thrust23THRUST_200600_302600_NS5tupleIffNS6_9null_typeES8_S8_S8_S8_S8_S8_S8_EEEEZZNS1_27merge_sort_block_merge_implIS3_NS6_6detail15normal_iteratorINS6_10device_ptrIjEEEENSD_INSE_IS9_EEEEjNS1_19radix_merge_compareILb0ELb0EjNS0_19identity_decomposerEEEEE10hipError_tT0_T1_T2_jT3_P12ihipStream_tbPNSt15iterator_traitsISN_E10value_typeEPNST_ISO_E10value_typeEPSP_NS1_7vsmem_tEENKUlT_SN_SO_SP_E_clISG_PjSI_PS9_EESM_S12_SN_SO_SP_EUlS12_E_NS1_11comp_targetILNS1_3genE5ELNS1_11target_archE942ELNS1_3gpuE9ELNS1_3repE0EEENS1_48merge_mergepath_partition_config_static_selectorELNS0_4arch9wavefront6targetE0EEEvSO_.kd
    .uniform_work_group_size: 1
    .uses_dynamic_stack: false
    .vgpr_count:     0
    .vgpr_spill_count: 0
    .wavefront_size: 32
    .workgroup_processor_mode: 1
  - .args:
      - .offset:         0
        .size:           40
        .value_kind:     by_value
    .group_segment_fixed_size: 0
    .kernarg_segment_align: 8
    .kernarg_segment_size: 40
    .language:       OpenCL C
    .language_version:
      - 2
      - 0
    .max_flat_workgroup_size: 128
    .name:           _ZN7rocprim17ROCPRIM_400000_NS6detail17trampoline_kernelINS0_14default_configENS1_38merge_sort_block_merge_config_selectorIjN6thrust23THRUST_200600_302600_NS5tupleIffNS6_9null_typeES8_S8_S8_S8_S8_S8_S8_EEEEZZNS1_27merge_sort_block_merge_implIS3_NS6_6detail15normal_iteratorINS6_10device_ptrIjEEEENSD_INSE_IS9_EEEEjNS1_19radix_merge_compareILb0ELb0EjNS0_19identity_decomposerEEEEE10hipError_tT0_T1_T2_jT3_P12ihipStream_tbPNSt15iterator_traitsISN_E10value_typeEPNST_ISO_E10value_typeEPSP_NS1_7vsmem_tEENKUlT_SN_SO_SP_E_clISG_PjSI_PS9_EESM_S12_SN_SO_SP_EUlS12_E_NS1_11comp_targetILNS1_3genE4ELNS1_11target_archE910ELNS1_3gpuE8ELNS1_3repE0EEENS1_48merge_mergepath_partition_config_static_selectorELNS0_4arch9wavefront6targetE0EEEvSO_
    .private_segment_fixed_size: 0
    .sgpr_count:     0
    .sgpr_spill_count: 0
    .symbol:         _ZN7rocprim17ROCPRIM_400000_NS6detail17trampoline_kernelINS0_14default_configENS1_38merge_sort_block_merge_config_selectorIjN6thrust23THRUST_200600_302600_NS5tupleIffNS6_9null_typeES8_S8_S8_S8_S8_S8_S8_EEEEZZNS1_27merge_sort_block_merge_implIS3_NS6_6detail15normal_iteratorINS6_10device_ptrIjEEEENSD_INSE_IS9_EEEEjNS1_19radix_merge_compareILb0ELb0EjNS0_19identity_decomposerEEEEE10hipError_tT0_T1_T2_jT3_P12ihipStream_tbPNSt15iterator_traitsISN_E10value_typeEPNST_ISO_E10value_typeEPSP_NS1_7vsmem_tEENKUlT_SN_SO_SP_E_clISG_PjSI_PS9_EESM_S12_SN_SO_SP_EUlS12_E_NS1_11comp_targetILNS1_3genE4ELNS1_11target_archE910ELNS1_3gpuE8ELNS1_3repE0EEENS1_48merge_mergepath_partition_config_static_selectorELNS0_4arch9wavefront6targetE0EEEvSO_.kd
    .uniform_work_group_size: 1
    .uses_dynamic_stack: false
    .vgpr_count:     0
    .vgpr_spill_count: 0
    .wavefront_size: 32
    .workgroup_processor_mode: 1
  - .args:
      - .offset:         0
        .size:           40
        .value_kind:     by_value
    .group_segment_fixed_size: 0
    .kernarg_segment_align: 8
    .kernarg_segment_size: 40
    .language:       OpenCL C
    .language_version:
      - 2
      - 0
    .max_flat_workgroup_size: 128
    .name:           _ZN7rocprim17ROCPRIM_400000_NS6detail17trampoline_kernelINS0_14default_configENS1_38merge_sort_block_merge_config_selectorIjN6thrust23THRUST_200600_302600_NS5tupleIffNS6_9null_typeES8_S8_S8_S8_S8_S8_S8_EEEEZZNS1_27merge_sort_block_merge_implIS3_NS6_6detail15normal_iteratorINS6_10device_ptrIjEEEENSD_INSE_IS9_EEEEjNS1_19radix_merge_compareILb0ELb0EjNS0_19identity_decomposerEEEEE10hipError_tT0_T1_T2_jT3_P12ihipStream_tbPNSt15iterator_traitsISN_E10value_typeEPNST_ISO_E10value_typeEPSP_NS1_7vsmem_tEENKUlT_SN_SO_SP_E_clISG_PjSI_PS9_EESM_S12_SN_SO_SP_EUlS12_E_NS1_11comp_targetILNS1_3genE3ELNS1_11target_archE908ELNS1_3gpuE7ELNS1_3repE0EEENS1_48merge_mergepath_partition_config_static_selectorELNS0_4arch9wavefront6targetE0EEEvSO_
    .private_segment_fixed_size: 0
    .sgpr_count:     0
    .sgpr_spill_count: 0
    .symbol:         _ZN7rocprim17ROCPRIM_400000_NS6detail17trampoline_kernelINS0_14default_configENS1_38merge_sort_block_merge_config_selectorIjN6thrust23THRUST_200600_302600_NS5tupleIffNS6_9null_typeES8_S8_S8_S8_S8_S8_S8_EEEEZZNS1_27merge_sort_block_merge_implIS3_NS6_6detail15normal_iteratorINS6_10device_ptrIjEEEENSD_INSE_IS9_EEEEjNS1_19radix_merge_compareILb0ELb0EjNS0_19identity_decomposerEEEEE10hipError_tT0_T1_T2_jT3_P12ihipStream_tbPNSt15iterator_traitsISN_E10value_typeEPNST_ISO_E10value_typeEPSP_NS1_7vsmem_tEENKUlT_SN_SO_SP_E_clISG_PjSI_PS9_EESM_S12_SN_SO_SP_EUlS12_E_NS1_11comp_targetILNS1_3genE3ELNS1_11target_archE908ELNS1_3gpuE7ELNS1_3repE0EEENS1_48merge_mergepath_partition_config_static_selectorELNS0_4arch9wavefront6targetE0EEEvSO_.kd
    .uniform_work_group_size: 1
    .uses_dynamic_stack: false
    .vgpr_count:     0
    .vgpr_spill_count: 0
    .wavefront_size: 32
    .workgroup_processor_mode: 1
  - .args:
      - .offset:         0
        .size:           40
        .value_kind:     by_value
    .group_segment_fixed_size: 0
    .kernarg_segment_align: 8
    .kernarg_segment_size: 40
    .language:       OpenCL C
    .language_version:
      - 2
      - 0
    .max_flat_workgroup_size: 128
    .name:           _ZN7rocprim17ROCPRIM_400000_NS6detail17trampoline_kernelINS0_14default_configENS1_38merge_sort_block_merge_config_selectorIjN6thrust23THRUST_200600_302600_NS5tupleIffNS6_9null_typeES8_S8_S8_S8_S8_S8_S8_EEEEZZNS1_27merge_sort_block_merge_implIS3_NS6_6detail15normal_iteratorINS6_10device_ptrIjEEEENSD_INSE_IS9_EEEEjNS1_19radix_merge_compareILb0ELb0EjNS0_19identity_decomposerEEEEE10hipError_tT0_T1_T2_jT3_P12ihipStream_tbPNSt15iterator_traitsISN_E10value_typeEPNST_ISO_E10value_typeEPSP_NS1_7vsmem_tEENKUlT_SN_SO_SP_E_clISG_PjSI_PS9_EESM_S12_SN_SO_SP_EUlS12_E_NS1_11comp_targetILNS1_3genE2ELNS1_11target_archE906ELNS1_3gpuE6ELNS1_3repE0EEENS1_48merge_mergepath_partition_config_static_selectorELNS0_4arch9wavefront6targetE0EEEvSO_
    .private_segment_fixed_size: 0
    .sgpr_count:     0
    .sgpr_spill_count: 0
    .symbol:         _ZN7rocprim17ROCPRIM_400000_NS6detail17trampoline_kernelINS0_14default_configENS1_38merge_sort_block_merge_config_selectorIjN6thrust23THRUST_200600_302600_NS5tupleIffNS6_9null_typeES8_S8_S8_S8_S8_S8_S8_EEEEZZNS1_27merge_sort_block_merge_implIS3_NS6_6detail15normal_iteratorINS6_10device_ptrIjEEEENSD_INSE_IS9_EEEEjNS1_19radix_merge_compareILb0ELb0EjNS0_19identity_decomposerEEEEE10hipError_tT0_T1_T2_jT3_P12ihipStream_tbPNSt15iterator_traitsISN_E10value_typeEPNST_ISO_E10value_typeEPSP_NS1_7vsmem_tEENKUlT_SN_SO_SP_E_clISG_PjSI_PS9_EESM_S12_SN_SO_SP_EUlS12_E_NS1_11comp_targetILNS1_3genE2ELNS1_11target_archE906ELNS1_3gpuE6ELNS1_3repE0EEENS1_48merge_mergepath_partition_config_static_selectorELNS0_4arch9wavefront6targetE0EEEvSO_.kd
    .uniform_work_group_size: 1
    .uses_dynamic_stack: false
    .vgpr_count:     0
    .vgpr_spill_count: 0
    .wavefront_size: 32
    .workgroup_processor_mode: 1
  - .args:
      - .offset:         0
        .size:           40
        .value_kind:     by_value
    .group_segment_fixed_size: 0
    .kernarg_segment_align: 8
    .kernarg_segment_size: 40
    .language:       OpenCL C
    .language_version:
      - 2
      - 0
    .max_flat_workgroup_size: 128
    .name:           _ZN7rocprim17ROCPRIM_400000_NS6detail17trampoline_kernelINS0_14default_configENS1_38merge_sort_block_merge_config_selectorIjN6thrust23THRUST_200600_302600_NS5tupleIffNS6_9null_typeES8_S8_S8_S8_S8_S8_S8_EEEEZZNS1_27merge_sort_block_merge_implIS3_NS6_6detail15normal_iteratorINS6_10device_ptrIjEEEENSD_INSE_IS9_EEEEjNS1_19radix_merge_compareILb0ELb0EjNS0_19identity_decomposerEEEEE10hipError_tT0_T1_T2_jT3_P12ihipStream_tbPNSt15iterator_traitsISN_E10value_typeEPNST_ISO_E10value_typeEPSP_NS1_7vsmem_tEENKUlT_SN_SO_SP_E_clISG_PjSI_PS9_EESM_S12_SN_SO_SP_EUlS12_E_NS1_11comp_targetILNS1_3genE9ELNS1_11target_archE1100ELNS1_3gpuE3ELNS1_3repE0EEENS1_48merge_mergepath_partition_config_static_selectorELNS0_4arch9wavefront6targetE0EEEvSO_
    .private_segment_fixed_size: 0
    .sgpr_count:     0
    .sgpr_spill_count: 0
    .symbol:         _ZN7rocprim17ROCPRIM_400000_NS6detail17trampoline_kernelINS0_14default_configENS1_38merge_sort_block_merge_config_selectorIjN6thrust23THRUST_200600_302600_NS5tupleIffNS6_9null_typeES8_S8_S8_S8_S8_S8_S8_EEEEZZNS1_27merge_sort_block_merge_implIS3_NS6_6detail15normal_iteratorINS6_10device_ptrIjEEEENSD_INSE_IS9_EEEEjNS1_19radix_merge_compareILb0ELb0EjNS0_19identity_decomposerEEEEE10hipError_tT0_T1_T2_jT3_P12ihipStream_tbPNSt15iterator_traitsISN_E10value_typeEPNST_ISO_E10value_typeEPSP_NS1_7vsmem_tEENKUlT_SN_SO_SP_E_clISG_PjSI_PS9_EESM_S12_SN_SO_SP_EUlS12_E_NS1_11comp_targetILNS1_3genE9ELNS1_11target_archE1100ELNS1_3gpuE3ELNS1_3repE0EEENS1_48merge_mergepath_partition_config_static_selectorELNS0_4arch9wavefront6targetE0EEEvSO_.kd
    .uniform_work_group_size: 1
    .uses_dynamic_stack: false
    .vgpr_count:     0
    .vgpr_spill_count: 0
    .wavefront_size: 32
    .workgroup_processor_mode: 1
  - .args:
      - .offset:         0
        .size:           40
        .value_kind:     by_value
    .group_segment_fixed_size: 0
    .kernarg_segment_align: 8
    .kernarg_segment_size: 40
    .language:       OpenCL C
    .language_version:
      - 2
      - 0
    .max_flat_workgroup_size: 128
    .name:           _ZN7rocprim17ROCPRIM_400000_NS6detail17trampoline_kernelINS0_14default_configENS1_38merge_sort_block_merge_config_selectorIjN6thrust23THRUST_200600_302600_NS5tupleIffNS6_9null_typeES8_S8_S8_S8_S8_S8_S8_EEEEZZNS1_27merge_sort_block_merge_implIS3_NS6_6detail15normal_iteratorINS6_10device_ptrIjEEEENSD_INSE_IS9_EEEEjNS1_19radix_merge_compareILb0ELb0EjNS0_19identity_decomposerEEEEE10hipError_tT0_T1_T2_jT3_P12ihipStream_tbPNSt15iterator_traitsISN_E10value_typeEPNST_ISO_E10value_typeEPSP_NS1_7vsmem_tEENKUlT_SN_SO_SP_E_clISG_PjSI_PS9_EESM_S12_SN_SO_SP_EUlS12_E_NS1_11comp_targetILNS1_3genE8ELNS1_11target_archE1030ELNS1_3gpuE2ELNS1_3repE0EEENS1_48merge_mergepath_partition_config_static_selectorELNS0_4arch9wavefront6targetE0EEEvSO_
    .private_segment_fixed_size: 0
    .sgpr_count:     9
    .sgpr_spill_count: 0
    .symbol:         _ZN7rocprim17ROCPRIM_400000_NS6detail17trampoline_kernelINS0_14default_configENS1_38merge_sort_block_merge_config_selectorIjN6thrust23THRUST_200600_302600_NS5tupleIffNS6_9null_typeES8_S8_S8_S8_S8_S8_S8_EEEEZZNS1_27merge_sort_block_merge_implIS3_NS6_6detail15normal_iteratorINS6_10device_ptrIjEEEENSD_INSE_IS9_EEEEjNS1_19radix_merge_compareILb0ELb0EjNS0_19identity_decomposerEEEEE10hipError_tT0_T1_T2_jT3_P12ihipStream_tbPNSt15iterator_traitsISN_E10value_typeEPNST_ISO_E10value_typeEPSP_NS1_7vsmem_tEENKUlT_SN_SO_SP_E_clISG_PjSI_PS9_EESM_S12_SN_SO_SP_EUlS12_E_NS1_11comp_targetILNS1_3genE8ELNS1_11target_archE1030ELNS1_3gpuE2ELNS1_3repE0EEENS1_48merge_mergepath_partition_config_static_selectorELNS0_4arch9wavefront6targetE0EEEvSO_.kd
    .uniform_work_group_size: 1
    .uses_dynamic_stack: false
    .vgpr_count:     15
    .vgpr_spill_count: 0
    .wavefront_size: 32
    .workgroup_processor_mode: 1
  - .args:
      - .offset:         0
        .size:           64
        .value_kind:     by_value
    .group_segment_fixed_size: 0
    .kernarg_segment_align: 8
    .kernarg_segment_size: 64
    .language:       OpenCL C
    .language_version:
      - 2
      - 0
    .max_flat_workgroup_size: 512
    .name:           _ZN7rocprim17ROCPRIM_400000_NS6detail17trampoline_kernelINS0_14default_configENS1_38merge_sort_block_merge_config_selectorIjN6thrust23THRUST_200600_302600_NS5tupleIffNS6_9null_typeES8_S8_S8_S8_S8_S8_S8_EEEEZZNS1_27merge_sort_block_merge_implIS3_NS6_6detail15normal_iteratorINS6_10device_ptrIjEEEENSD_INSE_IS9_EEEEjNS1_19radix_merge_compareILb0ELb0EjNS0_19identity_decomposerEEEEE10hipError_tT0_T1_T2_jT3_P12ihipStream_tbPNSt15iterator_traitsISN_E10value_typeEPNST_ISO_E10value_typeEPSP_NS1_7vsmem_tEENKUlT_SN_SO_SP_E_clISG_PjSI_PS9_EESM_S12_SN_SO_SP_EUlS12_E0_NS1_11comp_targetILNS1_3genE0ELNS1_11target_archE4294967295ELNS1_3gpuE0ELNS1_3repE0EEENS1_38merge_mergepath_config_static_selectorELNS0_4arch9wavefront6targetE0EEEvSO_
    .private_segment_fixed_size: 0
    .sgpr_count:     0
    .sgpr_spill_count: 0
    .symbol:         _ZN7rocprim17ROCPRIM_400000_NS6detail17trampoline_kernelINS0_14default_configENS1_38merge_sort_block_merge_config_selectorIjN6thrust23THRUST_200600_302600_NS5tupleIffNS6_9null_typeES8_S8_S8_S8_S8_S8_S8_EEEEZZNS1_27merge_sort_block_merge_implIS3_NS6_6detail15normal_iteratorINS6_10device_ptrIjEEEENSD_INSE_IS9_EEEEjNS1_19radix_merge_compareILb0ELb0EjNS0_19identity_decomposerEEEEE10hipError_tT0_T1_T2_jT3_P12ihipStream_tbPNSt15iterator_traitsISN_E10value_typeEPNST_ISO_E10value_typeEPSP_NS1_7vsmem_tEENKUlT_SN_SO_SP_E_clISG_PjSI_PS9_EESM_S12_SN_SO_SP_EUlS12_E0_NS1_11comp_targetILNS1_3genE0ELNS1_11target_archE4294967295ELNS1_3gpuE0ELNS1_3repE0EEENS1_38merge_mergepath_config_static_selectorELNS0_4arch9wavefront6targetE0EEEvSO_.kd
    .uniform_work_group_size: 1
    .uses_dynamic_stack: false
    .vgpr_count:     0
    .vgpr_spill_count: 0
    .wavefront_size: 32
    .workgroup_processor_mode: 1
  - .args:
      - .offset:         0
        .size:           64
        .value_kind:     by_value
    .group_segment_fixed_size: 0
    .kernarg_segment_align: 8
    .kernarg_segment_size: 64
    .language:       OpenCL C
    .language_version:
      - 2
      - 0
    .max_flat_workgroup_size: 512
    .name:           _ZN7rocprim17ROCPRIM_400000_NS6detail17trampoline_kernelINS0_14default_configENS1_38merge_sort_block_merge_config_selectorIjN6thrust23THRUST_200600_302600_NS5tupleIffNS6_9null_typeES8_S8_S8_S8_S8_S8_S8_EEEEZZNS1_27merge_sort_block_merge_implIS3_NS6_6detail15normal_iteratorINS6_10device_ptrIjEEEENSD_INSE_IS9_EEEEjNS1_19radix_merge_compareILb0ELb0EjNS0_19identity_decomposerEEEEE10hipError_tT0_T1_T2_jT3_P12ihipStream_tbPNSt15iterator_traitsISN_E10value_typeEPNST_ISO_E10value_typeEPSP_NS1_7vsmem_tEENKUlT_SN_SO_SP_E_clISG_PjSI_PS9_EESM_S12_SN_SO_SP_EUlS12_E0_NS1_11comp_targetILNS1_3genE10ELNS1_11target_archE1201ELNS1_3gpuE5ELNS1_3repE0EEENS1_38merge_mergepath_config_static_selectorELNS0_4arch9wavefront6targetE0EEEvSO_
    .private_segment_fixed_size: 0
    .sgpr_count:     0
    .sgpr_spill_count: 0
    .symbol:         _ZN7rocprim17ROCPRIM_400000_NS6detail17trampoline_kernelINS0_14default_configENS1_38merge_sort_block_merge_config_selectorIjN6thrust23THRUST_200600_302600_NS5tupleIffNS6_9null_typeES8_S8_S8_S8_S8_S8_S8_EEEEZZNS1_27merge_sort_block_merge_implIS3_NS6_6detail15normal_iteratorINS6_10device_ptrIjEEEENSD_INSE_IS9_EEEEjNS1_19radix_merge_compareILb0ELb0EjNS0_19identity_decomposerEEEEE10hipError_tT0_T1_T2_jT3_P12ihipStream_tbPNSt15iterator_traitsISN_E10value_typeEPNST_ISO_E10value_typeEPSP_NS1_7vsmem_tEENKUlT_SN_SO_SP_E_clISG_PjSI_PS9_EESM_S12_SN_SO_SP_EUlS12_E0_NS1_11comp_targetILNS1_3genE10ELNS1_11target_archE1201ELNS1_3gpuE5ELNS1_3repE0EEENS1_38merge_mergepath_config_static_selectorELNS0_4arch9wavefront6targetE0EEEvSO_.kd
    .uniform_work_group_size: 1
    .uses_dynamic_stack: false
    .vgpr_count:     0
    .vgpr_spill_count: 0
    .wavefront_size: 32
    .workgroup_processor_mode: 1
  - .args:
      - .offset:         0
        .size:           64
        .value_kind:     by_value
    .group_segment_fixed_size: 0
    .kernarg_segment_align: 8
    .kernarg_segment_size: 64
    .language:       OpenCL C
    .language_version:
      - 2
      - 0
    .max_flat_workgroup_size: 256
    .name:           _ZN7rocprim17ROCPRIM_400000_NS6detail17trampoline_kernelINS0_14default_configENS1_38merge_sort_block_merge_config_selectorIjN6thrust23THRUST_200600_302600_NS5tupleIffNS6_9null_typeES8_S8_S8_S8_S8_S8_S8_EEEEZZNS1_27merge_sort_block_merge_implIS3_NS6_6detail15normal_iteratorINS6_10device_ptrIjEEEENSD_INSE_IS9_EEEEjNS1_19radix_merge_compareILb0ELb0EjNS0_19identity_decomposerEEEEE10hipError_tT0_T1_T2_jT3_P12ihipStream_tbPNSt15iterator_traitsISN_E10value_typeEPNST_ISO_E10value_typeEPSP_NS1_7vsmem_tEENKUlT_SN_SO_SP_E_clISG_PjSI_PS9_EESM_S12_SN_SO_SP_EUlS12_E0_NS1_11comp_targetILNS1_3genE5ELNS1_11target_archE942ELNS1_3gpuE9ELNS1_3repE0EEENS1_38merge_mergepath_config_static_selectorELNS0_4arch9wavefront6targetE0EEEvSO_
    .private_segment_fixed_size: 0
    .sgpr_count:     0
    .sgpr_spill_count: 0
    .symbol:         _ZN7rocprim17ROCPRIM_400000_NS6detail17trampoline_kernelINS0_14default_configENS1_38merge_sort_block_merge_config_selectorIjN6thrust23THRUST_200600_302600_NS5tupleIffNS6_9null_typeES8_S8_S8_S8_S8_S8_S8_EEEEZZNS1_27merge_sort_block_merge_implIS3_NS6_6detail15normal_iteratorINS6_10device_ptrIjEEEENSD_INSE_IS9_EEEEjNS1_19radix_merge_compareILb0ELb0EjNS0_19identity_decomposerEEEEE10hipError_tT0_T1_T2_jT3_P12ihipStream_tbPNSt15iterator_traitsISN_E10value_typeEPNST_ISO_E10value_typeEPSP_NS1_7vsmem_tEENKUlT_SN_SO_SP_E_clISG_PjSI_PS9_EESM_S12_SN_SO_SP_EUlS12_E0_NS1_11comp_targetILNS1_3genE5ELNS1_11target_archE942ELNS1_3gpuE9ELNS1_3repE0EEENS1_38merge_mergepath_config_static_selectorELNS0_4arch9wavefront6targetE0EEEvSO_.kd
    .uniform_work_group_size: 1
    .uses_dynamic_stack: false
    .vgpr_count:     0
    .vgpr_spill_count: 0
    .wavefront_size: 32
    .workgroup_processor_mode: 1
  - .args:
      - .offset:         0
        .size:           64
        .value_kind:     by_value
    .group_segment_fixed_size: 0
    .kernarg_segment_align: 8
    .kernarg_segment_size: 64
    .language:       OpenCL C
    .language_version:
      - 2
      - 0
    .max_flat_workgroup_size: 256
    .name:           _ZN7rocprim17ROCPRIM_400000_NS6detail17trampoline_kernelINS0_14default_configENS1_38merge_sort_block_merge_config_selectorIjN6thrust23THRUST_200600_302600_NS5tupleIffNS6_9null_typeES8_S8_S8_S8_S8_S8_S8_EEEEZZNS1_27merge_sort_block_merge_implIS3_NS6_6detail15normal_iteratorINS6_10device_ptrIjEEEENSD_INSE_IS9_EEEEjNS1_19radix_merge_compareILb0ELb0EjNS0_19identity_decomposerEEEEE10hipError_tT0_T1_T2_jT3_P12ihipStream_tbPNSt15iterator_traitsISN_E10value_typeEPNST_ISO_E10value_typeEPSP_NS1_7vsmem_tEENKUlT_SN_SO_SP_E_clISG_PjSI_PS9_EESM_S12_SN_SO_SP_EUlS12_E0_NS1_11comp_targetILNS1_3genE4ELNS1_11target_archE910ELNS1_3gpuE8ELNS1_3repE0EEENS1_38merge_mergepath_config_static_selectorELNS0_4arch9wavefront6targetE0EEEvSO_
    .private_segment_fixed_size: 0
    .sgpr_count:     0
    .sgpr_spill_count: 0
    .symbol:         _ZN7rocprim17ROCPRIM_400000_NS6detail17trampoline_kernelINS0_14default_configENS1_38merge_sort_block_merge_config_selectorIjN6thrust23THRUST_200600_302600_NS5tupleIffNS6_9null_typeES8_S8_S8_S8_S8_S8_S8_EEEEZZNS1_27merge_sort_block_merge_implIS3_NS6_6detail15normal_iteratorINS6_10device_ptrIjEEEENSD_INSE_IS9_EEEEjNS1_19radix_merge_compareILb0ELb0EjNS0_19identity_decomposerEEEEE10hipError_tT0_T1_T2_jT3_P12ihipStream_tbPNSt15iterator_traitsISN_E10value_typeEPNST_ISO_E10value_typeEPSP_NS1_7vsmem_tEENKUlT_SN_SO_SP_E_clISG_PjSI_PS9_EESM_S12_SN_SO_SP_EUlS12_E0_NS1_11comp_targetILNS1_3genE4ELNS1_11target_archE910ELNS1_3gpuE8ELNS1_3repE0EEENS1_38merge_mergepath_config_static_selectorELNS0_4arch9wavefront6targetE0EEEvSO_.kd
    .uniform_work_group_size: 1
    .uses_dynamic_stack: false
    .vgpr_count:     0
    .vgpr_spill_count: 0
    .wavefront_size: 32
    .workgroup_processor_mode: 1
  - .args:
      - .offset:         0
        .size:           64
        .value_kind:     by_value
    .group_segment_fixed_size: 0
    .kernarg_segment_align: 8
    .kernarg_segment_size: 64
    .language:       OpenCL C
    .language_version:
      - 2
      - 0
    .max_flat_workgroup_size: 512
    .name:           _ZN7rocprim17ROCPRIM_400000_NS6detail17trampoline_kernelINS0_14default_configENS1_38merge_sort_block_merge_config_selectorIjN6thrust23THRUST_200600_302600_NS5tupleIffNS6_9null_typeES8_S8_S8_S8_S8_S8_S8_EEEEZZNS1_27merge_sort_block_merge_implIS3_NS6_6detail15normal_iteratorINS6_10device_ptrIjEEEENSD_INSE_IS9_EEEEjNS1_19radix_merge_compareILb0ELb0EjNS0_19identity_decomposerEEEEE10hipError_tT0_T1_T2_jT3_P12ihipStream_tbPNSt15iterator_traitsISN_E10value_typeEPNST_ISO_E10value_typeEPSP_NS1_7vsmem_tEENKUlT_SN_SO_SP_E_clISG_PjSI_PS9_EESM_S12_SN_SO_SP_EUlS12_E0_NS1_11comp_targetILNS1_3genE3ELNS1_11target_archE908ELNS1_3gpuE7ELNS1_3repE0EEENS1_38merge_mergepath_config_static_selectorELNS0_4arch9wavefront6targetE0EEEvSO_
    .private_segment_fixed_size: 0
    .sgpr_count:     0
    .sgpr_spill_count: 0
    .symbol:         _ZN7rocprim17ROCPRIM_400000_NS6detail17trampoline_kernelINS0_14default_configENS1_38merge_sort_block_merge_config_selectorIjN6thrust23THRUST_200600_302600_NS5tupleIffNS6_9null_typeES8_S8_S8_S8_S8_S8_S8_EEEEZZNS1_27merge_sort_block_merge_implIS3_NS6_6detail15normal_iteratorINS6_10device_ptrIjEEEENSD_INSE_IS9_EEEEjNS1_19radix_merge_compareILb0ELb0EjNS0_19identity_decomposerEEEEE10hipError_tT0_T1_T2_jT3_P12ihipStream_tbPNSt15iterator_traitsISN_E10value_typeEPNST_ISO_E10value_typeEPSP_NS1_7vsmem_tEENKUlT_SN_SO_SP_E_clISG_PjSI_PS9_EESM_S12_SN_SO_SP_EUlS12_E0_NS1_11comp_targetILNS1_3genE3ELNS1_11target_archE908ELNS1_3gpuE7ELNS1_3repE0EEENS1_38merge_mergepath_config_static_selectorELNS0_4arch9wavefront6targetE0EEEvSO_.kd
    .uniform_work_group_size: 1
    .uses_dynamic_stack: false
    .vgpr_count:     0
    .vgpr_spill_count: 0
    .wavefront_size: 32
    .workgroup_processor_mode: 1
  - .args:
      - .offset:         0
        .size:           64
        .value_kind:     by_value
    .group_segment_fixed_size: 0
    .kernarg_segment_align: 8
    .kernarg_segment_size: 64
    .language:       OpenCL C
    .language_version:
      - 2
      - 0
    .max_flat_workgroup_size: 256
    .name:           _ZN7rocprim17ROCPRIM_400000_NS6detail17trampoline_kernelINS0_14default_configENS1_38merge_sort_block_merge_config_selectorIjN6thrust23THRUST_200600_302600_NS5tupleIffNS6_9null_typeES8_S8_S8_S8_S8_S8_S8_EEEEZZNS1_27merge_sort_block_merge_implIS3_NS6_6detail15normal_iteratorINS6_10device_ptrIjEEEENSD_INSE_IS9_EEEEjNS1_19radix_merge_compareILb0ELb0EjNS0_19identity_decomposerEEEEE10hipError_tT0_T1_T2_jT3_P12ihipStream_tbPNSt15iterator_traitsISN_E10value_typeEPNST_ISO_E10value_typeEPSP_NS1_7vsmem_tEENKUlT_SN_SO_SP_E_clISG_PjSI_PS9_EESM_S12_SN_SO_SP_EUlS12_E0_NS1_11comp_targetILNS1_3genE2ELNS1_11target_archE906ELNS1_3gpuE6ELNS1_3repE0EEENS1_38merge_mergepath_config_static_selectorELNS0_4arch9wavefront6targetE0EEEvSO_
    .private_segment_fixed_size: 0
    .sgpr_count:     0
    .sgpr_spill_count: 0
    .symbol:         _ZN7rocprim17ROCPRIM_400000_NS6detail17trampoline_kernelINS0_14default_configENS1_38merge_sort_block_merge_config_selectorIjN6thrust23THRUST_200600_302600_NS5tupleIffNS6_9null_typeES8_S8_S8_S8_S8_S8_S8_EEEEZZNS1_27merge_sort_block_merge_implIS3_NS6_6detail15normal_iteratorINS6_10device_ptrIjEEEENSD_INSE_IS9_EEEEjNS1_19radix_merge_compareILb0ELb0EjNS0_19identity_decomposerEEEEE10hipError_tT0_T1_T2_jT3_P12ihipStream_tbPNSt15iterator_traitsISN_E10value_typeEPNST_ISO_E10value_typeEPSP_NS1_7vsmem_tEENKUlT_SN_SO_SP_E_clISG_PjSI_PS9_EESM_S12_SN_SO_SP_EUlS12_E0_NS1_11comp_targetILNS1_3genE2ELNS1_11target_archE906ELNS1_3gpuE6ELNS1_3repE0EEENS1_38merge_mergepath_config_static_selectorELNS0_4arch9wavefront6targetE0EEEvSO_.kd
    .uniform_work_group_size: 1
    .uses_dynamic_stack: false
    .vgpr_count:     0
    .vgpr_spill_count: 0
    .wavefront_size: 32
    .workgroup_processor_mode: 1
  - .args:
      - .offset:         0
        .size:           64
        .value_kind:     by_value
    .group_segment_fixed_size: 0
    .kernarg_segment_align: 8
    .kernarg_segment_size: 64
    .language:       OpenCL C
    .language_version:
      - 2
      - 0
    .max_flat_workgroup_size: 512
    .name:           _ZN7rocprim17ROCPRIM_400000_NS6detail17trampoline_kernelINS0_14default_configENS1_38merge_sort_block_merge_config_selectorIjN6thrust23THRUST_200600_302600_NS5tupleIffNS6_9null_typeES8_S8_S8_S8_S8_S8_S8_EEEEZZNS1_27merge_sort_block_merge_implIS3_NS6_6detail15normal_iteratorINS6_10device_ptrIjEEEENSD_INSE_IS9_EEEEjNS1_19radix_merge_compareILb0ELb0EjNS0_19identity_decomposerEEEEE10hipError_tT0_T1_T2_jT3_P12ihipStream_tbPNSt15iterator_traitsISN_E10value_typeEPNST_ISO_E10value_typeEPSP_NS1_7vsmem_tEENKUlT_SN_SO_SP_E_clISG_PjSI_PS9_EESM_S12_SN_SO_SP_EUlS12_E0_NS1_11comp_targetILNS1_3genE9ELNS1_11target_archE1100ELNS1_3gpuE3ELNS1_3repE0EEENS1_38merge_mergepath_config_static_selectorELNS0_4arch9wavefront6targetE0EEEvSO_
    .private_segment_fixed_size: 0
    .sgpr_count:     0
    .sgpr_spill_count: 0
    .symbol:         _ZN7rocprim17ROCPRIM_400000_NS6detail17trampoline_kernelINS0_14default_configENS1_38merge_sort_block_merge_config_selectorIjN6thrust23THRUST_200600_302600_NS5tupleIffNS6_9null_typeES8_S8_S8_S8_S8_S8_S8_EEEEZZNS1_27merge_sort_block_merge_implIS3_NS6_6detail15normal_iteratorINS6_10device_ptrIjEEEENSD_INSE_IS9_EEEEjNS1_19radix_merge_compareILb0ELb0EjNS0_19identity_decomposerEEEEE10hipError_tT0_T1_T2_jT3_P12ihipStream_tbPNSt15iterator_traitsISN_E10value_typeEPNST_ISO_E10value_typeEPSP_NS1_7vsmem_tEENKUlT_SN_SO_SP_E_clISG_PjSI_PS9_EESM_S12_SN_SO_SP_EUlS12_E0_NS1_11comp_targetILNS1_3genE9ELNS1_11target_archE1100ELNS1_3gpuE3ELNS1_3repE0EEENS1_38merge_mergepath_config_static_selectorELNS0_4arch9wavefront6targetE0EEEvSO_.kd
    .uniform_work_group_size: 1
    .uses_dynamic_stack: false
    .vgpr_count:     0
    .vgpr_spill_count: 0
    .wavefront_size: 32
    .workgroup_processor_mode: 1
  - .args:
      - .offset:         0
        .size:           64
        .value_kind:     by_value
      - .offset:         64
        .size:           4
        .value_kind:     hidden_block_count_x
      - .offset:         68
        .size:           4
        .value_kind:     hidden_block_count_y
      - .offset:         72
        .size:           4
        .value_kind:     hidden_block_count_z
      - .offset:         76
        .size:           2
        .value_kind:     hidden_group_size_x
      - .offset:         78
        .size:           2
        .value_kind:     hidden_group_size_y
      - .offset:         80
        .size:           2
        .value_kind:     hidden_group_size_z
      - .offset:         82
        .size:           2
        .value_kind:     hidden_remainder_x
      - .offset:         84
        .size:           2
        .value_kind:     hidden_remainder_y
      - .offset:         86
        .size:           2
        .value_kind:     hidden_remainder_z
      - .offset:         104
        .size:           8
        .value_kind:     hidden_global_offset_x
      - .offset:         112
        .size:           8
        .value_kind:     hidden_global_offset_y
      - .offset:         120
        .size:           8
        .value_kind:     hidden_global_offset_z
      - .offset:         128
        .size:           2
        .value_kind:     hidden_grid_dims
    .group_segment_fixed_size: 8208
    .kernarg_segment_align: 8
    .kernarg_segment_size: 320
    .language:       OpenCL C
    .language_version:
      - 2
      - 0
    .max_flat_workgroup_size: 1024
    .name:           _ZN7rocprim17ROCPRIM_400000_NS6detail17trampoline_kernelINS0_14default_configENS1_38merge_sort_block_merge_config_selectorIjN6thrust23THRUST_200600_302600_NS5tupleIffNS6_9null_typeES8_S8_S8_S8_S8_S8_S8_EEEEZZNS1_27merge_sort_block_merge_implIS3_NS6_6detail15normal_iteratorINS6_10device_ptrIjEEEENSD_INSE_IS9_EEEEjNS1_19radix_merge_compareILb0ELb0EjNS0_19identity_decomposerEEEEE10hipError_tT0_T1_T2_jT3_P12ihipStream_tbPNSt15iterator_traitsISN_E10value_typeEPNST_ISO_E10value_typeEPSP_NS1_7vsmem_tEENKUlT_SN_SO_SP_E_clISG_PjSI_PS9_EESM_S12_SN_SO_SP_EUlS12_E0_NS1_11comp_targetILNS1_3genE8ELNS1_11target_archE1030ELNS1_3gpuE2ELNS1_3repE0EEENS1_38merge_mergepath_config_static_selectorELNS0_4arch9wavefront6targetE0EEEvSO_
    .private_segment_fixed_size: 0
    .sgpr_count:     29
    .sgpr_spill_count: 0
    .symbol:         _ZN7rocprim17ROCPRIM_400000_NS6detail17trampoline_kernelINS0_14default_configENS1_38merge_sort_block_merge_config_selectorIjN6thrust23THRUST_200600_302600_NS5tupleIffNS6_9null_typeES8_S8_S8_S8_S8_S8_S8_EEEEZZNS1_27merge_sort_block_merge_implIS3_NS6_6detail15normal_iteratorINS6_10device_ptrIjEEEENSD_INSE_IS9_EEEEjNS1_19radix_merge_compareILb0ELb0EjNS0_19identity_decomposerEEEEE10hipError_tT0_T1_T2_jT3_P12ihipStream_tbPNSt15iterator_traitsISN_E10value_typeEPNST_ISO_E10value_typeEPSP_NS1_7vsmem_tEENKUlT_SN_SO_SP_E_clISG_PjSI_PS9_EESM_S12_SN_SO_SP_EUlS12_E0_NS1_11comp_targetILNS1_3genE8ELNS1_11target_archE1030ELNS1_3gpuE2ELNS1_3repE0EEENS1_38merge_mergepath_config_static_selectorELNS0_4arch9wavefront6targetE0EEEvSO_.kd
    .uniform_work_group_size: 1
    .uses_dynamic_stack: false
    .vgpr_count:     14
    .vgpr_spill_count: 0
    .wavefront_size: 32
    .workgroup_processor_mode: 1
  - .args:
      - .offset:         0
        .size:           48
        .value_kind:     by_value
    .group_segment_fixed_size: 0
    .kernarg_segment_align: 8
    .kernarg_segment_size: 48
    .language:       OpenCL C
    .language_version:
      - 2
      - 0
    .max_flat_workgroup_size: 256
    .name:           _ZN7rocprim17ROCPRIM_400000_NS6detail17trampoline_kernelINS0_14default_configENS1_38merge_sort_block_merge_config_selectorIjN6thrust23THRUST_200600_302600_NS5tupleIffNS6_9null_typeES8_S8_S8_S8_S8_S8_S8_EEEEZZNS1_27merge_sort_block_merge_implIS3_NS6_6detail15normal_iteratorINS6_10device_ptrIjEEEENSD_INSE_IS9_EEEEjNS1_19radix_merge_compareILb0ELb0EjNS0_19identity_decomposerEEEEE10hipError_tT0_T1_T2_jT3_P12ihipStream_tbPNSt15iterator_traitsISN_E10value_typeEPNST_ISO_E10value_typeEPSP_NS1_7vsmem_tEENKUlT_SN_SO_SP_E_clISG_PjSI_PS9_EESM_S12_SN_SO_SP_EUlS12_E1_NS1_11comp_targetILNS1_3genE0ELNS1_11target_archE4294967295ELNS1_3gpuE0ELNS1_3repE0EEENS1_36merge_oddeven_config_static_selectorELNS0_4arch9wavefront6targetE0EEEvSO_
    .private_segment_fixed_size: 0
    .sgpr_count:     0
    .sgpr_spill_count: 0
    .symbol:         _ZN7rocprim17ROCPRIM_400000_NS6detail17trampoline_kernelINS0_14default_configENS1_38merge_sort_block_merge_config_selectorIjN6thrust23THRUST_200600_302600_NS5tupleIffNS6_9null_typeES8_S8_S8_S8_S8_S8_S8_EEEEZZNS1_27merge_sort_block_merge_implIS3_NS6_6detail15normal_iteratorINS6_10device_ptrIjEEEENSD_INSE_IS9_EEEEjNS1_19radix_merge_compareILb0ELb0EjNS0_19identity_decomposerEEEEE10hipError_tT0_T1_T2_jT3_P12ihipStream_tbPNSt15iterator_traitsISN_E10value_typeEPNST_ISO_E10value_typeEPSP_NS1_7vsmem_tEENKUlT_SN_SO_SP_E_clISG_PjSI_PS9_EESM_S12_SN_SO_SP_EUlS12_E1_NS1_11comp_targetILNS1_3genE0ELNS1_11target_archE4294967295ELNS1_3gpuE0ELNS1_3repE0EEENS1_36merge_oddeven_config_static_selectorELNS0_4arch9wavefront6targetE0EEEvSO_.kd
    .uniform_work_group_size: 1
    .uses_dynamic_stack: false
    .vgpr_count:     0
    .vgpr_spill_count: 0
    .wavefront_size: 32
    .workgroup_processor_mode: 1
  - .args:
      - .offset:         0
        .size:           48
        .value_kind:     by_value
    .group_segment_fixed_size: 0
    .kernarg_segment_align: 8
    .kernarg_segment_size: 48
    .language:       OpenCL C
    .language_version:
      - 2
      - 0
    .max_flat_workgroup_size: 256
    .name:           _ZN7rocprim17ROCPRIM_400000_NS6detail17trampoline_kernelINS0_14default_configENS1_38merge_sort_block_merge_config_selectorIjN6thrust23THRUST_200600_302600_NS5tupleIffNS6_9null_typeES8_S8_S8_S8_S8_S8_S8_EEEEZZNS1_27merge_sort_block_merge_implIS3_NS6_6detail15normal_iteratorINS6_10device_ptrIjEEEENSD_INSE_IS9_EEEEjNS1_19radix_merge_compareILb0ELb0EjNS0_19identity_decomposerEEEEE10hipError_tT0_T1_T2_jT3_P12ihipStream_tbPNSt15iterator_traitsISN_E10value_typeEPNST_ISO_E10value_typeEPSP_NS1_7vsmem_tEENKUlT_SN_SO_SP_E_clISG_PjSI_PS9_EESM_S12_SN_SO_SP_EUlS12_E1_NS1_11comp_targetILNS1_3genE10ELNS1_11target_archE1201ELNS1_3gpuE5ELNS1_3repE0EEENS1_36merge_oddeven_config_static_selectorELNS0_4arch9wavefront6targetE0EEEvSO_
    .private_segment_fixed_size: 0
    .sgpr_count:     0
    .sgpr_spill_count: 0
    .symbol:         _ZN7rocprim17ROCPRIM_400000_NS6detail17trampoline_kernelINS0_14default_configENS1_38merge_sort_block_merge_config_selectorIjN6thrust23THRUST_200600_302600_NS5tupleIffNS6_9null_typeES8_S8_S8_S8_S8_S8_S8_EEEEZZNS1_27merge_sort_block_merge_implIS3_NS6_6detail15normal_iteratorINS6_10device_ptrIjEEEENSD_INSE_IS9_EEEEjNS1_19radix_merge_compareILb0ELb0EjNS0_19identity_decomposerEEEEE10hipError_tT0_T1_T2_jT3_P12ihipStream_tbPNSt15iterator_traitsISN_E10value_typeEPNST_ISO_E10value_typeEPSP_NS1_7vsmem_tEENKUlT_SN_SO_SP_E_clISG_PjSI_PS9_EESM_S12_SN_SO_SP_EUlS12_E1_NS1_11comp_targetILNS1_3genE10ELNS1_11target_archE1201ELNS1_3gpuE5ELNS1_3repE0EEENS1_36merge_oddeven_config_static_selectorELNS0_4arch9wavefront6targetE0EEEvSO_.kd
    .uniform_work_group_size: 1
    .uses_dynamic_stack: false
    .vgpr_count:     0
    .vgpr_spill_count: 0
    .wavefront_size: 32
    .workgroup_processor_mode: 1
  - .args:
      - .offset:         0
        .size:           48
        .value_kind:     by_value
    .group_segment_fixed_size: 0
    .kernarg_segment_align: 8
    .kernarg_segment_size: 48
    .language:       OpenCL C
    .language_version:
      - 2
      - 0
    .max_flat_workgroup_size: 256
    .name:           _ZN7rocprim17ROCPRIM_400000_NS6detail17trampoline_kernelINS0_14default_configENS1_38merge_sort_block_merge_config_selectorIjN6thrust23THRUST_200600_302600_NS5tupleIffNS6_9null_typeES8_S8_S8_S8_S8_S8_S8_EEEEZZNS1_27merge_sort_block_merge_implIS3_NS6_6detail15normal_iteratorINS6_10device_ptrIjEEEENSD_INSE_IS9_EEEEjNS1_19radix_merge_compareILb0ELb0EjNS0_19identity_decomposerEEEEE10hipError_tT0_T1_T2_jT3_P12ihipStream_tbPNSt15iterator_traitsISN_E10value_typeEPNST_ISO_E10value_typeEPSP_NS1_7vsmem_tEENKUlT_SN_SO_SP_E_clISG_PjSI_PS9_EESM_S12_SN_SO_SP_EUlS12_E1_NS1_11comp_targetILNS1_3genE5ELNS1_11target_archE942ELNS1_3gpuE9ELNS1_3repE0EEENS1_36merge_oddeven_config_static_selectorELNS0_4arch9wavefront6targetE0EEEvSO_
    .private_segment_fixed_size: 0
    .sgpr_count:     0
    .sgpr_spill_count: 0
    .symbol:         _ZN7rocprim17ROCPRIM_400000_NS6detail17trampoline_kernelINS0_14default_configENS1_38merge_sort_block_merge_config_selectorIjN6thrust23THRUST_200600_302600_NS5tupleIffNS6_9null_typeES8_S8_S8_S8_S8_S8_S8_EEEEZZNS1_27merge_sort_block_merge_implIS3_NS6_6detail15normal_iteratorINS6_10device_ptrIjEEEENSD_INSE_IS9_EEEEjNS1_19radix_merge_compareILb0ELb0EjNS0_19identity_decomposerEEEEE10hipError_tT0_T1_T2_jT3_P12ihipStream_tbPNSt15iterator_traitsISN_E10value_typeEPNST_ISO_E10value_typeEPSP_NS1_7vsmem_tEENKUlT_SN_SO_SP_E_clISG_PjSI_PS9_EESM_S12_SN_SO_SP_EUlS12_E1_NS1_11comp_targetILNS1_3genE5ELNS1_11target_archE942ELNS1_3gpuE9ELNS1_3repE0EEENS1_36merge_oddeven_config_static_selectorELNS0_4arch9wavefront6targetE0EEEvSO_.kd
    .uniform_work_group_size: 1
    .uses_dynamic_stack: false
    .vgpr_count:     0
    .vgpr_spill_count: 0
    .wavefront_size: 32
    .workgroup_processor_mode: 1
  - .args:
      - .offset:         0
        .size:           48
        .value_kind:     by_value
    .group_segment_fixed_size: 0
    .kernarg_segment_align: 8
    .kernarg_segment_size: 48
    .language:       OpenCL C
    .language_version:
      - 2
      - 0
    .max_flat_workgroup_size: 256
    .name:           _ZN7rocprim17ROCPRIM_400000_NS6detail17trampoline_kernelINS0_14default_configENS1_38merge_sort_block_merge_config_selectorIjN6thrust23THRUST_200600_302600_NS5tupleIffNS6_9null_typeES8_S8_S8_S8_S8_S8_S8_EEEEZZNS1_27merge_sort_block_merge_implIS3_NS6_6detail15normal_iteratorINS6_10device_ptrIjEEEENSD_INSE_IS9_EEEEjNS1_19radix_merge_compareILb0ELb0EjNS0_19identity_decomposerEEEEE10hipError_tT0_T1_T2_jT3_P12ihipStream_tbPNSt15iterator_traitsISN_E10value_typeEPNST_ISO_E10value_typeEPSP_NS1_7vsmem_tEENKUlT_SN_SO_SP_E_clISG_PjSI_PS9_EESM_S12_SN_SO_SP_EUlS12_E1_NS1_11comp_targetILNS1_3genE4ELNS1_11target_archE910ELNS1_3gpuE8ELNS1_3repE0EEENS1_36merge_oddeven_config_static_selectorELNS0_4arch9wavefront6targetE0EEEvSO_
    .private_segment_fixed_size: 0
    .sgpr_count:     0
    .sgpr_spill_count: 0
    .symbol:         _ZN7rocprim17ROCPRIM_400000_NS6detail17trampoline_kernelINS0_14default_configENS1_38merge_sort_block_merge_config_selectorIjN6thrust23THRUST_200600_302600_NS5tupleIffNS6_9null_typeES8_S8_S8_S8_S8_S8_S8_EEEEZZNS1_27merge_sort_block_merge_implIS3_NS6_6detail15normal_iteratorINS6_10device_ptrIjEEEENSD_INSE_IS9_EEEEjNS1_19radix_merge_compareILb0ELb0EjNS0_19identity_decomposerEEEEE10hipError_tT0_T1_T2_jT3_P12ihipStream_tbPNSt15iterator_traitsISN_E10value_typeEPNST_ISO_E10value_typeEPSP_NS1_7vsmem_tEENKUlT_SN_SO_SP_E_clISG_PjSI_PS9_EESM_S12_SN_SO_SP_EUlS12_E1_NS1_11comp_targetILNS1_3genE4ELNS1_11target_archE910ELNS1_3gpuE8ELNS1_3repE0EEENS1_36merge_oddeven_config_static_selectorELNS0_4arch9wavefront6targetE0EEEvSO_.kd
    .uniform_work_group_size: 1
    .uses_dynamic_stack: false
    .vgpr_count:     0
    .vgpr_spill_count: 0
    .wavefront_size: 32
    .workgroup_processor_mode: 1
  - .args:
      - .offset:         0
        .size:           48
        .value_kind:     by_value
    .group_segment_fixed_size: 0
    .kernarg_segment_align: 8
    .kernarg_segment_size: 48
    .language:       OpenCL C
    .language_version:
      - 2
      - 0
    .max_flat_workgroup_size: 256
    .name:           _ZN7rocprim17ROCPRIM_400000_NS6detail17trampoline_kernelINS0_14default_configENS1_38merge_sort_block_merge_config_selectorIjN6thrust23THRUST_200600_302600_NS5tupleIffNS6_9null_typeES8_S8_S8_S8_S8_S8_S8_EEEEZZNS1_27merge_sort_block_merge_implIS3_NS6_6detail15normal_iteratorINS6_10device_ptrIjEEEENSD_INSE_IS9_EEEEjNS1_19radix_merge_compareILb0ELb0EjNS0_19identity_decomposerEEEEE10hipError_tT0_T1_T2_jT3_P12ihipStream_tbPNSt15iterator_traitsISN_E10value_typeEPNST_ISO_E10value_typeEPSP_NS1_7vsmem_tEENKUlT_SN_SO_SP_E_clISG_PjSI_PS9_EESM_S12_SN_SO_SP_EUlS12_E1_NS1_11comp_targetILNS1_3genE3ELNS1_11target_archE908ELNS1_3gpuE7ELNS1_3repE0EEENS1_36merge_oddeven_config_static_selectorELNS0_4arch9wavefront6targetE0EEEvSO_
    .private_segment_fixed_size: 0
    .sgpr_count:     0
    .sgpr_spill_count: 0
    .symbol:         _ZN7rocprim17ROCPRIM_400000_NS6detail17trampoline_kernelINS0_14default_configENS1_38merge_sort_block_merge_config_selectorIjN6thrust23THRUST_200600_302600_NS5tupleIffNS6_9null_typeES8_S8_S8_S8_S8_S8_S8_EEEEZZNS1_27merge_sort_block_merge_implIS3_NS6_6detail15normal_iteratorINS6_10device_ptrIjEEEENSD_INSE_IS9_EEEEjNS1_19radix_merge_compareILb0ELb0EjNS0_19identity_decomposerEEEEE10hipError_tT0_T1_T2_jT3_P12ihipStream_tbPNSt15iterator_traitsISN_E10value_typeEPNST_ISO_E10value_typeEPSP_NS1_7vsmem_tEENKUlT_SN_SO_SP_E_clISG_PjSI_PS9_EESM_S12_SN_SO_SP_EUlS12_E1_NS1_11comp_targetILNS1_3genE3ELNS1_11target_archE908ELNS1_3gpuE7ELNS1_3repE0EEENS1_36merge_oddeven_config_static_selectorELNS0_4arch9wavefront6targetE0EEEvSO_.kd
    .uniform_work_group_size: 1
    .uses_dynamic_stack: false
    .vgpr_count:     0
    .vgpr_spill_count: 0
    .wavefront_size: 32
    .workgroup_processor_mode: 1
  - .args:
      - .offset:         0
        .size:           48
        .value_kind:     by_value
    .group_segment_fixed_size: 0
    .kernarg_segment_align: 8
    .kernarg_segment_size: 48
    .language:       OpenCL C
    .language_version:
      - 2
      - 0
    .max_flat_workgroup_size: 256
    .name:           _ZN7rocprim17ROCPRIM_400000_NS6detail17trampoline_kernelINS0_14default_configENS1_38merge_sort_block_merge_config_selectorIjN6thrust23THRUST_200600_302600_NS5tupleIffNS6_9null_typeES8_S8_S8_S8_S8_S8_S8_EEEEZZNS1_27merge_sort_block_merge_implIS3_NS6_6detail15normal_iteratorINS6_10device_ptrIjEEEENSD_INSE_IS9_EEEEjNS1_19radix_merge_compareILb0ELb0EjNS0_19identity_decomposerEEEEE10hipError_tT0_T1_T2_jT3_P12ihipStream_tbPNSt15iterator_traitsISN_E10value_typeEPNST_ISO_E10value_typeEPSP_NS1_7vsmem_tEENKUlT_SN_SO_SP_E_clISG_PjSI_PS9_EESM_S12_SN_SO_SP_EUlS12_E1_NS1_11comp_targetILNS1_3genE2ELNS1_11target_archE906ELNS1_3gpuE6ELNS1_3repE0EEENS1_36merge_oddeven_config_static_selectorELNS0_4arch9wavefront6targetE0EEEvSO_
    .private_segment_fixed_size: 0
    .sgpr_count:     0
    .sgpr_spill_count: 0
    .symbol:         _ZN7rocprim17ROCPRIM_400000_NS6detail17trampoline_kernelINS0_14default_configENS1_38merge_sort_block_merge_config_selectorIjN6thrust23THRUST_200600_302600_NS5tupleIffNS6_9null_typeES8_S8_S8_S8_S8_S8_S8_EEEEZZNS1_27merge_sort_block_merge_implIS3_NS6_6detail15normal_iteratorINS6_10device_ptrIjEEEENSD_INSE_IS9_EEEEjNS1_19radix_merge_compareILb0ELb0EjNS0_19identity_decomposerEEEEE10hipError_tT0_T1_T2_jT3_P12ihipStream_tbPNSt15iterator_traitsISN_E10value_typeEPNST_ISO_E10value_typeEPSP_NS1_7vsmem_tEENKUlT_SN_SO_SP_E_clISG_PjSI_PS9_EESM_S12_SN_SO_SP_EUlS12_E1_NS1_11comp_targetILNS1_3genE2ELNS1_11target_archE906ELNS1_3gpuE6ELNS1_3repE0EEENS1_36merge_oddeven_config_static_selectorELNS0_4arch9wavefront6targetE0EEEvSO_.kd
    .uniform_work_group_size: 1
    .uses_dynamic_stack: false
    .vgpr_count:     0
    .vgpr_spill_count: 0
    .wavefront_size: 32
    .workgroup_processor_mode: 1
  - .args:
      - .offset:         0
        .size:           48
        .value_kind:     by_value
    .group_segment_fixed_size: 0
    .kernarg_segment_align: 8
    .kernarg_segment_size: 48
    .language:       OpenCL C
    .language_version:
      - 2
      - 0
    .max_flat_workgroup_size: 256
    .name:           _ZN7rocprim17ROCPRIM_400000_NS6detail17trampoline_kernelINS0_14default_configENS1_38merge_sort_block_merge_config_selectorIjN6thrust23THRUST_200600_302600_NS5tupleIffNS6_9null_typeES8_S8_S8_S8_S8_S8_S8_EEEEZZNS1_27merge_sort_block_merge_implIS3_NS6_6detail15normal_iteratorINS6_10device_ptrIjEEEENSD_INSE_IS9_EEEEjNS1_19radix_merge_compareILb0ELb0EjNS0_19identity_decomposerEEEEE10hipError_tT0_T1_T2_jT3_P12ihipStream_tbPNSt15iterator_traitsISN_E10value_typeEPNST_ISO_E10value_typeEPSP_NS1_7vsmem_tEENKUlT_SN_SO_SP_E_clISG_PjSI_PS9_EESM_S12_SN_SO_SP_EUlS12_E1_NS1_11comp_targetILNS1_3genE9ELNS1_11target_archE1100ELNS1_3gpuE3ELNS1_3repE0EEENS1_36merge_oddeven_config_static_selectorELNS0_4arch9wavefront6targetE0EEEvSO_
    .private_segment_fixed_size: 0
    .sgpr_count:     0
    .sgpr_spill_count: 0
    .symbol:         _ZN7rocprim17ROCPRIM_400000_NS6detail17trampoline_kernelINS0_14default_configENS1_38merge_sort_block_merge_config_selectorIjN6thrust23THRUST_200600_302600_NS5tupleIffNS6_9null_typeES8_S8_S8_S8_S8_S8_S8_EEEEZZNS1_27merge_sort_block_merge_implIS3_NS6_6detail15normal_iteratorINS6_10device_ptrIjEEEENSD_INSE_IS9_EEEEjNS1_19radix_merge_compareILb0ELb0EjNS0_19identity_decomposerEEEEE10hipError_tT0_T1_T2_jT3_P12ihipStream_tbPNSt15iterator_traitsISN_E10value_typeEPNST_ISO_E10value_typeEPSP_NS1_7vsmem_tEENKUlT_SN_SO_SP_E_clISG_PjSI_PS9_EESM_S12_SN_SO_SP_EUlS12_E1_NS1_11comp_targetILNS1_3genE9ELNS1_11target_archE1100ELNS1_3gpuE3ELNS1_3repE0EEENS1_36merge_oddeven_config_static_selectorELNS0_4arch9wavefront6targetE0EEEvSO_.kd
    .uniform_work_group_size: 1
    .uses_dynamic_stack: false
    .vgpr_count:     0
    .vgpr_spill_count: 0
    .wavefront_size: 32
    .workgroup_processor_mode: 1
  - .args:
      - .offset:         0
        .size:           48
        .value_kind:     by_value
    .group_segment_fixed_size: 0
    .kernarg_segment_align: 8
    .kernarg_segment_size: 48
    .language:       OpenCL C
    .language_version:
      - 2
      - 0
    .max_flat_workgroup_size: 256
    .name:           _ZN7rocprim17ROCPRIM_400000_NS6detail17trampoline_kernelINS0_14default_configENS1_38merge_sort_block_merge_config_selectorIjN6thrust23THRUST_200600_302600_NS5tupleIffNS6_9null_typeES8_S8_S8_S8_S8_S8_S8_EEEEZZNS1_27merge_sort_block_merge_implIS3_NS6_6detail15normal_iteratorINS6_10device_ptrIjEEEENSD_INSE_IS9_EEEEjNS1_19radix_merge_compareILb0ELb0EjNS0_19identity_decomposerEEEEE10hipError_tT0_T1_T2_jT3_P12ihipStream_tbPNSt15iterator_traitsISN_E10value_typeEPNST_ISO_E10value_typeEPSP_NS1_7vsmem_tEENKUlT_SN_SO_SP_E_clISG_PjSI_PS9_EESM_S12_SN_SO_SP_EUlS12_E1_NS1_11comp_targetILNS1_3genE8ELNS1_11target_archE1030ELNS1_3gpuE2ELNS1_3repE0EEENS1_36merge_oddeven_config_static_selectorELNS0_4arch9wavefront6targetE0EEEvSO_
    .private_segment_fixed_size: 0
    .sgpr_count:     24
    .sgpr_spill_count: 0
    .symbol:         _ZN7rocprim17ROCPRIM_400000_NS6detail17trampoline_kernelINS0_14default_configENS1_38merge_sort_block_merge_config_selectorIjN6thrust23THRUST_200600_302600_NS5tupleIffNS6_9null_typeES8_S8_S8_S8_S8_S8_S8_EEEEZZNS1_27merge_sort_block_merge_implIS3_NS6_6detail15normal_iteratorINS6_10device_ptrIjEEEENSD_INSE_IS9_EEEEjNS1_19radix_merge_compareILb0ELb0EjNS0_19identity_decomposerEEEEE10hipError_tT0_T1_T2_jT3_P12ihipStream_tbPNSt15iterator_traitsISN_E10value_typeEPNST_ISO_E10value_typeEPSP_NS1_7vsmem_tEENKUlT_SN_SO_SP_E_clISG_PjSI_PS9_EESM_S12_SN_SO_SP_EUlS12_E1_NS1_11comp_targetILNS1_3genE8ELNS1_11target_archE1030ELNS1_3gpuE2ELNS1_3repE0EEENS1_36merge_oddeven_config_static_selectorELNS0_4arch9wavefront6targetE0EEEvSO_.kd
    .uniform_work_group_size: 1
    .uses_dynamic_stack: false
    .vgpr_count:     10
    .vgpr_spill_count: 0
    .wavefront_size: 32
    .workgroup_processor_mode: 1
  - .args:
      - .offset:         0
        .size:           40
        .value_kind:     by_value
    .group_segment_fixed_size: 0
    .kernarg_segment_align: 8
    .kernarg_segment_size: 40
    .language:       OpenCL C
    .language_version:
      - 2
      - 0
    .max_flat_workgroup_size: 128
    .name:           _ZN7rocprim17ROCPRIM_400000_NS6detail17trampoline_kernelINS0_14default_configENS1_25transform_config_selectorIjLb0EEEZNS1_14transform_implILb0ES3_S5_PjN6thrust23THRUST_200600_302600_NS6detail15normal_iteratorINS9_10device_ptrIjEEEENS0_8identityIjEEEE10hipError_tT2_T3_mT4_P12ihipStream_tbEUlT_E_NS1_11comp_targetILNS1_3genE0ELNS1_11target_archE4294967295ELNS1_3gpuE0ELNS1_3repE0EEENS1_30default_config_static_selectorELNS0_4arch9wavefront6targetE0EEEvT1_
    .private_segment_fixed_size: 0
    .sgpr_count:     0
    .sgpr_spill_count: 0
    .symbol:         _ZN7rocprim17ROCPRIM_400000_NS6detail17trampoline_kernelINS0_14default_configENS1_25transform_config_selectorIjLb0EEEZNS1_14transform_implILb0ES3_S5_PjN6thrust23THRUST_200600_302600_NS6detail15normal_iteratorINS9_10device_ptrIjEEEENS0_8identityIjEEEE10hipError_tT2_T3_mT4_P12ihipStream_tbEUlT_E_NS1_11comp_targetILNS1_3genE0ELNS1_11target_archE4294967295ELNS1_3gpuE0ELNS1_3repE0EEENS1_30default_config_static_selectorELNS0_4arch9wavefront6targetE0EEEvT1_.kd
    .uniform_work_group_size: 1
    .uses_dynamic_stack: false
    .vgpr_count:     0
    .vgpr_spill_count: 0
    .wavefront_size: 32
    .workgroup_processor_mode: 1
  - .args:
      - .offset:         0
        .size:           40
        .value_kind:     by_value
    .group_segment_fixed_size: 0
    .kernarg_segment_align: 8
    .kernarg_segment_size: 40
    .language:       OpenCL C
    .language_version:
      - 2
      - 0
    .max_flat_workgroup_size: 512
    .name:           _ZN7rocprim17ROCPRIM_400000_NS6detail17trampoline_kernelINS0_14default_configENS1_25transform_config_selectorIjLb0EEEZNS1_14transform_implILb0ES3_S5_PjN6thrust23THRUST_200600_302600_NS6detail15normal_iteratorINS9_10device_ptrIjEEEENS0_8identityIjEEEE10hipError_tT2_T3_mT4_P12ihipStream_tbEUlT_E_NS1_11comp_targetILNS1_3genE5ELNS1_11target_archE942ELNS1_3gpuE9ELNS1_3repE0EEENS1_30default_config_static_selectorELNS0_4arch9wavefront6targetE0EEEvT1_
    .private_segment_fixed_size: 0
    .sgpr_count:     0
    .sgpr_spill_count: 0
    .symbol:         _ZN7rocprim17ROCPRIM_400000_NS6detail17trampoline_kernelINS0_14default_configENS1_25transform_config_selectorIjLb0EEEZNS1_14transform_implILb0ES3_S5_PjN6thrust23THRUST_200600_302600_NS6detail15normal_iteratorINS9_10device_ptrIjEEEENS0_8identityIjEEEE10hipError_tT2_T3_mT4_P12ihipStream_tbEUlT_E_NS1_11comp_targetILNS1_3genE5ELNS1_11target_archE942ELNS1_3gpuE9ELNS1_3repE0EEENS1_30default_config_static_selectorELNS0_4arch9wavefront6targetE0EEEvT1_.kd
    .uniform_work_group_size: 1
    .uses_dynamic_stack: false
    .vgpr_count:     0
    .vgpr_spill_count: 0
    .wavefront_size: 32
    .workgroup_processor_mode: 1
  - .args:
      - .offset:         0
        .size:           40
        .value_kind:     by_value
    .group_segment_fixed_size: 0
    .kernarg_segment_align: 8
    .kernarg_segment_size: 40
    .language:       OpenCL C
    .language_version:
      - 2
      - 0
    .max_flat_workgroup_size: 1024
    .name:           _ZN7rocprim17ROCPRIM_400000_NS6detail17trampoline_kernelINS0_14default_configENS1_25transform_config_selectorIjLb0EEEZNS1_14transform_implILb0ES3_S5_PjN6thrust23THRUST_200600_302600_NS6detail15normal_iteratorINS9_10device_ptrIjEEEENS0_8identityIjEEEE10hipError_tT2_T3_mT4_P12ihipStream_tbEUlT_E_NS1_11comp_targetILNS1_3genE4ELNS1_11target_archE910ELNS1_3gpuE8ELNS1_3repE0EEENS1_30default_config_static_selectorELNS0_4arch9wavefront6targetE0EEEvT1_
    .private_segment_fixed_size: 0
    .sgpr_count:     0
    .sgpr_spill_count: 0
    .symbol:         _ZN7rocprim17ROCPRIM_400000_NS6detail17trampoline_kernelINS0_14default_configENS1_25transform_config_selectorIjLb0EEEZNS1_14transform_implILb0ES3_S5_PjN6thrust23THRUST_200600_302600_NS6detail15normal_iteratorINS9_10device_ptrIjEEEENS0_8identityIjEEEE10hipError_tT2_T3_mT4_P12ihipStream_tbEUlT_E_NS1_11comp_targetILNS1_3genE4ELNS1_11target_archE910ELNS1_3gpuE8ELNS1_3repE0EEENS1_30default_config_static_selectorELNS0_4arch9wavefront6targetE0EEEvT1_.kd
    .uniform_work_group_size: 1
    .uses_dynamic_stack: false
    .vgpr_count:     0
    .vgpr_spill_count: 0
    .wavefront_size: 32
    .workgroup_processor_mode: 1
  - .args:
      - .offset:         0
        .size:           40
        .value_kind:     by_value
    .group_segment_fixed_size: 0
    .kernarg_segment_align: 8
    .kernarg_segment_size: 40
    .language:       OpenCL C
    .language_version:
      - 2
      - 0
    .max_flat_workgroup_size: 128
    .name:           _ZN7rocprim17ROCPRIM_400000_NS6detail17trampoline_kernelINS0_14default_configENS1_25transform_config_selectorIjLb0EEEZNS1_14transform_implILb0ES3_S5_PjN6thrust23THRUST_200600_302600_NS6detail15normal_iteratorINS9_10device_ptrIjEEEENS0_8identityIjEEEE10hipError_tT2_T3_mT4_P12ihipStream_tbEUlT_E_NS1_11comp_targetILNS1_3genE3ELNS1_11target_archE908ELNS1_3gpuE7ELNS1_3repE0EEENS1_30default_config_static_selectorELNS0_4arch9wavefront6targetE0EEEvT1_
    .private_segment_fixed_size: 0
    .sgpr_count:     0
    .sgpr_spill_count: 0
    .symbol:         _ZN7rocprim17ROCPRIM_400000_NS6detail17trampoline_kernelINS0_14default_configENS1_25transform_config_selectorIjLb0EEEZNS1_14transform_implILb0ES3_S5_PjN6thrust23THRUST_200600_302600_NS6detail15normal_iteratorINS9_10device_ptrIjEEEENS0_8identityIjEEEE10hipError_tT2_T3_mT4_P12ihipStream_tbEUlT_E_NS1_11comp_targetILNS1_3genE3ELNS1_11target_archE908ELNS1_3gpuE7ELNS1_3repE0EEENS1_30default_config_static_selectorELNS0_4arch9wavefront6targetE0EEEvT1_.kd
    .uniform_work_group_size: 1
    .uses_dynamic_stack: false
    .vgpr_count:     0
    .vgpr_spill_count: 0
    .wavefront_size: 32
    .workgroup_processor_mode: 1
  - .args:
      - .offset:         0
        .size:           40
        .value_kind:     by_value
    .group_segment_fixed_size: 0
    .kernarg_segment_align: 8
    .kernarg_segment_size: 40
    .language:       OpenCL C
    .language_version:
      - 2
      - 0
    .max_flat_workgroup_size: 1024
    .name:           _ZN7rocprim17ROCPRIM_400000_NS6detail17trampoline_kernelINS0_14default_configENS1_25transform_config_selectorIjLb0EEEZNS1_14transform_implILb0ES3_S5_PjN6thrust23THRUST_200600_302600_NS6detail15normal_iteratorINS9_10device_ptrIjEEEENS0_8identityIjEEEE10hipError_tT2_T3_mT4_P12ihipStream_tbEUlT_E_NS1_11comp_targetILNS1_3genE2ELNS1_11target_archE906ELNS1_3gpuE6ELNS1_3repE0EEENS1_30default_config_static_selectorELNS0_4arch9wavefront6targetE0EEEvT1_
    .private_segment_fixed_size: 0
    .sgpr_count:     0
    .sgpr_spill_count: 0
    .symbol:         _ZN7rocprim17ROCPRIM_400000_NS6detail17trampoline_kernelINS0_14default_configENS1_25transform_config_selectorIjLb0EEEZNS1_14transform_implILb0ES3_S5_PjN6thrust23THRUST_200600_302600_NS6detail15normal_iteratorINS9_10device_ptrIjEEEENS0_8identityIjEEEE10hipError_tT2_T3_mT4_P12ihipStream_tbEUlT_E_NS1_11comp_targetILNS1_3genE2ELNS1_11target_archE906ELNS1_3gpuE6ELNS1_3repE0EEENS1_30default_config_static_selectorELNS0_4arch9wavefront6targetE0EEEvT1_.kd
    .uniform_work_group_size: 1
    .uses_dynamic_stack: false
    .vgpr_count:     0
    .vgpr_spill_count: 0
    .wavefront_size: 32
    .workgroup_processor_mode: 1
  - .args:
      - .offset:         0
        .size:           40
        .value_kind:     by_value
    .group_segment_fixed_size: 0
    .kernarg_segment_align: 8
    .kernarg_segment_size: 40
    .language:       OpenCL C
    .language_version:
      - 2
      - 0
    .max_flat_workgroup_size: 1024
    .name:           _ZN7rocprim17ROCPRIM_400000_NS6detail17trampoline_kernelINS0_14default_configENS1_25transform_config_selectorIjLb0EEEZNS1_14transform_implILb0ES3_S5_PjN6thrust23THRUST_200600_302600_NS6detail15normal_iteratorINS9_10device_ptrIjEEEENS0_8identityIjEEEE10hipError_tT2_T3_mT4_P12ihipStream_tbEUlT_E_NS1_11comp_targetILNS1_3genE10ELNS1_11target_archE1201ELNS1_3gpuE5ELNS1_3repE0EEENS1_30default_config_static_selectorELNS0_4arch9wavefront6targetE0EEEvT1_
    .private_segment_fixed_size: 0
    .sgpr_count:     0
    .sgpr_spill_count: 0
    .symbol:         _ZN7rocprim17ROCPRIM_400000_NS6detail17trampoline_kernelINS0_14default_configENS1_25transform_config_selectorIjLb0EEEZNS1_14transform_implILb0ES3_S5_PjN6thrust23THRUST_200600_302600_NS6detail15normal_iteratorINS9_10device_ptrIjEEEENS0_8identityIjEEEE10hipError_tT2_T3_mT4_P12ihipStream_tbEUlT_E_NS1_11comp_targetILNS1_3genE10ELNS1_11target_archE1201ELNS1_3gpuE5ELNS1_3repE0EEENS1_30default_config_static_selectorELNS0_4arch9wavefront6targetE0EEEvT1_.kd
    .uniform_work_group_size: 1
    .uses_dynamic_stack: false
    .vgpr_count:     0
    .vgpr_spill_count: 0
    .wavefront_size: 32
    .workgroup_processor_mode: 1
  - .args:
      - .offset:         0
        .size:           40
        .value_kind:     by_value
    .group_segment_fixed_size: 0
    .kernarg_segment_align: 8
    .kernarg_segment_size: 40
    .language:       OpenCL C
    .language_version:
      - 2
      - 0
    .max_flat_workgroup_size: 512
    .name:           _ZN7rocprim17ROCPRIM_400000_NS6detail17trampoline_kernelINS0_14default_configENS1_25transform_config_selectorIjLb0EEEZNS1_14transform_implILb0ES3_S5_PjN6thrust23THRUST_200600_302600_NS6detail15normal_iteratorINS9_10device_ptrIjEEEENS0_8identityIjEEEE10hipError_tT2_T3_mT4_P12ihipStream_tbEUlT_E_NS1_11comp_targetILNS1_3genE10ELNS1_11target_archE1200ELNS1_3gpuE4ELNS1_3repE0EEENS1_30default_config_static_selectorELNS0_4arch9wavefront6targetE0EEEvT1_
    .private_segment_fixed_size: 0
    .sgpr_count:     0
    .sgpr_spill_count: 0
    .symbol:         _ZN7rocprim17ROCPRIM_400000_NS6detail17trampoline_kernelINS0_14default_configENS1_25transform_config_selectorIjLb0EEEZNS1_14transform_implILb0ES3_S5_PjN6thrust23THRUST_200600_302600_NS6detail15normal_iteratorINS9_10device_ptrIjEEEENS0_8identityIjEEEE10hipError_tT2_T3_mT4_P12ihipStream_tbEUlT_E_NS1_11comp_targetILNS1_3genE10ELNS1_11target_archE1200ELNS1_3gpuE4ELNS1_3repE0EEENS1_30default_config_static_selectorELNS0_4arch9wavefront6targetE0EEEvT1_.kd
    .uniform_work_group_size: 1
    .uses_dynamic_stack: false
    .vgpr_count:     0
    .vgpr_spill_count: 0
    .wavefront_size: 32
    .workgroup_processor_mode: 1
  - .args:
      - .offset:         0
        .size:           40
        .value_kind:     by_value
    .group_segment_fixed_size: 0
    .kernarg_segment_align: 8
    .kernarg_segment_size: 40
    .language:       OpenCL C
    .language_version:
      - 2
      - 0
    .max_flat_workgroup_size: 64
    .name:           _ZN7rocprim17ROCPRIM_400000_NS6detail17trampoline_kernelINS0_14default_configENS1_25transform_config_selectorIjLb0EEEZNS1_14transform_implILb0ES3_S5_PjN6thrust23THRUST_200600_302600_NS6detail15normal_iteratorINS9_10device_ptrIjEEEENS0_8identityIjEEEE10hipError_tT2_T3_mT4_P12ihipStream_tbEUlT_E_NS1_11comp_targetILNS1_3genE9ELNS1_11target_archE1100ELNS1_3gpuE3ELNS1_3repE0EEENS1_30default_config_static_selectorELNS0_4arch9wavefront6targetE0EEEvT1_
    .private_segment_fixed_size: 0
    .sgpr_count:     0
    .sgpr_spill_count: 0
    .symbol:         _ZN7rocprim17ROCPRIM_400000_NS6detail17trampoline_kernelINS0_14default_configENS1_25transform_config_selectorIjLb0EEEZNS1_14transform_implILb0ES3_S5_PjN6thrust23THRUST_200600_302600_NS6detail15normal_iteratorINS9_10device_ptrIjEEEENS0_8identityIjEEEE10hipError_tT2_T3_mT4_P12ihipStream_tbEUlT_E_NS1_11comp_targetILNS1_3genE9ELNS1_11target_archE1100ELNS1_3gpuE3ELNS1_3repE0EEENS1_30default_config_static_selectorELNS0_4arch9wavefront6targetE0EEEvT1_.kd
    .uniform_work_group_size: 1
    .uses_dynamic_stack: false
    .vgpr_count:     0
    .vgpr_spill_count: 0
    .wavefront_size: 32
    .workgroup_processor_mode: 1
  - .args:
      - .offset:         0
        .size:           40
        .value_kind:     by_value
      - .offset:         40
        .size:           4
        .value_kind:     hidden_block_count_x
      - .offset:         44
        .size:           4
        .value_kind:     hidden_block_count_y
      - .offset:         48
        .size:           4
        .value_kind:     hidden_block_count_z
      - .offset:         52
        .size:           2
        .value_kind:     hidden_group_size_x
      - .offset:         54
        .size:           2
        .value_kind:     hidden_group_size_y
      - .offset:         56
        .size:           2
        .value_kind:     hidden_group_size_z
      - .offset:         58
        .size:           2
        .value_kind:     hidden_remainder_x
      - .offset:         60
        .size:           2
        .value_kind:     hidden_remainder_y
      - .offset:         62
        .size:           2
        .value_kind:     hidden_remainder_z
      - .offset:         80
        .size:           8
        .value_kind:     hidden_global_offset_x
      - .offset:         88
        .size:           8
        .value_kind:     hidden_global_offset_y
      - .offset:         96
        .size:           8
        .value_kind:     hidden_global_offset_z
      - .offset:         104
        .size:           2
        .value_kind:     hidden_grid_dims
    .group_segment_fixed_size: 0
    .kernarg_segment_align: 8
    .kernarg_segment_size: 296
    .language:       OpenCL C
    .language_version:
      - 2
      - 0
    .max_flat_workgroup_size: 256
    .name:           _ZN7rocprim17ROCPRIM_400000_NS6detail17trampoline_kernelINS0_14default_configENS1_25transform_config_selectorIjLb0EEEZNS1_14transform_implILb0ES3_S5_PjN6thrust23THRUST_200600_302600_NS6detail15normal_iteratorINS9_10device_ptrIjEEEENS0_8identityIjEEEE10hipError_tT2_T3_mT4_P12ihipStream_tbEUlT_E_NS1_11comp_targetILNS1_3genE8ELNS1_11target_archE1030ELNS1_3gpuE2ELNS1_3repE0EEENS1_30default_config_static_selectorELNS0_4arch9wavefront6targetE0EEEvT1_
    .private_segment_fixed_size: 0
    .sgpr_count:     14
    .sgpr_spill_count: 0
    .symbol:         _ZN7rocprim17ROCPRIM_400000_NS6detail17trampoline_kernelINS0_14default_configENS1_25transform_config_selectorIjLb0EEEZNS1_14transform_implILb0ES3_S5_PjN6thrust23THRUST_200600_302600_NS6detail15normal_iteratorINS9_10device_ptrIjEEEENS0_8identityIjEEEE10hipError_tT2_T3_mT4_P12ihipStream_tbEUlT_E_NS1_11comp_targetILNS1_3genE8ELNS1_11target_archE1030ELNS1_3gpuE2ELNS1_3repE0EEENS1_30default_config_static_selectorELNS0_4arch9wavefront6targetE0EEEvT1_.kd
    .uniform_work_group_size: 1
    .uses_dynamic_stack: false
    .vgpr_count:     3
    .vgpr_spill_count: 0
    .wavefront_size: 32
    .workgroup_processor_mode: 1
  - .args:
      - .offset:         0
        .size:           40
        .value_kind:     by_value
    .group_segment_fixed_size: 0
    .kernarg_segment_align: 8
    .kernarg_segment_size: 40
    .language:       OpenCL C
    .language_version:
      - 2
      - 0
    .max_flat_workgroup_size: 128
    .name:           _ZN7rocprim17ROCPRIM_400000_NS6detail17trampoline_kernelINS0_14default_configENS1_25transform_config_selectorIN6thrust23THRUST_200600_302600_NS5tupleIffNS6_9null_typeES8_S8_S8_S8_S8_S8_S8_EELb0EEEZNS1_14transform_implILb0ES3_SA_PS9_NS6_6detail15normal_iteratorINS6_10device_ptrIS9_EEEENS0_8identityIS9_EEEE10hipError_tT2_T3_mT4_P12ihipStream_tbEUlT_E_NS1_11comp_targetILNS1_3genE0ELNS1_11target_archE4294967295ELNS1_3gpuE0ELNS1_3repE0EEENS1_30default_config_static_selectorELNS0_4arch9wavefront6targetE0EEEvT1_
    .private_segment_fixed_size: 0
    .sgpr_count:     0
    .sgpr_spill_count: 0
    .symbol:         _ZN7rocprim17ROCPRIM_400000_NS6detail17trampoline_kernelINS0_14default_configENS1_25transform_config_selectorIN6thrust23THRUST_200600_302600_NS5tupleIffNS6_9null_typeES8_S8_S8_S8_S8_S8_S8_EELb0EEEZNS1_14transform_implILb0ES3_SA_PS9_NS6_6detail15normal_iteratorINS6_10device_ptrIS9_EEEENS0_8identityIS9_EEEE10hipError_tT2_T3_mT4_P12ihipStream_tbEUlT_E_NS1_11comp_targetILNS1_3genE0ELNS1_11target_archE4294967295ELNS1_3gpuE0ELNS1_3repE0EEENS1_30default_config_static_selectorELNS0_4arch9wavefront6targetE0EEEvT1_.kd
    .uniform_work_group_size: 1
    .uses_dynamic_stack: false
    .vgpr_count:     0
    .vgpr_spill_count: 0
    .wavefront_size: 32
    .workgroup_processor_mode: 1
  - .args:
      - .offset:         0
        .size:           40
        .value_kind:     by_value
    .group_segment_fixed_size: 0
    .kernarg_segment_align: 8
    .kernarg_segment_size: 40
    .language:       OpenCL C
    .language_version:
      - 2
      - 0
    .max_flat_workgroup_size: 512
    .name:           _ZN7rocprim17ROCPRIM_400000_NS6detail17trampoline_kernelINS0_14default_configENS1_25transform_config_selectorIN6thrust23THRUST_200600_302600_NS5tupleIffNS6_9null_typeES8_S8_S8_S8_S8_S8_S8_EELb0EEEZNS1_14transform_implILb0ES3_SA_PS9_NS6_6detail15normal_iteratorINS6_10device_ptrIS9_EEEENS0_8identityIS9_EEEE10hipError_tT2_T3_mT4_P12ihipStream_tbEUlT_E_NS1_11comp_targetILNS1_3genE5ELNS1_11target_archE942ELNS1_3gpuE9ELNS1_3repE0EEENS1_30default_config_static_selectorELNS0_4arch9wavefront6targetE0EEEvT1_
    .private_segment_fixed_size: 0
    .sgpr_count:     0
    .sgpr_spill_count: 0
    .symbol:         _ZN7rocprim17ROCPRIM_400000_NS6detail17trampoline_kernelINS0_14default_configENS1_25transform_config_selectorIN6thrust23THRUST_200600_302600_NS5tupleIffNS6_9null_typeES8_S8_S8_S8_S8_S8_S8_EELb0EEEZNS1_14transform_implILb0ES3_SA_PS9_NS6_6detail15normal_iteratorINS6_10device_ptrIS9_EEEENS0_8identityIS9_EEEE10hipError_tT2_T3_mT4_P12ihipStream_tbEUlT_E_NS1_11comp_targetILNS1_3genE5ELNS1_11target_archE942ELNS1_3gpuE9ELNS1_3repE0EEENS1_30default_config_static_selectorELNS0_4arch9wavefront6targetE0EEEvT1_.kd
    .uniform_work_group_size: 1
    .uses_dynamic_stack: false
    .vgpr_count:     0
    .vgpr_spill_count: 0
    .wavefront_size: 32
    .workgroup_processor_mode: 1
  - .args:
      - .offset:         0
        .size:           40
        .value_kind:     by_value
    .group_segment_fixed_size: 0
    .kernarg_segment_align: 8
    .kernarg_segment_size: 40
    .language:       OpenCL C
    .language_version:
      - 2
      - 0
    .max_flat_workgroup_size: 256
    .name:           _ZN7rocprim17ROCPRIM_400000_NS6detail17trampoline_kernelINS0_14default_configENS1_25transform_config_selectorIN6thrust23THRUST_200600_302600_NS5tupleIffNS6_9null_typeES8_S8_S8_S8_S8_S8_S8_EELb0EEEZNS1_14transform_implILb0ES3_SA_PS9_NS6_6detail15normal_iteratorINS6_10device_ptrIS9_EEEENS0_8identityIS9_EEEE10hipError_tT2_T3_mT4_P12ihipStream_tbEUlT_E_NS1_11comp_targetILNS1_3genE4ELNS1_11target_archE910ELNS1_3gpuE8ELNS1_3repE0EEENS1_30default_config_static_selectorELNS0_4arch9wavefront6targetE0EEEvT1_
    .private_segment_fixed_size: 0
    .sgpr_count:     0
    .sgpr_spill_count: 0
    .symbol:         _ZN7rocprim17ROCPRIM_400000_NS6detail17trampoline_kernelINS0_14default_configENS1_25transform_config_selectorIN6thrust23THRUST_200600_302600_NS5tupleIffNS6_9null_typeES8_S8_S8_S8_S8_S8_S8_EELb0EEEZNS1_14transform_implILb0ES3_SA_PS9_NS6_6detail15normal_iteratorINS6_10device_ptrIS9_EEEENS0_8identityIS9_EEEE10hipError_tT2_T3_mT4_P12ihipStream_tbEUlT_E_NS1_11comp_targetILNS1_3genE4ELNS1_11target_archE910ELNS1_3gpuE8ELNS1_3repE0EEENS1_30default_config_static_selectorELNS0_4arch9wavefront6targetE0EEEvT1_.kd
    .uniform_work_group_size: 1
    .uses_dynamic_stack: false
    .vgpr_count:     0
    .vgpr_spill_count: 0
    .wavefront_size: 32
    .workgroup_processor_mode: 1
  - .args:
      - .offset:         0
        .size:           40
        .value_kind:     by_value
    .group_segment_fixed_size: 0
    .kernarg_segment_align: 8
    .kernarg_segment_size: 40
    .language:       OpenCL C
    .language_version:
      - 2
      - 0
    .max_flat_workgroup_size: 128
    .name:           _ZN7rocprim17ROCPRIM_400000_NS6detail17trampoline_kernelINS0_14default_configENS1_25transform_config_selectorIN6thrust23THRUST_200600_302600_NS5tupleIffNS6_9null_typeES8_S8_S8_S8_S8_S8_S8_EELb0EEEZNS1_14transform_implILb0ES3_SA_PS9_NS6_6detail15normal_iteratorINS6_10device_ptrIS9_EEEENS0_8identityIS9_EEEE10hipError_tT2_T3_mT4_P12ihipStream_tbEUlT_E_NS1_11comp_targetILNS1_3genE3ELNS1_11target_archE908ELNS1_3gpuE7ELNS1_3repE0EEENS1_30default_config_static_selectorELNS0_4arch9wavefront6targetE0EEEvT1_
    .private_segment_fixed_size: 0
    .sgpr_count:     0
    .sgpr_spill_count: 0
    .symbol:         _ZN7rocprim17ROCPRIM_400000_NS6detail17trampoline_kernelINS0_14default_configENS1_25transform_config_selectorIN6thrust23THRUST_200600_302600_NS5tupleIffNS6_9null_typeES8_S8_S8_S8_S8_S8_S8_EELb0EEEZNS1_14transform_implILb0ES3_SA_PS9_NS6_6detail15normal_iteratorINS6_10device_ptrIS9_EEEENS0_8identityIS9_EEEE10hipError_tT2_T3_mT4_P12ihipStream_tbEUlT_E_NS1_11comp_targetILNS1_3genE3ELNS1_11target_archE908ELNS1_3gpuE7ELNS1_3repE0EEENS1_30default_config_static_selectorELNS0_4arch9wavefront6targetE0EEEvT1_.kd
    .uniform_work_group_size: 1
    .uses_dynamic_stack: false
    .vgpr_count:     0
    .vgpr_spill_count: 0
    .wavefront_size: 32
    .workgroup_processor_mode: 1
  - .args:
      - .offset:         0
        .size:           40
        .value_kind:     by_value
    .group_segment_fixed_size: 0
    .kernarg_segment_align: 8
    .kernarg_segment_size: 40
    .language:       OpenCL C
    .language_version:
      - 2
      - 0
    .max_flat_workgroup_size: 512
    .name:           _ZN7rocprim17ROCPRIM_400000_NS6detail17trampoline_kernelINS0_14default_configENS1_25transform_config_selectorIN6thrust23THRUST_200600_302600_NS5tupleIffNS6_9null_typeES8_S8_S8_S8_S8_S8_S8_EELb0EEEZNS1_14transform_implILb0ES3_SA_PS9_NS6_6detail15normal_iteratorINS6_10device_ptrIS9_EEEENS0_8identityIS9_EEEE10hipError_tT2_T3_mT4_P12ihipStream_tbEUlT_E_NS1_11comp_targetILNS1_3genE2ELNS1_11target_archE906ELNS1_3gpuE6ELNS1_3repE0EEENS1_30default_config_static_selectorELNS0_4arch9wavefront6targetE0EEEvT1_
    .private_segment_fixed_size: 0
    .sgpr_count:     0
    .sgpr_spill_count: 0
    .symbol:         _ZN7rocprim17ROCPRIM_400000_NS6detail17trampoline_kernelINS0_14default_configENS1_25transform_config_selectorIN6thrust23THRUST_200600_302600_NS5tupleIffNS6_9null_typeES8_S8_S8_S8_S8_S8_S8_EELb0EEEZNS1_14transform_implILb0ES3_SA_PS9_NS6_6detail15normal_iteratorINS6_10device_ptrIS9_EEEENS0_8identityIS9_EEEE10hipError_tT2_T3_mT4_P12ihipStream_tbEUlT_E_NS1_11comp_targetILNS1_3genE2ELNS1_11target_archE906ELNS1_3gpuE6ELNS1_3repE0EEENS1_30default_config_static_selectorELNS0_4arch9wavefront6targetE0EEEvT1_.kd
    .uniform_work_group_size: 1
    .uses_dynamic_stack: false
    .vgpr_count:     0
    .vgpr_spill_count: 0
    .wavefront_size: 32
    .workgroup_processor_mode: 1
  - .args:
      - .offset:         0
        .size:           40
        .value_kind:     by_value
    .group_segment_fixed_size: 0
    .kernarg_segment_align: 8
    .kernarg_segment_size: 40
    .language:       OpenCL C
    .language_version:
      - 2
      - 0
    .max_flat_workgroup_size: 1024
    .name:           _ZN7rocprim17ROCPRIM_400000_NS6detail17trampoline_kernelINS0_14default_configENS1_25transform_config_selectorIN6thrust23THRUST_200600_302600_NS5tupleIffNS6_9null_typeES8_S8_S8_S8_S8_S8_S8_EELb0EEEZNS1_14transform_implILb0ES3_SA_PS9_NS6_6detail15normal_iteratorINS6_10device_ptrIS9_EEEENS0_8identityIS9_EEEE10hipError_tT2_T3_mT4_P12ihipStream_tbEUlT_E_NS1_11comp_targetILNS1_3genE10ELNS1_11target_archE1201ELNS1_3gpuE5ELNS1_3repE0EEENS1_30default_config_static_selectorELNS0_4arch9wavefront6targetE0EEEvT1_
    .private_segment_fixed_size: 0
    .sgpr_count:     0
    .sgpr_spill_count: 0
    .symbol:         _ZN7rocprim17ROCPRIM_400000_NS6detail17trampoline_kernelINS0_14default_configENS1_25transform_config_selectorIN6thrust23THRUST_200600_302600_NS5tupleIffNS6_9null_typeES8_S8_S8_S8_S8_S8_S8_EELb0EEEZNS1_14transform_implILb0ES3_SA_PS9_NS6_6detail15normal_iteratorINS6_10device_ptrIS9_EEEENS0_8identityIS9_EEEE10hipError_tT2_T3_mT4_P12ihipStream_tbEUlT_E_NS1_11comp_targetILNS1_3genE10ELNS1_11target_archE1201ELNS1_3gpuE5ELNS1_3repE0EEENS1_30default_config_static_selectorELNS0_4arch9wavefront6targetE0EEEvT1_.kd
    .uniform_work_group_size: 1
    .uses_dynamic_stack: false
    .vgpr_count:     0
    .vgpr_spill_count: 0
    .wavefront_size: 32
    .workgroup_processor_mode: 1
  - .args:
      - .offset:         0
        .size:           40
        .value_kind:     by_value
    .group_segment_fixed_size: 0
    .kernarg_segment_align: 8
    .kernarg_segment_size: 40
    .language:       OpenCL C
    .language_version:
      - 2
      - 0
    .max_flat_workgroup_size: 512
    .name:           _ZN7rocprim17ROCPRIM_400000_NS6detail17trampoline_kernelINS0_14default_configENS1_25transform_config_selectorIN6thrust23THRUST_200600_302600_NS5tupleIffNS6_9null_typeES8_S8_S8_S8_S8_S8_S8_EELb0EEEZNS1_14transform_implILb0ES3_SA_PS9_NS6_6detail15normal_iteratorINS6_10device_ptrIS9_EEEENS0_8identityIS9_EEEE10hipError_tT2_T3_mT4_P12ihipStream_tbEUlT_E_NS1_11comp_targetILNS1_3genE10ELNS1_11target_archE1200ELNS1_3gpuE4ELNS1_3repE0EEENS1_30default_config_static_selectorELNS0_4arch9wavefront6targetE0EEEvT1_
    .private_segment_fixed_size: 0
    .sgpr_count:     0
    .sgpr_spill_count: 0
    .symbol:         _ZN7rocprim17ROCPRIM_400000_NS6detail17trampoline_kernelINS0_14default_configENS1_25transform_config_selectorIN6thrust23THRUST_200600_302600_NS5tupleIffNS6_9null_typeES8_S8_S8_S8_S8_S8_S8_EELb0EEEZNS1_14transform_implILb0ES3_SA_PS9_NS6_6detail15normal_iteratorINS6_10device_ptrIS9_EEEENS0_8identityIS9_EEEE10hipError_tT2_T3_mT4_P12ihipStream_tbEUlT_E_NS1_11comp_targetILNS1_3genE10ELNS1_11target_archE1200ELNS1_3gpuE4ELNS1_3repE0EEENS1_30default_config_static_selectorELNS0_4arch9wavefront6targetE0EEEvT1_.kd
    .uniform_work_group_size: 1
    .uses_dynamic_stack: false
    .vgpr_count:     0
    .vgpr_spill_count: 0
    .wavefront_size: 32
    .workgroup_processor_mode: 1
  - .args:
      - .offset:         0
        .size:           40
        .value_kind:     by_value
    .group_segment_fixed_size: 0
    .kernarg_segment_align: 8
    .kernarg_segment_size: 40
    .language:       OpenCL C
    .language_version:
      - 2
      - 0
    .max_flat_workgroup_size: 512
    .name:           _ZN7rocprim17ROCPRIM_400000_NS6detail17trampoline_kernelINS0_14default_configENS1_25transform_config_selectorIN6thrust23THRUST_200600_302600_NS5tupleIffNS6_9null_typeES8_S8_S8_S8_S8_S8_S8_EELb0EEEZNS1_14transform_implILb0ES3_SA_PS9_NS6_6detail15normal_iteratorINS6_10device_ptrIS9_EEEENS0_8identityIS9_EEEE10hipError_tT2_T3_mT4_P12ihipStream_tbEUlT_E_NS1_11comp_targetILNS1_3genE9ELNS1_11target_archE1100ELNS1_3gpuE3ELNS1_3repE0EEENS1_30default_config_static_selectorELNS0_4arch9wavefront6targetE0EEEvT1_
    .private_segment_fixed_size: 0
    .sgpr_count:     0
    .sgpr_spill_count: 0
    .symbol:         _ZN7rocprim17ROCPRIM_400000_NS6detail17trampoline_kernelINS0_14default_configENS1_25transform_config_selectorIN6thrust23THRUST_200600_302600_NS5tupleIffNS6_9null_typeES8_S8_S8_S8_S8_S8_S8_EELb0EEEZNS1_14transform_implILb0ES3_SA_PS9_NS6_6detail15normal_iteratorINS6_10device_ptrIS9_EEEENS0_8identityIS9_EEEE10hipError_tT2_T3_mT4_P12ihipStream_tbEUlT_E_NS1_11comp_targetILNS1_3genE9ELNS1_11target_archE1100ELNS1_3gpuE3ELNS1_3repE0EEENS1_30default_config_static_selectorELNS0_4arch9wavefront6targetE0EEEvT1_.kd
    .uniform_work_group_size: 1
    .uses_dynamic_stack: false
    .vgpr_count:     0
    .vgpr_spill_count: 0
    .wavefront_size: 32
    .workgroup_processor_mode: 1
  - .args:
      - .offset:         0
        .size:           40
        .value_kind:     by_value
      - .offset:         40
        .size:           4
        .value_kind:     hidden_block_count_x
      - .offset:         44
        .size:           4
        .value_kind:     hidden_block_count_y
      - .offset:         48
        .size:           4
        .value_kind:     hidden_block_count_z
      - .offset:         52
        .size:           2
        .value_kind:     hidden_group_size_x
      - .offset:         54
        .size:           2
        .value_kind:     hidden_group_size_y
      - .offset:         56
        .size:           2
        .value_kind:     hidden_group_size_z
      - .offset:         58
        .size:           2
        .value_kind:     hidden_remainder_x
      - .offset:         60
        .size:           2
        .value_kind:     hidden_remainder_y
      - .offset:         62
        .size:           2
        .value_kind:     hidden_remainder_z
      - .offset:         80
        .size:           8
        .value_kind:     hidden_global_offset_x
      - .offset:         88
        .size:           8
        .value_kind:     hidden_global_offset_y
      - .offset:         96
        .size:           8
        .value_kind:     hidden_global_offset_z
      - .offset:         104
        .size:           2
        .value_kind:     hidden_grid_dims
    .group_segment_fixed_size: 0
    .kernarg_segment_align: 8
    .kernarg_segment_size: 296
    .language:       OpenCL C
    .language_version:
      - 2
      - 0
    .max_flat_workgroup_size: 512
    .name:           _ZN7rocprim17ROCPRIM_400000_NS6detail17trampoline_kernelINS0_14default_configENS1_25transform_config_selectorIN6thrust23THRUST_200600_302600_NS5tupleIffNS6_9null_typeES8_S8_S8_S8_S8_S8_S8_EELb0EEEZNS1_14transform_implILb0ES3_SA_PS9_NS6_6detail15normal_iteratorINS6_10device_ptrIS9_EEEENS0_8identityIS9_EEEE10hipError_tT2_T3_mT4_P12ihipStream_tbEUlT_E_NS1_11comp_targetILNS1_3genE8ELNS1_11target_archE1030ELNS1_3gpuE2ELNS1_3repE0EEENS1_30default_config_static_selectorELNS0_4arch9wavefront6targetE0EEEvT1_
    .private_segment_fixed_size: 0
    .sgpr_count:     18
    .sgpr_spill_count: 0
    .symbol:         _ZN7rocprim17ROCPRIM_400000_NS6detail17trampoline_kernelINS0_14default_configENS1_25transform_config_selectorIN6thrust23THRUST_200600_302600_NS5tupleIffNS6_9null_typeES8_S8_S8_S8_S8_S8_S8_EELb0EEEZNS1_14transform_implILb0ES3_SA_PS9_NS6_6detail15normal_iteratorINS6_10device_ptrIS9_EEEENS0_8identityIS9_EEEE10hipError_tT2_T3_mT4_P12ihipStream_tbEUlT_E_NS1_11comp_targetILNS1_3genE8ELNS1_11target_archE1030ELNS1_3gpuE2ELNS1_3repE0EEENS1_30default_config_static_selectorELNS0_4arch9wavefront6targetE0EEEvT1_.kd
    .uniform_work_group_size: 1
    .uses_dynamic_stack: false
    .vgpr_count:     10
    .vgpr_spill_count: 0
    .wavefront_size: 32
    .workgroup_processor_mode: 1
  - .args:
      - .offset:         0
        .size:           40
        .value_kind:     by_value
    .group_segment_fixed_size: 0
    .kernarg_segment_align: 8
    .kernarg_segment_size: 40
    .language:       OpenCL C
    .language_version:
      - 2
      - 0
    .max_flat_workgroup_size: 128
    .name:           _ZN7rocprim17ROCPRIM_400000_NS6detail17trampoline_kernelINS0_14default_configENS1_38merge_sort_block_merge_config_selectorIjN6thrust23THRUST_200600_302600_NS5tupleIffNS6_9null_typeES8_S8_S8_S8_S8_S8_S8_EEEEZZNS1_27merge_sort_block_merge_implIS3_NS6_6detail15normal_iteratorINS6_10device_ptrIjEEEENSD_INSE_IS9_EEEEjNS1_19radix_merge_compareILb0ELb1EjNS0_19identity_decomposerEEEEE10hipError_tT0_T1_T2_jT3_P12ihipStream_tbPNSt15iterator_traitsISN_E10value_typeEPNST_ISO_E10value_typeEPSP_NS1_7vsmem_tEENKUlT_SN_SO_SP_E_clIPjSG_PS9_SI_EESM_S12_SN_SO_SP_EUlS12_E_NS1_11comp_targetILNS1_3genE0ELNS1_11target_archE4294967295ELNS1_3gpuE0ELNS1_3repE0EEENS1_48merge_mergepath_partition_config_static_selectorELNS0_4arch9wavefront6targetE0EEEvSO_
    .private_segment_fixed_size: 0
    .sgpr_count:     0
    .sgpr_spill_count: 0
    .symbol:         _ZN7rocprim17ROCPRIM_400000_NS6detail17trampoline_kernelINS0_14default_configENS1_38merge_sort_block_merge_config_selectorIjN6thrust23THRUST_200600_302600_NS5tupleIffNS6_9null_typeES8_S8_S8_S8_S8_S8_S8_EEEEZZNS1_27merge_sort_block_merge_implIS3_NS6_6detail15normal_iteratorINS6_10device_ptrIjEEEENSD_INSE_IS9_EEEEjNS1_19radix_merge_compareILb0ELb1EjNS0_19identity_decomposerEEEEE10hipError_tT0_T1_T2_jT3_P12ihipStream_tbPNSt15iterator_traitsISN_E10value_typeEPNST_ISO_E10value_typeEPSP_NS1_7vsmem_tEENKUlT_SN_SO_SP_E_clIPjSG_PS9_SI_EESM_S12_SN_SO_SP_EUlS12_E_NS1_11comp_targetILNS1_3genE0ELNS1_11target_archE4294967295ELNS1_3gpuE0ELNS1_3repE0EEENS1_48merge_mergepath_partition_config_static_selectorELNS0_4arch9wavefront6targetE0EEEvSO_.kd
    .uniform_work_group_size: 1
    .uses_dynamic_stack: false
    .vgpr_count:     0
    .vgpr_spill_count: 0
    .wavefront_size: 32
    .workgroup_processor_mode: 1
  - .args:
      - .offset:         0
        .size:           40
        .value_kind:     by_value
    .group_segment_fixed_size: 0
    .kernarg_segment_align: 8
    .kernarg_segment_size: 40
    .language:       OpenCL C
    .language_version:
      - 2
      - 0
    .max_flat_workgroup_size: 128
    .name:           _ZN7rocprim17ROCPRIM_400000_NS6detail17trampoline_kernelINS0_14default_configENS1_38merge_sort_block_merge_config_selectorIjN6thrust23THRUST_200600_302600_NS5tupleIffNS6_9null_typeES8_S8_S8_S8_S8_S8_S8_EEEEZZNS1_27merge_sort_block_merge_implIS3_NS6_6detail15normal_iteratorINS6_10device_ptrIjEEEENSD_INSE_IS9_EEEEjNS1_19radix_merge_compareILb0ELb1EjNS0_19identity_decomposerEEEEE10hipError_tT0_T1_T2_jT3_P12ihipStream_tbPNSt15iterator_traitsISN_E10value_typeEPNST_ISO_E10value_typeEPSP_NS1_7vsmem_tEENKUlT_SN_SO_SP_E_clIPjSG_PS9_SI_EESM_S12_SN_SO_SP_EUlS12_E_NS1_11comp_targetILNS1_3genE10ELNS1_11target_archE1201ELNS1_3gpuE5ELNS1_3repE0EEENS1_48merge_mergepath_partition_config_static_selectorELNS0_4arch9wavefront6targetE0EEEvSO_
    .private_segment_fixed_size: 0
    .sgpr_count:     0
    .sgpr_spill_count: 0
    .symbol:         _ZN7rocprim17ROCPRIM_400000_NS6detail17trampoline_kernelINS0_14default_configENS1_38merge_sort_block_merge_config_selectorIjN6thrust23THRUST_200600_302600_NS5tupleIffNS6_9null_typeES8_S8_S8_S8_S8_S8_S8_EEEEZZNS1_27merge_sort_block_merge_implIS3_NS6_6detail15normal_iteratorINS6_10device_ptrIjEEEENSD_INSE_IS9_EEEEjNS1_19radix_merge_compareILb0ELb1EjNS0_19identity_decomposerEEEEE10hipError_tT0_T1_T2_jT3_P12ihipStream_tbPNSt15iterator_traitsISN_E10value_typeEPNST_ISO_E10value_typeEPSP_NS1_7vsmem_tEENKUlT_SN_SO_SP_E_clIPjSG_PS9_SI_EESM_S12_SN_SO_SP_EUlS12_E_NS1_11comp_targetILNS1_3genE10ELNS1_11target_archE1201ELNS1_3gpuE5ELNS1_3repE0EEENS1_48merge_mergepath_partition_config_static_selectorELNS0_4arch9wavefront6targetE0EEEvSO_.kd
    .uniform_work_group_size: 1
    .uses_dynamic_stack: false
    .vgpr_count:     0
    .vgpr_spill_count: 0
    .wavefront_size: 32
    .workgroup_processor_mode: 1
  - .args:
      - .offset:         0
        .size:           40
        .value_kind:     by_value
    .group_segment_fixed_size: 0
    .kernarg_segment_align: 8
    .kernarg_segment_size: 40
    .language:       OpenCL C
    .language_version:
      - 2
      - 0
    .max_flat_workgroup_size: 128
    .name:           _ZN7rocprim17ROCPRIM_400000_NS6detail17trampoline_kernelINS0_14default_configENS1_38merge_sort_block_merge_config_selectorIjN6thrust23THRUST_200600_302600_NS5tupleIffNS6_9null_typeES8_S8_S8_S8_S8_S8_S8_EEEEZZNS1_27merge_sort_block_merge_implIS3_NS6_6detail15normal_iteratorINS6_10device_ptrIjEEEENSD_INSE_IS9_EEEEjNS1_19radix_merge_compareILb0ELb1EjNS0_19identity_decomposerEEEEE10hipError_tT0_T1_T2_jT3_P12ihipStream_tbPNSt15iterator_traitsISN_E10value_typeEPNST_ISO_E10value_typeEPSP_NS1_7vsmem_tEENKUlT_SN_SO_SP_E_clIPjSG_PS9_SI_EESM_S12_SN_SO_SP_EUlS12_E_NS1_11comp_targetILNS1_3genE5ELNS1_11target_archE942ELNS1_3gpuE9ELNS1_3repE0EEENS1_48merge_mergepath_partition_config_static_selectorELNS0_4arch9wavefront6targetE0EEEvSO_
    .private_segment_fixed_size: 0
    .sgpr_count:     0
    .sgpr_spill_count: 0
    .symbol:         _ZN7rocprim17ROCPRIM_400000_NS6detail17trampoline_kernelINS0_14default_configENS1_38merge_sort_block_merge_config_selectorIjN6thrust23THRUST_200600_302600_NS5tupleIffNS6_9null_typeES8_S8_S8_S8_S8_S8_S8_EEEEZZNS1_27merge_sort_block_merge_implIS3_NS6_6detail15normal_iteratorINS6_10device_ptrIjEEEENSD_INSE_IS9_EEEEjNS1_19radix_merge_compareILb0ELb1EjNS0_19identity_decomposerEEEEE10hipError_tT0_T1_T2_jT3_P12ihipStream_tbPNSt15iterator_traitsISN_E10value_typeEPNST_ISO_E10value_typeEPSP_NS1_7vsmem_tEENKUlT_SN_SO_SP_E_clIPjSG_PS9_SI_EESM_S12_SN_SO_SP_EUlS12_E_NS1_11comp_targetILNS1_3genE5ELNS1_11target_archE942ELNS1_3gpuE9ELNS1_3repE0EEENS1_48merge_mergepath_partition_config_static_selectorELNS0_4arch9wavefront6targetE0EEEvSO_.kd
    .uniform_work_group_size: 1
    .uses_dynamic_stack: false
    .vgpr_count:     0
    .vgpr_spill_count: 0
    .wavefront_size: 32
    .workgroup_processor_mode: 1
  - .args:
      - .offset:         0
        .size:           40
        .value_kind:     by_value
    .group_segment_fixed_size: 0
    .kernarg_segment_align: 8
    .kernarg_segment_size: 40
    .language:       OpenCL C
    .language_version:
      - 2
      - 0
    .max_flat_workgroup_size: 128
    .name:           _ZN7rocprim17ROCPRIM_400000_NS6detail17trampoline_kernelINS0_14default_configENS1_38merge_sort_block_merge_config_selectorIjN6thrust23THRUST_200600_302600_NS5tupleIffNS6_9null_typeES8_S8_S8_S8_S8_S8_S8_EEEEZZNS1_27merge_sort_block_merge_implIS3_NS6_6detail15normal_iteratorINS6_10device_ptrIjEEEENSD_INSE_IS9_EEEEjNS1_19radix_merge_compareILb0ELb1EjNS0_19identity_decomposerEEEEE10hipError_tT0_T1_T2_jT3_P12ihipStream_tbPNSt15iterator_traitsISN_E10value_typeEPNST_ISO_E10value_typeEPSP_NS1_7vsmem_tEENKUlT_SN_SO_SP_E_clIPjSG_PS9_SI_EESM_S12_SN_SO_SP_EUlS12_E_NS1_11comp_targetILNS1_3genE4ELNS1_11target_archE910ELNS1_3gpuE8ELNS1_3repE0EEENS1_48merge_mergepath_partition_config_static_selectorELNS0_4arch9wavefront6targetE0EEEvSO_
    .private_segment_fixed_size: 0
    .sgpr_count:     0
    .sgpr_spill_count: 0
    .symbol:         _ZN7rocprim17ROCPRIM_400000_NS6detail17trampoline_kernelINS0_14default_configENS1_38merge_sort_block_merge_config_selectorIjN6thrust23THRUST_200600_302600_NS5tupleIffNS6_9null_typeES8_S8_S8_S8_S8_S8_S8_EEEEZZNS1_27merge_sort_block_merge_implIS3_NS6_6detail15normal_iteratorINS6_10device_ptrIjEEEENSD_INSE_IS9_EEEEjNS1_19radix_merge_compareILb0ELb1EjNS0_19identity_decomposerEEEEE10hipError_tT0_T1_T2_jT3_P12ihipStream_tbPNSt15iterator_traitsISN_E10value_typeEPNST_ISO_E10value_typeEPSP_NS1_7vsmem_tEENKUlT_SN_SO_SP_E_clIPjSG_PS9_SI_EESM_S12_SN_SO_SP_EUlS12_E_NS1_11comp_targetILNS1_3genE4ELNS1_11target_archE910ELNS1_3gpuE8ELNS1_3repE0EEENS1_48merge_mergepath_partition_config_static_selectorELNS0_4arch9wavefront6targetE0EEEvSO_.kd
    .uniform_work_group_size: 1
    .uses_dynamic_stack: false
    .vgpr_count:     0
    .vgpr_spill_count: 0
    .wavefront_size: 32
    .workgroup_processor_mode: 1
  - .args:
      - .offset:         0
        .size:           40
        .value_kind:     by_value
    .group_segment_fixed_size: 0
    .kernarg_segment_align: 8
    .kernarg_segment_size: 40
    .language:       OpenCL C
    .language_version:
      - 2
      - 0
    .max_flat_workgroup_size: 128
    .name:           _ZN7rocprim17ROCPRIM_400000_NS6detail17trampoline_kernelINS0_14default_configENS1_38merge_sort_block_merge_config_selectorIjN6thrust23THRUST_200600_302600_NS5tupleIffNS6_9null_typeES8_S8_S8_S8_S8_S8_S8_EEEEZZNS1_27merge_sort_block_merge_implIS3_NS6_6detail15normal_iteratorINS6_10device_ptrIjEEEENSD_INSE_IS9_EEEEjNS1_19radix_merge_compareILb0ELb1EjNS0_19identity_decomposerEEEEE10hipError_tT0_T1_T2_jT3_P12ihipStream_tbPNSt15iterator_traitsISN_E10value_typeEPNST_ISO_E10value_typeEPSP_NS1_7vsmem_tEENKUlT_SN_SO_SP_E_clIPjSG_PS9_SI_EESM_S12_SN_SO_SP_EUlS12_E_NS1_11comp_targetILNS1_3genE3ELNS1_11target_archE908ELNS1_3gpuE7ELNS1_3repE0EEENS1_48merge_mergepath_partition_config_static_selectorELNS0_4arch9wavefront6targetE0EEEvSO_
    .private_segment_fixed_size: 0
    .sgpr_count:     0
    .sgpr_spill_count: 0
    .symbol:         _ZN7rocprim17ROCPRIM_400000_NS6detail17trampoline_kernelINS0_14default_configENS1_38merge_sort_block_merge_config_selectorIjN6thrust23THRUST_200600_302600_NS5tupleIffNS6_9null_typeES8_S8_S8_S8_S8_S8_S8_EEEEZZNS1_27merge_sort_block_merge_implIS3_NS6_6detail15normal_iteratorINS6_10device_ptrIjEEEENSD_INSE_IS9_EEEEjNS1_19radix_merge_compareILb0ELb1EjNS0_19identity_decomposerEEEEE10hipError_tT0_T1_T2_jT3_P12ihipStream_tbPNSt15iterator_traitsISN_E10value_typeEPNST_ISO_E10value_typeEPSP_NS1_7vsmem_tEENKUlT_SN_SO_SP_E_clIPjSG_PS9_SI_EESM_S12_SN_SO_SP_EUlS12_E_NS1_11comp_targetILNS1_3genE3ELNS1_11target_archE908ELNS1_3gpuE7ELNS1_3repE0EEENS1_48merge_mergepath_partition_config_static_selectorELNS0_4arch9wavefront6targetE0EEEvSO_.kd
    .uniform_work_group_size: 1
    .uses_dynamic_stack: false
    .vgpr_count:     0
    .vgpr_spill_count: 0
    .wavefront_size: 32
    .workgroup_processor_mode: 1
  - .args:
      - .offset:         0
        .size:           40
        .value_kind:     by_value
    .group_segment_fixed_size: 0
    .kernarg_segment_align: 8
    .kernarg_segment_size: 40
    .language:       OpenCL C
    .language_version:
      - 2
      - 0
    .max_flat_workgroup_size: 128
    .name:           _ZN7rocprim17ROCPRIM_400000_NS6detail17trampoline_kernelINS0_14default_configENS1_38merge_sort_block_merge_config_selectorIjN6thrust23THRUST_200600_302600_NS5tupleIffNS6_9null_typeES8_S8_S8_S8_S8_S8_S8_EEEEZZNS1_27merge_sort_block_merge_implIS3_NS6_6detail15normal_iteratorINS6_10device_ptrIjEEEENSD_INSE_IS9_EEEEjNS1_19radix_merge_compareILb0ELb1EjNS0_19identity_decomposerEEEEE10hipError_tT0_T1_T2_jT3_P12ihipStream_tbPNSt15iterator_traitsISN_E10value_typeEPNST_ISO_E10value_typeEPSP_NS1_7vsmem_tEENKUlT_SN_SO_SP_E_clIPjSG_PS9_SI_EESM_S12_SN_SO_SP_EUlS12_E_NS1_11comp_targetILNS1_3genE2ELNS1_11target_archE906ELNS1_3gpuE6ELNS1_3repE0EEENS1_48merge_mergepath_partition_config_static_selectorELNS0_4arch9wavefront6targetE0EEEvSO_
    .private_segment_fixed_size: 0
    .sgpr_count:     0
    .sgpr_spill_count: 0
    .symbol:         _ZN7rocprim17ROCPRIM_400000_NS6detail17trampoline_kernelINS0_14default_configENS1_38merge_sort_block_merge_config_selectorIjN6thrust23THRUST_200600_302600_NS5tupleIffNS6_9null_typeES8_S8_S8_S8_S8_S8_S8_EEEEZZNS1_27merge_sort_block_merge_implIS3_NS6_6detail15normal_iteratorINS6_10device_ptrIjEEEENSD_INSE_IS9_EEEEjNS1_19radix_merge_compareILb0ELb1EjNS0_19identity_decomposerEEEEE10hipError_tT0_T1_T2_jT3_P12ihipStream_tbPNSt15iterator_traitsISN_E10value_typeEPNST_ISO_E10value_typeEPSP_NS1_7vsmem_tEENKUlT_SN_SO_SP_E_clIPjSG_PS9_SI_EESM_S12_SN_SO_SP_EUlS12_E_NS1_11comp_targetILNS1_3genE2ELNS1_11target_archE906ELNS1_3gpuE6ELNS1_3repE0EEENS1_48merge_mergepath_partition_config_static_selectorELNS0_4arch9wavefront6targetE0EEEvSO_.kd
    .uniform_work_group_size: 1
    .uses_dynamic_stack: false
    .vgpr_count:     0
    .vgpr_spill_count: 0
    .wavefront_size: 32
    .workgroup_processor_mode: 1
  - .args:
      - .offset:         0
        .size:           40
        .value_kind:     by_value
    .group_segment_fixed_size: 0
    .kernarg_segment_align: 8
    .kernarg_segment_size: 40
    .language:       OpenCL C
    .language_version:
      - 2
      - 0
    .max_flat_workgroup_size: 128
    .name:           _ZN7rocprim17ROCPRIM_400000_NS6detail17trampoline_kernelINS0_14default_configENS1_38merge_sort_block_merge_config_selectorIjN6thrust23THRUST_200600_302600_NS5tupleIffNS6_9null_typeES8_S8_S8_S8_S8_S8_S8_EEEEZZNS1_27merge_sort_block_merge_implIS3_NS6_6detail15normal_iteratorINS6_10device_ptrIjEEEENSD_INSE_IS9_EEEEjNS1_19radix_merge_compareILb0ELb1EjNS0_19identity_decomposerEEEEE10hipError_tT0_T1_T2_jT3_P12ihipStream_tbPNSt15iterator_traitsISN_E10value_typeEPNST_ISO_E10value_typeEPSP_NS1_7vsmem_tEENKUlT_SN_SO_SP_E_clIPjSG_PS9_SI_EESM_S12_SN_SO_SP_EUlS12_E_NS1_11comp_targetILNS1_3genE9ELNS1_11target_archE1100ELNS1_3gpuE3ELNS1_3repE0EEENS1_48merge_mergepath_partition_config_static_selectorELNS0_4arch9wavefront6targetE0EEEvSO_
    .private_segment_fixed_size: 0
    .sgpr_count:     0
    .sgpr_spill_count: 0
    .symbol:         _ZN7rocprim17ROCPRIM_400000_NS6detail17trampoline_kernelINS0_14default_configENS1_38merge_sort_block_merge_config_selectorIjN6thrust23THRUST_200600_302600_NS5tupleIffNS6_9null_typeES8_S8_S8_S8_S8_S8_S8_EEEEZZNS1_27merge_sort_block_merge_implIS3_NS6_6detail15normal_iteratorINS6_10device_ptrIjEEEENSD_INSE_IS9_EEEEjNS1_19radix_merge_compareILb0ELb1EjNS0_19identity_decomposerEEEEE10hipError_tT0_T1_T2_jT3_P12ihipStream_tbPNSt15iterator_traitsISN_E10value_typeEPNST_ISO_E10value_typeEPSP_NS1_7vsmem_tEENKUlT_SN_SO_SP_E_clIPjSG_PS9_SI_EESM_S12_SN_SO_SP_EUlS12_E_NS1_11comp_targetILNS1_3genE9ELNS1_11target_archE1100ELNS1_3gpuE3ELNS1_3repE0EEENS1_48merge_mergepath_partition_config_static_selectorELNS0_4arch9wavefront6targetE0EEEvSO_.kd
    .uniform_work_group_size: 1
    .uses_dynamic_stack: false
    .vgpr_count:     0
    .vgpr_spill_count: 0
    .wavefront_size: 32
    .workgroup_processor_mode: 1
  - .args:
      - .offset:         0
        .size:           40
        .value_kind:     by_value
    .group_segment_fixed_size: 0
    .kernarg_segment_align: 8
    .kernarg_segment_size: 40
    .language:       OpenCL C
    .language_version:
      - 2
      - 0
    .max_flat_workgroup_size: 128
    .name:           _ZN7rocprim17ROCPRIM_400000_NS6detail17trampoline_kernelINS0_14default_configENS1_38merge_sort_block_merge_config_selectorIjN6thrust23THRUST_200600_302600_NS5tupleIffNS6_9null_typeES8_S8_S8_S8_S8_S8_S8_EEEEZZNS1_27merge_sort_block_merge_implIS3_NS6_6detail15normal_iteratorINS6_10device_ptrIjEEEENSD_INSE_IS9_EEEEjNS1_19radix_merge_compareILb0ELb1EjNS0_19identity_decomposerEEEEE10hipError_tT0_T1_T2_jT3_P12ihipStream_tbPNSt15iterator_traitsISN_E10value_typeEPNST_ISO_E10value_typeEPSP_NS1_7vsmem_tEENKUlT_SN_SO_SP_E_clIPjSG_PS9_SI_EESM_S12_SN_SO_SP_EUlS12_E_NS1_11comp_targetILNS1_3genE8ELNS1_11target_archE1030ELNS1_3gpuE2ELNS1_3repE0EEENS1_48merge_mergepath_partition_config_static_selectorELNS0_4arch9wavefront6targetE0EEEvSO_
    .private_segment_fixed_size: 0
    .sgpr_count:     10
    .sgpr_spill_count: 0
    .symbol:         _ZN7rocprim17ROCPRIM_400000_NS6detail17trampoline_kernelINS0_14default_configENS1_38merge_sort_block_merge_config_selectorIjN6thrust23THRUST_200600_302600_NS5tupleIffNS6_9null_typeES8_S8_S8_S8_S8_S8_S8_EEEEZZNS1_27merge_sort_block_merge_implIS3_NS6_6detail15normal_iteratorINS6_10device_ptrIjEEEENSD_INSE_IS9_EEEEjNS1_19radix_merge_compareILb0ELb1EjNS0_19identity_decomposerEEEEE10hipError_tT0_T1_T2_jT3_P12ihipStream_tbPNSt15iterator_traitsISN_E10value_typeEPNST_ISO_E10value_typeEPSP_NS1_7vsmem_tEENKUlT_SN_SO_SP_E_clIPjSG_PS9_SI_EESM_S12_SN_SO_SP_EUlS12_E_NS1_11comp_targetILNS1_3genE8ELNS1_11target_archE1030ELNS1_3gpuE2ELNS1_3repE0EEENS1_48merge_mergepath_partition_config_static_selectorELNS0_4arch9wavefront6targetE0EEEvSO_.kd
    .uniform_work_group_size: 1
    .uses_dynamic_stack: false
    .vgpr_count:     15
    .vgpr_spill_count: 0
    .wavefront_size: 32
    .workgroup_processor_mode: 1
  - .args:
      - .offset:         0
        .size:           64
        .value_kind:     by_value
    .group_segment_fixed_size: 0
    .kernarg_segment_align: 8
    .kernarg_segment_size: 64
    .language:       OpenCL C
    .language_version:
      - 2
      - 0
    .max_flat_workgroup_size: 512
    .name:           _ZN7rocprim17ROCPRIM_400000_NS6detail17trampoline_kernelINS0_14default_configENS1_38merge_sort_block_merge_config_selectorIjN6thrust23THRUST_200600_302600_NS5tupleIffNS6_9null_typeES8_S8_S8_S8_S8_S8_S8_EEEEZZNS1_27merge_sort_block_merge_implIS3_NS6_6detail15normal_iteratorINS6_10device_ptrIjEEEENSD_INSE_IS9_EEEEjNS1_19radix_merge_compareILb0ELb1EjNS0_19identity_decomposerEEEEE10hipError_tT0_T1_T2_jT3_P12ihipStream_tbPNSt15iterator_traitsISN_E10value_typeEPNST_ISO_E10value_typeEPSP_NS1_7vsmem_tEENKUlT_SN_SO_SP_E_clIPjSG_PS9_SI_EESM_S12_SN_SO_SP_EUlS12_E0_NS1_11comp_targetILNS1_3genE0ELNS1_11target_archE4294967295ELNS1_3gpuE0ELNS1_3repE0EEENS1_38merge_mergepath_config_static_selectorELNS0_4arch9wavefront6targetE0EEEvSO_
    .private_segment_fixed_size: 0
    .sgpr_count:     0
    .sgpr_spill_count: 0
    .symbol:         _ZN7rocprim17ROCPRIM_400000_NS6detail17trampoline_kernelINS0_14default_configENS1_38merge_sort_block_merge_config_selectorIjN6thrust23THRUST_200600_302600_NS5tupleIffNS6_9null_typeES8_S8_S8_S8_S8_S8_S8_EEEEZZNS1_27merge_sort_block_merge_implIS3_NS6_6detail15normal_iteratorINS6_10device_ptrIjEEEENSD_INSE_IS9_EEEEjNS1_19radix_merge_compareILb0ELb1EjNS0_19identity_decomposerEEEEE10hipError_tT0_T1_T2_jT3_P12ihipStream_tbPNSt15iterator_traitsISN_E10value_typeEPNST_ISO_E10value_typeEPSP_NS1_7vsmem_tEENKUlT_SN_SO_SP_E_clIPjSG_PS9_SI_EESM_S12_SN_SO_SP_EUlS12_E0_NS1_11comp_targetILNS1_3genE0ELNS1_11target_archE4294967295ELNS1_3gpuE0ELNS1_3repE0EEENS1_38merge_mergepath_config_static_selectorELNS0_4arch9wavefront6targetE0EEEvSO_.kd
    .uniform_work_group_size: 1
    .uses_dynamic_stack: false
    .vgpr_count:     0
    .vgpr_spill_count: 0
    .wavefront_size: 32
    .workgroup_processor_mode: 1
  - .args:
      - .offset:         0
        .size:           64
        .value_kind:     by_value
    .group_segment_fixed_size: 0
    .kernarg_segment_align: 8
    .kernarg_segment_size: 64
    .language:       OpenCL C
    .language_version:
      - 2
      - 0
    .max_flat_workgroup_size: 512
    .name:           _ZN7rocprim17ROCPRIM_400000_NS6detail17trampoline_kernelINS0_14default_configENS1_38merge_sort_block_merge_config_selectorIjN6thrust23THRUST_200600_302600_NS5tupleIffNS6_9null_typeES8_S8_S8_S8_S8_S8_S8_EEEEZZNS1_27merge_sort_block_merge_implIS3_NS6_6detail15normal_iteratorINS6_10device_ptrIjEEEENSD_INSE_IS9_EEEEjNS1_19radix_merge_compareILb0ELb1EjNS0_19identity_decomposerEEEEE10hipError_tT0_T1_T2_jT3_P12ihipStream_tbPNSt15iterator_traitsISN_E10value_typeEPNST_ISO_E10value_typeEPSP_NS1_7vsmem_tEENKUlT_SN_SO_SP_E_clIPjSG_PS9_SI_EESM_S12_SN_SO_SP_EUlS12_E0_NS1_11comp_targetILNS1_3genE10ELNS1_11target_archE1201ELNS1_3gpuE5ELNS1_3repE0EEENS1_38merge_mergepath_config_static_selectorELNS0_4arch9wavefront6targetE0EEEvSO_
    .private_segment_fixed_size: 0
    .sgpr_count:     0
    .sgpr_spill_count: 0
    .symbol:         _ZN7rocprim17ROCPRIM_400000_NS6detail17trampoline_kernelINS0_14default_configENS1_38merge_sort_block_merge_config_selectorIjN6thrust23THRUST_200600_302600_NS5tupleIffNS6_9null_typeES8_S8_S8_S8_S8_S8_S8_EEEEZZNS1_27merge_sort_block_merge_implIS3_NS6_6detail15normal_iteratorINS6_10device_ptrIjEEEENSD_INSE_IS9_EEEEjNS1_19radix_merge_compareILb0ELb1EjNS0_19identity_decomposerEEEEE10hipError_tT0_T1_T2_jT3_P12ihipStream_tbPNSt15iterator_traitsISN_E10value_typeEPNST_ISO_E10value_typeEPSP_NS1_7vsmem_tEENKUlT_SN_SO_SP_E_clIPjSG_PS9_SI_EESM_S12_SN_SO_SP_EUlS12_E0_NS1_11comp_targetILNS1_3genE10ELNS1_11target_archE1201ELNS1_3gpuE5ELNS1_3repE0EEENS1_38merge_mergepath_config_static_selectorELNS0_4arch9wavefront6targetE0EEEvSO_.kd
    .uniform_work_group_size: 1
    .uses_dynamic_stack: false
    .vgpr_count:     0
    .vgpr_spill_count: 0
    .wavefront_size: 32
    .workgroup_processor_mode: 1
  - .args:
      - .offset:         0
        .size:           64
        .value_kind:     by_value
    .group_segment_fixed_size: 0
    .kernarg_segment_align: 8
    .kernarg_segment_size: 64
    .language:       OpenCL C
    .language_version:
      - 2
      - 0
    .max_flat_workgroup_size: 256
    .name:           _ZN7rocprim17ROCPRIM_400000_NS6detail17trampoline_kernelINS0_14default_configENS1_38merge_sort_block_merge_config_selectorIjN6thrust23THRUST_200600_302600_NS5tupleIffNS6_9null_typeES8_S8_S8_S8_S8_S8_S8_EEEEZZNS1_27merge_sort_block_merge_implIS3_NS6_6detail15normal_iteratorINS6_10device_ptrIjEEEENSD_INSE_IS9_EEEEjNS1_19radix_merge_compareILb0ELb1EjNS0_19identity_decomposerEEEEE10hipError_tT0_T1_T2_jT3_P12ihipStream_tbPNSt15iterator_traitsISN_E10value_typeEPNST_ISO_E10value_typeEPSP_NS1_7vsmem_tEENKUlT_SN_SO_SP_E_clIPjSG_PS9_SI_EESM_S12_SN_SO_SP_EUlS12_E0_NS1_11comp_targetILNS1_3genE5ELNS1_11target_archE942ELNS1_3gpuE9ELNS1_3repE0EEENS1_38merge_mergepath_config_static_selectorELNS0_4arch9wavefront6targetE0EEEvSO_
    .private_segment_fixed_size: 0
    .sgpr_count:     0
    .sgpr_spill_count: 0
    .symbol:         _ZN7rocprim17ROCPRIM_400000_NS6detail17trampoline_kernelINS0_14default_configENS1_38merge_sort_block_merge_config_selectorIjN6thrust23THRUST_200600_302600_NS5tupleIffNS6_9null_typeES8_S8_S8_S8_S8_S8_S8_EEEEZZNS1_27merge_sort_block_merge_implIS3_NS6_6detail15normal_iteratorINS6_10device_ptrIjEEEENSD_INSE_IS9_EEEEjNS1_19radix_merge_compareILb0ELb1EjNS0_19identity_decomposerEEEEE10hipError_tT0_T1_T2_jT3_P12ihipStream_tbPNSt15iterator_traitsISN_E10value_typeEPNST_ISO_E10value_typeEPSP_NS1_7vsmem_tEENKUlT_SN_SO_SP_E_clIPjSG_PS9_SI_EESM_S12_SN_SO_SP_EUlS12_E0_NS1_11comp_targetILNS1_3genE5ELNS1_11target_archE942ELNS1_3gpuE9ELNS1_3repE0EEENS1_38merge_mergepath_config_static_selectorELNS0_4arch9wavefront6targetE0EEEvSO_.kd
    .uniform_work_group_size: 1
    .uses_dynamic_stack: false
    .vgpr_count:     0
    .vgpr_spill_count: 0
    .wavefront_size: 32
    .workgroup_processor_mode: 1
  - .args:
      - .offset:         0
        .size:           64
        .value_kind:     by_value
    .group_segment_fixed_size: 0
    .kernarg_segment_align: 8
    .kernarg_segment_size: 64
    .language:       OpenCL C
    .language_version:
      - 2
      - 0
    .max_flat_workgroup_size: 256
    .name:           _ZN7rocprim17ROCPRIM_400000_NS6detail17trampoline_kernelINS0_14default_configENS1_38merge_sort_block_merge_config_selectorIjN6thrust23THRUST_200600_302600_NS5tupleIffNS6_9null_typeES8_S8_S8_S8_S8_S8_S8_EEEEZZNS1_27merge_sort_block_merge_implIS3_NS6_6detail15normal_iteratorINS6_10device_ptrIjEEEENSD_INSE_IS9_EEEEjNS1_19radix_merge_compareILb0ELb1EjNS0_19identity_decomposerEEEEE10hipError_tT0_T1_T2_jT3_P12ihipStream_tbPNSt15iterator_traitsISN_E10value_typeEPNST_ISO_E10value_typeEPSP_NS1_7vsmem_tEENKUlT_SN_SO_SP_E_clIPjSG_PS9_SI_EESM_S12_SN_SO_SP_EUlS12_E0_NS1_11comp_targetILNS1_3genE4ELNS1_11target_archE910ELNS1_3gpuE8ELNS1_3repE0EEENS1_38merge_mergepath_config_static_selectorELNS0_4arch9wavefront6targetE0EEEvSO_
    .private_segment_fixed_size: 0
    .sgpr_count:     0
    .sgpr_spill_count: 0
    .symbol:         _ZN7rocprim17ROCPRIM_400000_NS6detail17trampoline_kernelINS0_14default_configENS1_38merge_sort_block_merge_config_selectorIjN6thrust23THRUST_200600_302600_NS5tupleIffNS6_9null_typeES8_S8_S8_S8_S8_S8_S8_EEEEZZNS1_27merge_sort_block_merge_implIS3_NS6_6detail15normal_iteratorINS6_10device_ptrIjEEEENSD_INSE_IS9_EEEEjNS1_19radix_merge_compareILb0ELb1EjNS0_19identity_decomposerEEEEE10hipError_tT0_T1_T2_jT3_P12ihipStream_tbPNSt15iterator_traitsISN_E10value_typeEPNST_ISO_E10value_typeEPSP_NS1_7vsmem_tEENKUlT_SN_SO_SP_E_clIPjSG_PS9_SI_EESM_S12_SN_SO_SP_EUlS12_E0_NS1_11comp_targetILNS1_3genE4ELNS1_11target_archE910ELNS1_3gpuE8ELNS1_3repE0EEENS1_38merge_mergepath_config_static_selectorELNS0_4arch9wavefront6targetE0EEEvSO_.kd
    .uniform_work_group_size: 1
    .uses_dynamic_stack: false
    .vgpr_count:     0
    .vgpr_spill_count: 0
    .wavefront_size: 32
    .workgroup_processor_mode: 1
  - .args:
      - .offset:         0
        .size:           64
        .value_kind:     by_value
    .group_segment_fixed_size: 0
    .kernarg_segment_align: 8
    .kernarg_segment_size: 64
    .language:       OpenCL C
    .language_version:
      - 2
      - 0
    .max_flat_workgroup_size: 512
    .name:           _ZN7rocprim17ROCPRIM_400000_NS6detail17trampoline_kernelINS0_14default_configENS1_38merge_sort_block_merge_config_selectorIjN6thrust23THRUST_200600_302600_NS5tupleIffNS6_9null_typeES8_S8_S8_S8_S8_S8_S8_EEEEZZNS1_27merge_sort_block_merge_implIS3_NS6_6detail15normal_iteratorINS6_10device_ptrIjEEEENSD_INSE_IS9_EEEEjNS1_19radix_merge_compareILb0ELb1EjNS0_19identity_decomposerEEEEE10hipError_tT0_T1_T2_jT3_P12ihipStream_tbPNSt15iterator_traitsISN_E10value_typeEPNST_ISO_E10value_typeEPSP_NS1_7vsmem_tEENKUlT_SN_SO_SP_E_clIPjSG_PS9_SI_EESM_S12_SN_SO_SP_EUlS12_E0_NS1_11comp_targetILNS1_3genE3ELNS1_11target_archE908ELNS1_3gpuE7ELNS1_3repE0EEENS1_38merge_mergepath_config_static_selectorELNS0_4arch9wavefront6targetE0EEEvSO_
    .private_segment_fixed_size: 0
    .sgpr_count:     0
    .sgpr_spill_count: 0
    .symbol:         _ZN7rocprim17ROCPRIM_400000_NS6detail17trampoline_kernelINS0_14default_configENS1_38merge_sort_block_merge_config_selectorIjN6thrust23THRUST_200600_302600_NS5tupleIffNS6_9null_typeES8_S8_S8_S8_S8_S8_S8_EEEEZZNS1_27merge_sort_block_merge_implIS3_NS6_6detail15normal_iteratorINS6_10device_ptrIjEEEENSD_INSE_IS9_EEEEjNS1_19radix_merge_compareILb0ELb1EjNS0_19identity_decomposerEEEEE10hipError_tT0_T1_T2_jT3_P12ihipStream_tbPNSt15iterator_traitsISN_E10value_typeEPNST_ISO_E10value_typeEPSP_NS1_7vsmem_tEENKUlT_SN_SO_SP_E_clIPjSG_PS9_SI_EESM_S12_SN_SO_SP_EUlS12_E0_NS1_11comp_targetILNS1_3genE3ELNS1_11target_archE908ELNS1_3gpuE7ELNS1_3repE0EEENS1_38merge_mergepath_config_static_selectorELNS0_4arch9wavefront6targetE0EEEvSO_.kd
    .uniform_work_group_size: 1
    .uses_dynamic_stack: false
    .vgpr_count:     0
    .vgpr_spill_count: 0
    .wavefront_size: 32
    .workgroup_processor_mode: 1
  - .args:
      - .offset:         0
        .size:           64
        .value_kind:     by_value
    .group_segment_fixed_size: 0
    .kernarg_segment_align: 8
    .kernarg_segment_size: 64
    .language:       OpenCL C
    .language_version:
      - 2
      - 0
    .max_flat_workgroup_size: 256
    .name:           _ZN7rocprim17ROCPRIM_400000_NS6detail17trampoline_kernelINS0_14default_configENS1_38merge_sort_block_merge_config_selectorIjN6thrust23THRUST_200600_302600_NS5tupleIffNS6_9null_typeES8_S8_S8_S8_S8_S8_S8_EEEEZZNS1_27merge_sort_block_merge_implIS3_NS6_6detail15normal_iteratorINS6_10device_ptrIjEEEENSD_INSE_IS9_EEEEjNS1_19radix_merge_compareILb0ELb1EjNS0_19identity_decomposerEEEEE10hipError_tT0_T1_T2_jT3_P12ihipStream_tbPNSt15iterator_traitsISN_E10value_typeEPNST_ISO_E10value_typeEPSP_NS1_7vsmem_tEENKUlT_SN_SO_SP_E_clIPjSG_PS9_SI_EESM_S12_SN_SO_SP_EUlS12_E0_NS1_11comp_targetILNS1_3genE2ELNS1_11target_archE906ELNS1_3gpuE6ELNS1_3repE0EEENS1_38merge_mergepath_config_static_selectorELNS0_4arch9wavefront6targetE0EEEvSO_
    .private_segment_fixed_size: 0
    .sgpr_count:     0
    .sgpr_spill_count: 0
    .symbol:         _ZN7rocprim17ROCPRIM_400000_NS6detail17trampoline_kernelINS0_14default_configENS1_38merge_sort_block_merge_config_selectorIjN6thrust23THRUST_200600_302600_NS5tupleIffNS6_9null_typeES8_S8_S8_S8_S8_S8_S8_EEEEZZNS1_27merge_sort_block_merge_implIS3_NS6_6detail15normal_iteratorINS6_10device_ptrIjEEEENSD_INSE_IS9_EEEEjNS1_19radix_merge_compareILb0ELb1EjNS0_19identity_decomposerEEEEE10hipError_tT0_T1_T2_jT3_P12ihipStream_tbPNSt15iterator_traitsISN_E10value_typeEPNST_ISO_E10value_typeEPSP_NS1_7vsmem_tEENKUlT_SN_SO_SP_E_clIPjSG_PS9_SI_EESM_S12_SN_SO_SP_EUlS12_E0_NS1_11comp_targetILNS1_3genE2ELNS1_11target_archE906ELNS1_3gpuE6ELNS1_3repE0EEENS1_38merge_mergepath_config_static_selectorELNS0_4arch9wavefront6targetE0EEEvSO_.kd
    .uniform_work_group_size: 1
    .uses_dynamic_stack: false
    .vgpr_count:     0
    .vgpr_spill_count: 0
    .wavefront_size: 32
    .workgroup_processor_mode: 1
  - .args:
      - .offset:         0
        .size:           64
        .value_kind:     by_value
    .group_segment_fixed_size: 0
    .kernarg_segment_align: 8
    .kernarg_segment_size: 64
    .language:       OpenCL C
    .language_version:
      - 2
      - 0
    .max_flat_workgroup_size: 512
    .name:           _ZN7rocprim17ROCPRIM_400000_NS6detail17trampoline_kernelINS0_14default_configENS1_38merge_sort_block_merge_config_selectorIjN6thrust23THRUST_200600_302600_NS5tupleIffNS6_9null_typeES8_S8_S8_S8_S8_S8_S8_EEEEZZNS1_27merge_sort_block_merge_implIS3_NS6_6detail15normal_iteratorINS6_10device_ptrIjEEEENSD_INSE_IS9_EEEEjNS1_19radix_merge_compareILb0ELb1EjNS0_19identity_decomposerEEEEE10hipError_tT0_T1_T2_jT3_P12ihipStream_tbPNSt15iterator_traitsISN_E10value_typeEPNST_ISO_E10value_typeEPSP_NS1_7vsmem_tEENKUlT_SN_SO_SP_E_clIPjSG_PS9_SI_EESM_S12_SN_SO_SP_EUlS12_E0_NS1_11comp_targetILNS1_3genE9ELNS1_11target_archE1100ELNS1_3gpuE3ELNS1_3repE0EEENS1_38merge_mergepath_config_static_selectorELNS0_4arch9wavefront6targetE0EEEvSO_
    .private_segment_fixed_size: 0
    .sgpr_count:     0
    .sgpr_spill_count: 0
    .symbol:         _ZN7rocprim17ROCPRIM_400000_NS6detail17trampoline_kernelINS0_14default_configENS1_38merge_sort_block_merge_config_selectorIjN6thrust23THRUST_200600_302600_NS5tupleIffNS6_9null_typeES8_S8_S8_S8_S8_S8_S8_EEEEZZNS1_27merge_sort_block_merge_implIS3_NS6_6detail15normal_iteratorINS6_10device_ptrIjEEEENSD_INSE_IS9_EEEEjNS1_19radix_merge_compareILb0ELb1EjNS0_19identity_decomposerEEEEE10hipError_tT0_T1_T2_jT3_P12ihipStream_tbPNSt15iterator_traitsISN_E10value_typeEPNST_ISO_E10value_typeEPSP_NS1_7vsmem_tEENKUlT_SN_SO_SP_E_clIPjSG_PS9_SI_EESM_S12_SN_SO_SP_EUlS12_E0_NS1_11comp_targetILNS1_3genE9ELNS1_11target_archE1100ELNS1_3gpuE3ELNS1_3repE0EEENS1_38merge_mergepath_config_static_selectorELNS0_4arch9wavefront6targetE0EEEvSO_.kd
    .uniform_work_group_size: 1
    .uses_dynamic_stack: false
    .vgpr_count:     0
    .vgpr_spill_count: 0
    .wavefront_size: 32
    .workgroup_processor_mode: 1
  - .args:
      - .offset:         0
        .size:           64
        .value_kind:     by_value
      - .offset:         64
        .size:           4
        .value_kind:     hidden_block_count_x
      - .offset:         68
        .size:           4
        .value_kind:     hidden_block_count_y
      - .offset:         72
        .size:           4
        .value_kind:     hidden_block_count_z
      - .offset:         76
        .size:           2
        .value_kind:     hidden_group_size_x
      - .offset:         78
        .size:           2
        .value_kind:     hidden_group_size_y
      - .offset:         80
        .size:           2
        .value_kind:     hidden_group_size_z
      - .offset:         82
        .size:           2
        .value_kind:     hidden_remainder_x
      - .offset:         84
        .size:           2
        .value_kind:     hidden_remainder_y
      - .offset:         86
        .size:           2
        .value_kind:     hidden_remainder_z
      - .offset:         104
        .size:           8
        .value_kind:     hidden_global_offset_x
      - .offset:         112
        .size:           8
        .value_kind:     hidden_global_offset_y
      - .offset:         120
        .size:           8
        .value_kind:     hidden_global_offset_z
      - .offset:         128
        .size:           2
        .value_kind:     hidden_grid_dims
    .group_segment_fixed_size: 8208
    .kernarg_segment_align: 8
    .kernarg_segment_size: 320
    .language:       OpenCL C
    .language_version:
      - 2
      - 0
    .max_flat_workgroup_size: 1024
    .name:           _ZN7rocprim17ROCPRIM_400000_NS6detail17trampoline_kernelINS0_14default_configENS1_38merge_sort_block_merge_config_selectorIjN6thrust23THRUST_200600_302600_NS5tupleIffNS6_9null_typeES8_S8_S8_S8_S8_S8_S8_EEEEZZNS1_27merge_sort_block_merge_implIS3_NS6_6detail15normal_iteratorINS6_10device_ptrIjEEEENSD_INSE_IS9_EEEEjNS1_19radix_merge_compareILb0ELb1EjNS0_19identity_decomposerEEEEE10hipError_tT0_T1_T2_jT3_P12ihipStream_tbPNSt15iterator_traitsISN_E10value_typeEPNST_ISO_E10value_typeEPSP_NS1_7vsmem_tEENKUlT_SN_SO_SP_E_clIPjSG_PS9_SI_EESM_S12_SN_SO_SP_EUlS12_E0_NS1_11comp_targetILNS1_3genE8ELNS1_11target_archE1030ELNS1_3gpuE2ELNS1_3repE0EEENS1_38merge_mergepath_config_static_selectorELNS0_4arch9wavefront6targetE0EEEvSO_
    .private_segment_fixed_size: 0
    .sgpr_count:     26
    .sgpr_spill_count: 0
    .symbol:         _ZN7rocprim17ROCPRIM_400000_NS6detail17trampoline_kernelINS0_14default_configENS1_38merge_sort_block_merge_config_selectorIjN6thrust23THRUST_200600_302600_NS5tupleIffNS6_9null_typeES8_S8_S8_S8_S8_S8_S8_EEEEZZNS1_27merge_sort_block_merge_implIS3_NS6_6detail15normal_iteratorINS6_10device_ptrIjEEEENSD_INSE_IS9_EEEEjNS1_19radix_merge_compareILb0ELb1EjNS0_19identity_decomposerEEEEE10hipError_tT0_T1_T2_jT3_P12ihipStream_tbPNSt15iterator_traitsISN_E10value_typeEPNST_ISO_E10value_typeEPSP_NS1_7vsmem_tEENKUlT_SN_SO_SP_E_clIPjSG_PS9_SI_EESM_S12_SN_SO_SP_EUlS12_E0_NS1_11comp_targetILNS1_3genE8ELNS1_11target_archE1030ELNS1_3gpuE2ELNS1_3repE0EEENS1_38merge_mergepath_config_static_selectorELNS0_4arch9wavefront6targetE0EEEvSO_.kd
    .uniform_work_group_size: 1
    .uses_dynamic_stack: false
    .vgpr_count:     14
    .vgpr_spill_count: 0
    .wavefront_size: 32
    .workgroup_processor_mode: 1
  - .args:
      - .offset:         0
        .size:           48
        .value_kind:     by_value
    .group_segment_fixed_size: 0
    .kernarg_segment_align: 8
    .kernarg_segment_size: 48
    .language:       OpenCL C
    .language_version:
      - 2
      - 0
    .max_flat_workgroup_size: 256
    .name:           _ZN7rocprim17ROCPRIM_400000_NS6detail17trampoline_kernelINS0_14default_configENS1_38merge_sort_block_merge_config_selectorIjN6thrust23THRUST_200600_302600_NS5tupleIffNS6_9null_typeES8_S8_S8_S8_S8_S8_S8_EEEEZZNS1_27merge_sort_block_merge_implIS3_NS6_6detail15normal_iteratorINS6_10device_ptrIjEEEENSD_INSE_IS9_EEEEjNS1_19radix_merge_compareILb0ELb1EjNS0_19identity_decomposerEEEEE10hipError_tT0_T1_T2_jT3_P12ihipStream_tbPNSt15iterator_traitsISN_E10value_typeEPNST_ISO_E10value_typeEPSP_NS1_7vsmem_tEENKUlT_SN_SO_SP_E_clIPjSG_PS9_SI_EESM_S12_SN_SO_SP_EUlS12_E1_NS1_11comp_targetILNS1_3genE0ELNS1_11target_archE4294967295ELNS1_3gpuE0ELNS1_3repE0EEENS1_36merge_oddeven_config_static_selectorELNS0_4arch9wavefront6targetE0EEEvSO_
    .private_segment_fixed_size: 0
    .sgpr_count:     0
    .sgpr_spill_count: 0
    .symbol:         _ZN7rocprim17ROCPRIM_400000_NS6detail17trampoline_kernelINS0_14default_configENS1_38merge_sort_block_merge_config_selectorIjN6thrust23THRUST_200600_302600_NS5tupleIffNS6_9null_typeES8_S8_S8_S8_S8_S8_S8_EEEEZZNS1_27merge_sort_block_merge_implIS3_NS6_6detail15normal_iteratorINS6_10device_ptrIjEEEENSD_INSE_IS9_EEEEjNS1_19radix_merge_compareILb0ELb1EjNS0_19identity_decomposerEEEEE10hipError_tT0_T1_T2_jT3_P12ihipStream_tbPNSt15iterator_traitsISN_E10value_typeEPNST_ISO_E10value_typeEPSP_NS1_7vsmem_tEENKUlT_SN_SO_SP_E_clIPjSG_PS9_SI_EESM_S12_SN_SO_SP_EUlS12_E1_NS1_11comp_targetILNS1_3genE0ELNS1_11target_archE4294967295ELNS1_3gpuE0ELNS1_3repE0EEENS1_36merge_oddeven_config_static_selectorELNS0_4arch9wavefront6targetE0EEEvSO_.kd
    .uniform_work_group_size: 1
    .uses_dynamic_stack: false
    .vgpr_count:     0
    .vgpr_spill_count: 0
    .wavefront_size: 32
    .workgroup_processor_mode: 1
  - .args:
      - .offset:         0
        .size:           48
        .value_kind:     by_value
    .group_segment_fixed_size: 0
    .kernarg_segment_align: 8
    .kernarg_segment_size: 48
    .language:       OpenCL C
    .language_version:
      - 2
      - 0
    .max_flat_workgroup_size: 256
    .name:           _ZN7rocprim17ROCPRIM_400000_NS6detail17trampoline_kernelINS0_14default_configENS1_38merge_sort_block_merge_config_selectorIjN6thrust23THRUST_200600_302600_NS5tupleIffNS6_9null_typeES8_S8_S8_S8_S8_S8_S8_EEEEZZNS1_27merge_sort_block_merge_implIS3_NS6_6detail15normal_iteratorINS6_10device_ptrIjEEEENSD_INSE_IS9_EEEEjNS1_19radix_merge_compareILb0ELb1EjNS0_19identity_decomposerEEEEE10hipError_tT0_T1_T2_jT3_P12ihipStream_tbPNSt15iterator_traitsISN_E10value_typeEPNST_ISO_E10value_typeEPSP_NS1_7vsmem_tEENKUlT_SN_SO_SP_E_clIPjSG_PS9_SI_EESM_S12_SN_SO_SP_EUlS12_E1_NS1_11comp_targetILNS1_3genE10ELNS1_11target_archE1201ELNS1_3gpuE5ELNS1_3repE0EEENS1_36merge_oddeven_config_static_selectorELNS0_4arch9wavefront6targetE0EEEvSO_
    .private_segment_fixed_size: 0
    .sgpr_count:     0
    .sgpr_spill_count: 0
    .symbol:         _ZN7rocprim17ROCPRIM_400000_NS6detail17trampoline_kernelINS0_14default_configENS1_38merge_sort_block_merge_config_selectorIjN6thrust23THRUST_200600_302600_NS5tupleIffNS6_9null_typeES8_S8_S8_S8_S8_S8_S8_EEEEZZNS1_27merge_sort_block_merge_implIS3_NS6_6detail15normal_iteratorINS6_10device_ptrIjEEEENSD_INSE_IS9_EEEEjNS1_19radix_merge_compareILb0ELb1EjNS0_19identity_decomposerEEEEE10hipError_tT0_T1_T2_jT3_P12ihipStream_tbPNSt15iterator_traitsISN_E10value_typeEPNST_ISO_E10value_typeEPSP_NS1_7vsmem_tEENKUlT_SN_SO_SP_E_clIPjSG_PS9_SI_EESM_S12_SN_SO_SP_EUlS12_E1_NS1_11comp_targetILNS1_3genE10ELNS1_11target_archE1201ELNS1_3gpuE5ELNS1_3repE0EEENS1_36merge_oddeven_config_static_selectorELNS0_4arch9wavefront6targetE0EEEvSO_.kd
    .uniform_work_group_size: 1
    .uses_dynamic_stack: false
    .vgpr_count:     0
    .vgpr_spill_count: 0
    .wavefront_size: 32
    .workgroup_processor_mode: 1
  - .args:
      - .offset:         0
        .size:           48
        .value_kind:     by_value
    .group_segment_fixed_size: 0
    .kernarg_segment_align: 8
    .kernarg_segment_size: 48
    .language:       OpenCL C
    .language_version:
      - 2
      - 0
    .max_flat_workgroup_size: 256
    .name:           _ZN7rocprim17ROCPRIM_400000_NS6detail17trampoline_kernelINS0_14default_configENS1_38merge_sort_block_merge_config_selectorIjN6thrust23THRUST_200600_302600_NS5tupleIffNS6_9null_typeES8_S8_S8_S8_S8_S8_S8_EEEEZZNS1_27merge_sort_block_merge_implIS3_NS6_6detail15normal_iteratorINS6_10device_ptrIjEEEENSD_INSE_IS9_EEEEjNS1_19radix_merge_compareILb0ELb1EjNS0_19identity_decomposerEEEEE10hipError_tT0_T1_T2_jT3_P12ihipStream_tbPNSt15iterator_traitsISN_E10value_typeEPNST_ISO_E10value_typeEPSP_NS1_7vsmem_tEENKUlT_SN_SO_SP_E_clIPjSG_PS9_SI_EESM_S12_SN_SO_SP_EUlS12_E1_NS1_11comp_targetILNS1_3genE5ELNS1_11target_archE942ELNS1_3gpuE9ELNS1_3repE0EEENS1_36merge_oddeven_config_static_selectorELNS0_4arch9wavefront6targetE0EEEvSO_
    .private_segment_fixed_size: 0
    .sgpr_count:     0
    .sgpr_spill_count: 0
    .symbol:         _ZN7rocprim17ROCPRIM_400000_NS6detail17trampoline_kernelINS0_14default_configENS1_38merge_sort_block_merge_config_selectorIjN6thrust23THRUST_200600_302600_NS5tupleIffNS6_9null_typeES8_S8_S8_S8_S8_S8_S8_EEEEZZNS1_27merge_sort_block_merge_implIS3_NS6_6detail15normal_iteratorINS6_10device_ptrIjEEEENSD_INSE_IS9_EEEEjNS1_19radix_merge_compareILb0ELb1EjNS0_19identity_decomposerEEEEE10hipError_tT0_T1_T2_jT3_P12ihipStream_tbPNSt15iterator_traitsISN_E10value_typeEPNST_ISO_E10value_typeEPSP_NS1_7vsmem_tEENKUlT_SN_SO_SP_E_clIPjSG_PS9_SI_EESM_S12_SN_SO_SP_EUlS12_E1_NS1_11comp_targetILNS1_3genE5ELNS1_11target_archE942ELNS1_3gpuE9ELNS1_3repE0EEENS1_36merge_oddeven_config_static_selectorELNS0_4arch9wavefront6targetE0EEEvSO_.kd
    .uniform_work_group_size: 1
    .uses_dynamic_stack: false
    .vgpr_count:     0
    .vgpr_spill_count: 0
    .wavefront_size: 32
    .workgroup_processor_mode: 1
  - .args:
      - .offset:         0
        .size:           48
        .value_kind:     by_value
    .group_segment_fixed_size: 0
    .kernarg_segment_align: 8
    .kernarg_segment_size: 48
    .language:       OpenCL C
    .language_version:
      - 2
      - 0
    .max_flat_workgroup_size: 256
    .name:           _ZN7rocprim17ROCPRIM_400000_NS6detail17trampoline_kernelINS0_14default_configENS1_38merge_sort_block_merge_config_selectorIjN6thrust23THRUST_200600_302600_NS5tupleIffNS6_9null_typeES8_S8_S8_S8_S8_S8_S8_EEEEZZNS1_27merge_sort_block_merge_implIS3_NS6_6detail15normal_iteratorINS6_10device_ptrIjEEEENSD_INSE_IS9_EEEEjNS1_19radix_merge_compareILb0ELb1EjNS0_19identity_decomposerEEEEE10hipError_tT0_T1_T2_jT3_P12ihipStream_tbPNSt15iterator_traitsISN_E10value_typeEPNST_ISO_E10value_typeEPSP_NS1_7vsmem_tEENKUlT_SN_SO_SP_E_clIPjSG_PS9_SI_EESM_S12_SN_SO_SP_EUlS12_E1_NS1_11comp_targetILNS1_3genE4ELNS1_11target_archE910ELNS1_3gpuE8ELNS1_3repE0EEENS1_36merge_oddeven_config_static_selectorELNS0_4arch9wavefront6targetE0EEEvSO_
    .private_segment_fixed_size: 0
    .sgpr_count:     0
    .sgpr_spill_count: 0
    .symbol:         _ZN7rocprim17ROCPRIM_400000_NS6detail17trampoline_kernelINS0_14default_configENS1_38merge_sort_block_merge_config_selectorIjN6thrust23THRUST_200600_302600_NS5tupleIffNS6_9null_typeES8_S8_S8_S8_S8_S8_S8_EEEEZZNS1_27merge_sort_block_merge_implIS3_NS6_6detail15normal_iteratorINS6_10device_ptrIjEEEENSD_INSE_IS9_EEEEjNS1_19radix_merge_compareILb0ELb1EjNS0_19identity_decomposerEEEEE10hipError_tT0_T1_T2_jT3_P12ihipStream_tbPNSt15iterator_traitsISN_E10value_typeEPNST_ISO_E10value_typeEPSP_NS1_7vsmem_tEENKUlT_SN_SO_SP_E_clIPjSG_PS9_SI_EESM_S12_SN_SO_SP_EUlS12_E1_NS1_11comp_targetILNS1_3genE4ELNS1_11target_archE910ELNS1_3gpuE8ELNS1_3repE0EEENS1_36merge_oddeven_config_static_selectorELNS0_4arch9wavefront6targetE0EEEvSO_.kd
    .uniform_work_group_size: 1
    .uses_dynamic_stack: false
    .vgpr_count:     0
    .vgpr_spill_count: 0
    .wavefront_size: 32
    .workgroup_processor_mode: 1
  - .args:
      - .offset:         0
        .size:           48
        .value_kind:     by_value
    .group_segment_fixed_size: 0
    .kernarg_segment_align: 8
    .kernarg_segment_size: 48
    .language:       OpenCL C
    .language_version:
      - 2
      - 0
    .max_flat_workgroup_size: 256
    .name:           _ZN7rocprim17ROCPRIM_400000_NS6detail17trampoline_kernelINS0_14default_configENS1_38merge_sort_block_merge_config_selectorIjN6thrust23THRUST_200600_302600_NS5tupleIffNS6_9null_typeES8_S8_S8_S8_S8_S8_S8_EEEEZZNS1_27merge_sort_block_merge_implIS3_NS6_6detail15normal_iteratorINS6_10device_ptrIjEEEENSD_INSE_IS9_EEEEjNS1_19radix_merge_compareILb0ELb1EjNS0_19identity_decomposerEEEEE10hipError_tT0_T1_T2_jT3_P12ihipStream_tbPNSt15iterator_traitsISN_E10value_typeEPNST_ISO_E10value_typeEPSP_NS1_7vsmem_tEENKUlT_SN_SO_SP_E_clIPjSG_PS9_SI_EESM_S12_SN_SO_SP_EUlS12_E1_NS1_11comp_targetILNS1_3genE3ELNS1_11target_archE908ELNS1_3gpuE7ELNS1_3repE0EEENS1_36merge_oddeven_config_static_selectorELNS0_4arch9wavefront6targetE0EEEvSO_
    .private_segment_fixed_size: 0
    .sgpr_count:     0
    .sgpr_spill_count: 0
    .symbol:         _ZN7rocprim17ROCPRIM_400000_NS6detail17trampoline_kernelINS0_14default_configENS1_38merge_sort_block_merge_config_selectorIjN6thrust23THRUST_200600_302600_NS5tupleIffNS6_9null_typeES8_S8_S8_S8_S8_S8_S8_EEEEZZNS1_27merge_sort_block_merge_implIS3_NS6_6detail15normal_iteratorINS6_10device_ptrIjEEEENSD_INSE_IS9_EEEEjNS1_19radix_merge_compareILb0ELb1EjNS0_19identity_decomposerEEEEE10hipError_tT0_T1_T2_jT3_P12ihipStream_tbPNSt15iterator_traitsISN_E10value_typeEPNST_ISO_E10value_typeEPSP_NS1_7vsmem_tEENKUlT_SN_SO_SP_E_clIPjSG_PS9_SI_EESM_S12_SN_SO_SP_EUlS12_E1_NS1_11comp_targetILNS1_3genE3ELNS1_11target_archE908ELNS1_3gpuE7ELNS1_3repE0EEENS1_36merge_oddeven_config_static_selectorELNS0_4arch9wavefront6targetE0EEEvSO_.kd
    .uniform_work_group_size: 1
    .uses_dynamic_stack: false
    .vgpr_count:     0
    .vgpr_spill_count: 0
    .wavefront_size: 32
    .workgroup_processor_mode: 1
  - .args:
      - .offset:         0
        .size:           48
        .value_kind:     by_value
    .group_segment_fixed_size: 0
    .kernarg_segment_align: 8
    .kernarg_segment_size: 48
    .language:       OpenCL C
    .language_version:
      - 2
      - 0
    .max_flat_workgroup_size: 256
    .name:           _ZN7rocprim17ROCPRIM_400000_NS6detail17trampoline_kernelINS0_14default_configENS1_38merge_sort_block_merge_config_selectorIjN6thrust23THRUST_200600_302600_NS5tupleIffNS6_9null_typeES8_S8_S8_S8_S8_S8_S8_EEEEZZNS1_27merge_sort_block_merge_implIS3_NS6_6detail15normal_iteratorINS6_10device_ptrIjEEEENSD_INSE_IS9_EEEEjNS1_19radix_merge_compareILb0ELb1EjNS0_19identity_decomposerEEEEE10hipError_tT0_T1_T2_jT3_P12ihipStream_tbPNSt15iterator_traitsISN_E10value_typeEPNST_ISO_E10value_typeEPSP_NS1_7vsmem_tEENKUlT_SN_SO_SP_E_clIPjSG_PS9_SI_EESM_S12_SN_SO_SP_EUlS12_E1_NS1_11comp_targetILNS1_3genE2ELNS1_11target_archE906ELNS1_3gpuE6ELNS1_3repE0EEENS1_36merge_oddeven_config_static_selectorELNS0_4arch9wavefront6targetE0EEEvSO_
    .private_segment_fixed_size: 0
    .sgpr_count:     0
    .sgpr_spill_count: 0
    .symbol:         _ZN7rocprim17ROCPRIM_400000_NS6detail17trampoline_kernelINS0_14default_configENS1_38merge_sort_block_merge_config_selectorIjN6thrust23THRUST_200600_302600_NS5tupleIffNS6_9null_typeES8_S8_S8_S8_S8_S8_S8_EEEEZZNS1_27merge_sort_block_merge_implIS3_NS6_6detail15normal_iteratorINS6_10device_ptrIjEEEENSD_INSE_IS9_EEEEjNS1_19radix_merge_compareILb0ELb1EjNS0_19identity_decomposerEEEEE10hipError_tT0_T1_T2_jT3_P12ihipStream_tbPNSt15iterator_traitsISN_E10value_typeEPNST_ISO_E10value_typeEPSP_NS1_7vsmem_tEENKUlT_SN_SO_SP_E_clIPjSG_PS9_SI_EESM_S12_SN_SO_SP_EUlS12_E1_NS1_11comp_targetILNS1_3genE2ELNS1_11target_archE906ELNS1_3gpuE6ELNS1_3repE0EEENS1_36merge_oddeven_config_static_selectorELNS0_4arch9wavefront6targetE0EEEvSO_.kd
    .uniform_work_group_size: 1
    .uses_dynamic_stack: false
    .vgpr_count:     0
    .vgpr_spill_count: 0
    .wavefront_size: 32
    .workgroup_processor_mode: 1
  - .args:
      - .offset:         0
        .size:           48
        .value_kind:     by_value
    .group_segment_fixed_size: 0
    .kernarg_segment_align: 8
    .kernarg_segment_size: 48
    .language:       OpenCL C
    .language_version:
      - 2
      - 0
    .max_flat_workgroup_size: 256
    .name:           _ZN7rocprim17ROCPRIM_400000_NS6detail17trampoline_kernelINS0_14default_configENS1_38merge_sort_block_merge_config_selectorIjN6thrust23THRUST_200600_302600_NS5tupleIffNS6_9null_typeES8_S8_S8_S8_S8_S8_S8_EEEEZZNS1_27merge_sort_block_merge_implIS3_NS6_6detail15normal_iteratorINS6_10device_ptrIjEEEENSD_INSE_IS9_EEEEjNS1_19radix_merge_compareILb0ELb1EjNS0_19identity_decomposerEEEEE10hipError_tT0_T1_T2_jT3_P12ihipStream_tbPNSt15iterator_traitsISN_E10value_typeEPNST_ISO_E10value_typeEPSP_NS1_7vsmem_tEENKUlT_SN_SO_SP_E_clIPjSG_PS9_SI_EESM_S12_SN_SO_SP_EUlS12_E1_NS1_11comp_targetILNS1_3genE9ELNS1_11target_archE1100ELNS1_3gpuE3ELNS1_3repE0EEENS1_36merge_oddeven_config_static_selectorELNS0_4arch9wavefront6targetE0EEEvSO_
    .private_segment_fixed_size: 0
    .sgpr_count:     0
    .sgpr_spill_count: 0
    .symbol:         _ZN7rocprim17ROCPRIM_400000_NS6detail17trampoline_kernelINS0_14default_configENS1_38merge_sort_block_merge_config_selectorIjN6thrust23THRUST_200600_302600_NS5tupleIffNS6_9null_typeES8_S8_S8_S8_S8_S8_S8_EEEEZZNS1_27merge_sort_block_merge_implIS3_NS6_6detail15normal_iteratorINS6_10device_ptrIjEEEENSD_INSE_IS9_EEEEjNS1_19radix_merge_compareILb0ELb1EjNS0_19identity_decomposerEEEEE10hipError_tT0_T1_T2_jT3_P12ihipStream_tbPNSt15iterator_traitsISN_E10value_typeEPNST_ISO_E10value_typeEPSP_NS1_7vsmem_tEENKUlT_SN_SO_SP_E_clIPjSG_PS9_SI_EESM_S12_SN_SO_SP_EUlS12_E1_NS1_11comp_targetILNS1_3genE9ELNS1_11target_archE1100ELNS1_3gpuE3ELNS1_3repE0EEENS1_36merge_oddeven_config_static_selectorELNS0_4arch9wavefront6targetE0EEEvSO_.kd
    .uniform_work_group_size: 1
    .uses_dynamic_stack: false
    .vgpr_count:     0
    .vgpr_spill_count: 0
    .wavefront_size: 32
    .workgroup_processor_mode: 1
  - .args:
      - .offset:         0
        .size:           48
        .value_kind:     by_value
    .group_segment_fixed_size: 0
    .kernarg_segment_align: 8
    .kernarg_segment_size: 48
    .language:       OpenCL C
    .language_version:
      - 2
      - 0
    .max_flat_workgroup_size: 256
    .name:           _ZN7rocprim17ROCPRIM_400000_NS6detail17trampoline_kernelINS0_14default_configENS1_38merge_sort_block_merge_config_selectorIjN6thrust23THRUST_200600_302600_NS5tupleIffNS6_9null_typeES8_S8_S8_S8_S8_S8_S8_EEEEZZNS1_27merge_sort_block_merge_implIS3_NS6_6detail15normal_iteratorINS6_10device_ptrIjEEEENSD_INSE_IS9_EEEEjNS1_19radix_merge_compareILb0ELb1EjNS0_19identity_decomposerEEEEE10hipError_tT0_T1_T2_jT3_P12ihipStream_tbPNSt15iterator_traitsISN_E10value_typeEPNST_ISO_E10value_typeEPSP_NS1_7vsmem_tEENKUlT_SN_SO_SP_E_clIPjSG_PS9_SI_EESM_S12_SN_SO_SP_EUlS12_E1_NS1_11comp_targetILNS1_3genE8ELNS1_11target_archE1030ELNS1_3gpuE2ELNS1_3repE0EEENS1_36merge_oddeven_config_static_selectorELNS0_4arch9wavefront6targetE0EEEvSO_
    .private_segment_fixed_size: 0
    .sgpr_count:     24
    .sgpr_spill_count: 0
    .symbol:         _ZN7rocprim17ROCPRIM_400000_NS6detail17trampoline_kernelINS0_14default_configENS1_38merge_sort_block_merge_config_selectorIjN6thrust23THRUST_200600_302600_NS5tupleIffNS6_9null_typeES8_S8_S8_S8_S8_S8_S8_EEEEZZNS1_27merge_sort_block_merge_implIS3_NS6_6detail15normal_iteratorINS6_10device_ptrIjEEEENSD_INSE_IS9_EEEEjNS1_19radix_merge_compareILb0ELb1EjNS0_19identity_decomposerEEEEE10hipError_tT0_T1_T2_jT3_P12ihipStream_tbPNSt15iterator_traitsISN_E10value_typeEPNST_ISO_E10value_typeEPSP_NS1_7vsmem_tEENKUlT_SN_SO_SP_E_clIPjSG_PS9_SI_EESM_S12_SN_SO_SP_EUlS12_E1_NS1_11comp_targetILNS1_3genE8ELNS1_11target_archE1030ELNS1_3gpuE2ELNS1_3repE0EEENS1_36merge_oddeven_config_static_selectorELNS0_4arch9wavefront6targetE0EEEvSO_.kd
    .uniform_work_group_size: 1
    .uses_dynamic_stack: false
    .vgpr_count:     11
    .vgpr_spill_count: 0
    .wavefront_size: 32
    .workgroup_processor_mode: 1
  - .args:
      - .offset:         0
        .size:           40
        .value_kind:     by_value
    .group_segment_fixed_size: 0
    .kernarg_segment_align: 8
    .kernarg_segment_size: 40
    .language:       OpenCL C
    .language_version:
      - 2
      - 0
    .max_flat_workgroup_size: 128
    .name:           _ZN7rocprim17ROCPRIM_400000_NS6detail17trampoline_kernelINS0_14default_configENS1_38merge_sort_block_merge_config_selectorIjN6thrust23THRUST_200600_302600_NS5tupleIffNS6_9null_typeES8_S8_S8_S8_S8_S8_S8_EEEEZZNS1_27merge_sort_block_merge_implIS3_NS6_6detail15normal_iteratorINS6_10device_ptrIjEEEENSD_INSE_IS9_EEEEjNS1_19radix_merge_compareILb0ELb1EjNS0_19identity_decomposerEEEEE10hipError_tT0_T1_T2_jT3_P12ihipStream_tbPNSt15iterator_traitsISN_E10value_typeEPNST_ISO_E10value_typeEPSP_NS1_7vsmem_tEENKUlT_SN_SO_SP_E_clISG_PjSI_PS9_EESM_S12_SN_SO_SP_EUlS12_E_NS1_11comp_targetILNS1_3genE0ELNS1_11target_archE4294967295ELNS1_3gpuE0ELNS1_3repE0EEENS1_48merge_mergepath_partition_config_static_selectorELNS0_4arch9wavefront6targetE0EEEvSO_
    .private_segment_fixed_size: 0
    .sgpr_count:     0
    .sgpr_spill_count: 0
    .symbol:         _ZN7rocprim17ROCPRIM_400000_NS6detail17trampoline_kernelINS0_14default_configENS1_38merge_sort_block_merge_config_selectorIjN6thrust23THRUST_200600_302600_NS5tupleIffNS6_9null_typeES8_S8_S8_S8_S8_S8_S8_EEEEZZNS1_27merge_sort_block_merge_implIS3_NS6_6detail15normal_iteratorINS6_10device_ptrIjEEEENSD_INSE_IS9_EEEEjNS1_19radix_merge_compareILb0ELb1EjNS0_19identity_decomposerEEEEE10hipError_tT0_T1_T2_jT3_P12ihipStream_tbPNSt15iterator_traitsISN_E10value_typeEPNST_ISO_E10value_typeEPSP_NS1_7vsmem_tEENKUlT_SN_SO_SP_E_clISG_PjSI_PS9_EESM_S12_SN_SO_SP_EUlS12_E_NS1_11comp_targetILNS1_3genE0ELNS1_11target_archE4294967295ELNS1_3gpuE0ELNS1_3repE0EEENS1_48merge_mergepath_partition_config_static_selectorELNS0_4arch9wavefront6targetE0EEEvSO_.kd
    .uniform_work_group_size: 1
    .uses_dynamic_stack: false
    .vgpr_count:     0
    .vgpr_spill_count: 0
    .wavefront_size: 32
    .workgroup_processor_mode: 1
  - .args:
      - .offset:         0
        .size:           40
        .value_kind:     by_value
    .group_segment_fixed_size: 0
    .kernarg_segment_align: 8
    .kernarg_segment_size: 40
    .language:       OpenCL C
    .language_version:
      - 2
      - 0
    .max_flat_workgroup_size: 128
    .name:           _ZN7rocprim17ROCPRIM_400000_NS6detail17trampoline_kernelINS0_14default_configENS1_38merge_sort_block_merge_config_selectorIjN6thrust23THRUST_200600_302600_NS5tupleIffNS6_9null_typeES8_S8_S8_S8_S8_S8_S8_EEEEZZNS1_27merge_sort_block_merge_implIS3_NS6_6detail15normal_iteratorINS6_10device_ptrIjEEEENSD_INSE_IS9_EEEEjNS1_19radix_merge_compareILb0ELb1EjNS0_19identity_decomposerEEEEE10hipError_tT0_T1_T2_jT3_P12ihipStream_tbPNSt15iterator_traitsISN_E10value_typeEPNST_ISO_E10value_typeEPSP_NS1_7vsmem_tEENKUlT_SN_SO_SP_E_clISG_PjSI_PS9_EESM_S12_SN_SO_SP_EUlS12_E_NS1_11comp_targetILNS1_3genE10ELNS1_11target_archE1201ELNS1_3gpuE5ELNS1_3repE0EEENS1_48merge_mergepath_partition_config_static_selectorELNS0_4arch9wavefront6targetE0EEEvSO_
    .private_segment_fixed_size: 0
    .sgpr_count:     0
    .sgpr_spill_count: 0
    .symbol:         _ZN7rocprim17ROCPRIM_400000_NS6detail17trampoline_kernelINS0_14default_configENS1_38merge_sort_block_merge_config_selectorIjN6thrust23THRUST_200600_302600_NS5tupleIffNS6_9null_typeES8_S8_S8_S8_S8_S8_S8_EEEEZZNS1_27merge_sort_block_merge_implIS3_NS6_6detail15normal_iteratorINS6_10device_ptrIjEEEENSD_INSE_IS9_EEEEjNS1_19radix_merge_compareILb0ELb1EjNS0_19identity_decomposerEEEEE10hipError_tT0_T1_T2_jT3_P12ihipStream_tbPNSt15iterator_traitsISN_E10value_typeEPNST_ISO_E10value_typeEPSP_NS1_7vsmem_tEENKUlT_SN_SO_SP_E_clISG_PjSI_PS9_EESM_S12_SN_SO_SP_EUlS12_E_NS1_11comp_targetILNS1_3genE10ELNS1_11target_archE1201ELNS1_3gpuE5ELNS1_3repE0EEENS1_48merge_mergepath_partition_config_static_selectorELNS0_4arch9wavefront6targetE0EEEvSO_.kd
    .uniform_work_group_size: 1
    .uses_dynamic_stack: false
    .vgpr_count:     0
    .vgpr_spill_count: 0
    .wavefront_size: 32
    .workgroup_processor_mode: 1
  - .args:
      - .offset:         0
        .size:           40
        .value_kind:     by_value
    .group_segment_fixed_size: 0
    .kernarg_segment_align: 8
    .kernarg_segment_size: 40
    .language:       OpenCL C
    .language_version:
      - 2
      - 0
    .max_flat_workgroup_size: 128
    .name:           _ZN7rocprim17ROCPRIM_400000_NS6detail17trampoline_kernelINS0_14default_configENS1_38merge_sort_block_merge_config_selectorIjN6thrust23THRUST_200600_302600_NS5tupleIffNS6_9null_typeES8_S8_S8_S8_S8_S8_S8_EEEEZZNS1_27merge_sort_block_merge_implIS3_NS6_6detail15normal_iteratorINS6_10device_ptrIjEEEENSD_INSE_IS9_EEEEjNS1_19radix_merge_compareILb0ELb1EjNS0_19identity_decomposerEEEEE10hipError_tT0_T1_T2_jT3_P12ihipStream_tbPNSt15iterator_traitsISN_E10value_typeEPNST_ISO_E10value_typeEPSP_NS1_7vsmem_tEENKUlT_SN_SO_SP_E_clISG_PjSI_PS9_EESM_S12_SN_SO_SP_EUlS12_E_NS1_11comp_targetILNS1_3genE5ELNS1_11target_archE942ELNS1_3gpuE9ELNS1_3repE0EEENS1_48merge_mergepath_partition_config_static_selectorELNS0_4arch9wavefront6targetE0EEEvSO_
    .private_segment_fixed_size: 0
    .sgpr_count:     0
    .sgpr_spill_count: 0
    .symbol:         _ZN7rocprim17ROCPRIM_400000_NS6detail17trampoline_kernelINS0_14default_configENS1_38merge_sort_block_merge_config_selectorIjN6thrust23THRUST_200600_302600_NS5tupleIffNS6_9null_typeES8_S8_S8_S8_S8_S8_S8_EEEEZZNS1_27merge_sort_block_merge_implIS3_NS6_6detail15normal_iteratorINS6_10device_ptrIjEEEENSD_INSE_IS9_EEEEjNS1_19radix_merge_compareILb0ELb1EjNS0_19identity_decomposerEEEEE10hipError_tT0_T1_T2_jT3_P12ihipStream_tbPNSt15iterator_traitsISN_E10value_typeEPNST_ISO_E10value_typeEPSP_NS1_7vsmem_tEENKUlT_SN_SO_SP_E_clISG_PjSI_PS9_EESM_S12_SN_SO_SP_EUlS12_E_NS1_11comp_targetILNS1_3genE5ELNS1_11target_archE942ELNS1_3gpuE9ELNS1_3repE0EEENS1_48merge_mergepath_partition_config_static_selectorELNS0_4arch9wavefront6targetE0EEEvSO_.kd
    .uniform_work_group_size: 1
    .uses_dynamic_stack: false
    .vgpr_count:     0
    .vgpr_spill_count: 0
    .wavefront_size: 32
    .workgroup_processor_mode: 1
  - .args:
      - .offset:         0
        .size:           40
        .value_kind:     by_value
    .group_segment_fixed_size: 0
    .kernarg_segment_align: 8
    .kernarg_segment_size: 40
    .language:       OpenCL C
    .language_version:
      - 2
      - 0
    .max_flat_workgroup_size: 128
    .name:           _ZN7rocprim17ROCPRIM_400000_NS6detail17trampoline_kernelINS0_14default_configENS1_38merge_sort_block_merge_config_selectorIjN6thrust23THRUST_200600_302600_NS5tupleIffNS6_9null_typeES8_S8_S8_S8_S8_S8_S8_EEEEZZNS1_27merge_sort_block_merge_implIS3_NS6_6detail15normal_iteratorINS6_10device_ptrIjEEEENSD_INSE_IS9_EEEEjNS1_19radix_merge_compareILb0ELb1EjNS0_19identity_decomposerEEEEE10hipError_tT0_T1_T2_jT3_P12ihipStream_tbPNSt15iterator_traitsISN_E10value_typeEPNST_ISO_E10value_typeEPSP_NS1_7vsmem_tEENKUlT_SN_SO_SP_E_clISG_PjSI_PS9_EESM_S12_SN_SO_SP_EUlS12_E_NS1_11comp_targetILNS1_3genE4ELNS1_11target_archE910ELNS1_3gpuE8ELNS1_3repE0EEENS1_48merge_mergepath_partition_config_static_selectorELNS0_4arch9wavefront6targetE0EEEvSO_
    .private_segment_fixed_size: 0
    .sgpr_count:     0
    .sgpr_spill_count: 0
    .symbol:         _ZN7rocprim17ROCPRIM_400000_NS6detail17trampoline_kernelINS0_14default_configENS1_38merge_sort_block_merge_config_selectorIjN6thrust23THRUST_200600_302600_NS5tupleIffNS6_9null_typeES8_S8_S8_S8_S8_S8_S8_EEEEZZNS1_27merge_sort_block_merge_implIS3_NS6_6detail15normal_iteratorINS6_10device_ptrIjEEEENSD_INSE_IS9_EEEEjNS1_19radix_merge_compareILb0ELb1EjNS0_19identity_decomposerEEEEE10hipError_tT0_T1_T2_jT3_P12ihipStream_tbPNSt15iterator_traitsISN_E10value_typeEPNST_ISO_E10value_typeEPSP_NS1_7vsmem_tEENKUlT_SN_SO_SP_E_clISG_PjSI_PS9_EESM_S12_SN_SO_SP_EUlS12_E_NS1_11comp_targetILNS1_3genE4ELNS1_11target_archE910ELNS1_3gpuE8ELNS1_3repE0EEENS1_48merge_mergepath_partition_config_static_selectorELNS0_4arch9wavefront6targetE0EEEvSO_.kd
    .uniform_work_group_size: 1
    .uses_dynamic_stack: false
    .vgpr_count:     0
    .vgpr_spill_count: 0
    .wavefront_size: 32
    .workgroup_processor_mode: 1
  - .args:
      - .offset:         0
        .size:           40
        .value_kind:     by_value
    .group_segment_fixed_size: 0
    .kernarg_segment_align: 8
    .kernarg_segment_size: 40
    .language:       OpenCL C
    .language_version:
      - 2
      - 0
    .max_flat_workgroup_size: 128
    .name:           _ZN7rocprim17ROCPRIM_400000_NS6detail17trampoline_kernelINS0_14default_configENS1_38merge_sort_block_merge_config_selectorIjN6thrust23THRUST_200600_302600_NS5tupleIffNS6_9null_typeES8_S8_S8_S8_S8_S8_S8_EEEEZZNS1_27merge_sort_block_merge_implIS3_NS6_6detail15normal_iteratorINS6_10device_ptrIjEEEENSD_INSE_IS9_EEEEjNS1_19radix_merge_compareILb0ELb1EjNS0_19identity_decomposerEEEEE10hipError_tT0_T1_T2_jT3_P12ihipStream_tbPNSt15iterator_traitsISN_E10value_typeEPNST_ISO_E10value_typeEPSP_NS1_7vsmem_tEENKUlT_SN_SO_SP_E_clISG_PjSI_PS9_EESM_S12_SN_SO_SP_EUlS12_E_NS1_11comp_targetILNS1_3genE3ELNS1_11target_archE908ELNS1_3gpuE7ELNS1_3repE0EEENS1_48merge_mergepath_partition_config_static_selectorELNS0_4arch9wavefront6targetE0EEEvSO_
    .private_segment_fixed_size: 0
    .sgpr_count:     0
    .sgpr_spill_count: 0
    .symbol:         _ZN7rocprim17ROCPRIM_400000_NS6detail17trampoline_kernelINS0_14default_configENS1_38merge_sort_block_merge_config_selectorIjN6thrust23THRUST_200600_302600_NS5tupleIffNS6_9null_typeES8_S8_S8_S8_S8_S8_S8_EEEEZZNS1_27merge_sort_block_merge_implIS3_NS6_6detail15normal_iteratorINS6_10device_ptrIjEEEENSD_INSE_IS9_EEEEjNS1_19radix_merge_compareILb0ELb1EjNS0_19identity_decomposerEEEEE10hipError_tT0_T1_T2_jT3_P12ihipStream_tbPNSt15iterator_traitsISN_E10value_typeEPNST_ISO_E10value_typeEPSP_NS1_7vsmem_tEENKUlT_SN_SO_SP_E_clISG_PjSI_PS9_EESM_S12_SN_SO_SP_EUlS12_E_NS1_11comp_targetILNS1_3genE3ELNS1_11target_archE908ELNS1_3gpuE7ELNS1_3repE0EEENS1_48merge_mergepath_partition_config_static_selectorELNS0_4arch9wavefront6targetE0EEEvSO_.kd
    .uniform_work_group_size: 1
    .uses_dynamic_stack: false
    .vgpr_count:     0
    .vgpr_spill_count: 0
    .wavefront_size: 32
    .workgroup_processor_mode: 1
  - .args:
      - .offset:         0
        .size:           40
        .value_kind:     by_value
    .group_segment_fixed_size: 0
    .kernarg_segment_align: 8
    .kernarg_segment_size: 40
    .language:       OpenCL C
    .language_version:
      - 2
      - 0
    .max_flat_workgroup_size: 128
    .name:           _ZN7rocprim17ROCPRIM_400000_NS6detail17trampoline_kernelINS0_14default_configENS1_38merge_sort_block_merge_config_selectorIjN6thrust23THRUST_200600_302600_NS5tupleIffNS6_9null_typeES8_S8_S8_S8_S8_S8_S8_EEEEZZNS1_27merge_sort_block_merge_implIS3_NS6_6detail15normal_iteratorINS6_10device_ptrIjEEEENSD_INSE_IS9_EEEEjNS1_19radix_merge_compareILb0ELb1EjNS0_19identity_decomposerEEEEE10hipError_tT0_T1_T2_jT3_P12ihipStream_tbPNSt15iterator_traitsISN_E10value_typeEPNST_ISO_E10value_typeEPSP_NS1_7vsmem_tEENKUlT_SN_SO_SP_E_clISG_PjSI_PS9_EESM_S12_SN_SO_SP_EUlS12_E_NS1_11comp_targetILNS1_3genE2ELNS1_11target_archE906ELNS1_3gpuE6ELNS1_3repE0EEENS1_48merge_mergepath_partition_config_static_selectorELNS0_4arch9wavefront6targetE0EEEvSO_
    .private_segment_fixed_size: 0
    .sgpr_count:     0
    .sgpr_spill_count: 0
    .symbol:         _ZN7rocprim17ROCPRIM_400000_NS6detail17trampoline_kernelINS0_14default_configENS1_38merge_sort_block_merge_config_selectorIjN6thrust23THRUST_200600_302600_NS5tupleIffNS6_9null_typeES8_S8_S8_S8_S8_S8_S8_EEEEZZNS1_27merge_sort_block_merge_implIS3_NS6_6detail15normal_iteratorINS6_10device_ptrIjEEEENSD_INSE_IS9_EEEEjNS1_19radix_merge_compareILb0ELb1EjNS0_19identity_decomposerEEEEE10hipError_tT0_T1_T2_jT3_P12ihipStream_tbPNSt15iterator_traitsISN_E10value_typeEPNST_ISO_E10value_typeEPSP_NS1_7vsmem_tEENKUlT_SN_SO_SP_E_clISG_PjSI_PS9_EESM_S12_SN_SO_SP_EUlS12_E_NS1_11comp_targetILNS1_3genE2ELNS1_11target_archE906ELNS1_3gpuE6ELNS1_3repE0EEENS1_48merge_mergepath_partition_config_static_selectorELNS0_4arch9wavefront6targetE0EEEvSO_.kd
    .uniform_work_group_size: 1
    .uses_dynamic_stack: false
    .vgpr_count:     0
    .vgpr_spill_count: 0
    .wavefront_size: 32
    .workgroup_processor_mode: 1
  - .args:
      - .offset:         0
        .size:           40
        .value_kind:     by_value
    .group_segment_fixed_size: 0
    .kernarg_segment_align: 8
    .kernarg_segment_size: 40
    .language:       OpenCL C
    .language_version:
      - 2
      - 0
    .max_flat_workgroup_size: 128
    .name:           _ZN7rocprim17ROCPRIM_400000_NS6detail17trampoline_kernelINS0_14default_configENS1_38merge_sort_block_merge_config_selectorIjN6thrust23THRUST_200600_302600_NS5tupleIffNS6_9null_typeES8_S8_S8_S8_S8_S8_S8_EEEEZZNS1_27merge_sort_block_merge_implIS3_NS6_6detail15normal_iteratorINS6_10device_ptrIjEEEENSD_INSE_IS9_EEEEjNS1_19radix_merge_compareILb0ELb1EjNS0_19identity_decomposerEEEEE10hipError_tT0_T1_T2_jT3_P12ihipStream_tbPNSt15iterator_traitsISN_E10value_typeEPNST_ISO_E10value_typeEPSP_NS1_7vsmem_tEENKUlT_SN_SO_SP_E_clISG_PjSI_PS9_EESM_S12_SN_SO_SP_EUlS12_E_NS1_11comp_targetILNS1_3genE9ELNS1_11target_archE1100ELNS1_3gpuE3ELNS1_3repE0EEENS1_48merge_mergepath_partition_config_static_selectorELNS0_4arch9wavefront6targetE0EEEvSO_
    .private_segment_fixed_size: 0
    .sgpr_count:     0
    .sgpr_spill_count: 0
    .symbol:         _ZN7rocprim17ROCPRIM_400000_NS6detail17trampoline_kernelINS0_14default_configENS1_38merge_sort_block_merge_config_selectorIjN6thrust23THRUST_200600_302600_NS5tupleIffNS6_9null_typeES8_S8_S8_S8_S8_S8_S8_EEEEZZNS1_27merge_sort_block_merge_implIS3_NS6_6detail15normal_iteratorINS6_10device_ptrIjEEEENSD_INSE_IS9_EEEEjNS1_19radix_merge_compareILb0ELb1EjNS0_19identity_decomposerEEEEE10hipError_tT0_T1_T2_jT3_P12ihipStream_tbPNSt15iterator_traitsISN_E10value_typeEPNST_ISO_E10value_typeEPSP_NS1_7vsmem_tEENKUlT_SN_SO_SP_E_clISG_PjSI_PS9_EESM_S12_SN_SO_SP_EUlS12_E_NS1_11comp_targetILNS1_3genE9ELNS1_11target_archE1100ELNS1_3gpuE3ELNS1_3repE0EEENS1_48merge_mergepath_partition_config_static_selectorELNS0_4arch9wavefront6targetE0EEEvSO_.kd
    .uniform_work_group_size: 1
    .uses_dynamic_stack: false
    .vgpr_count:     0
    .vgpr_spill_count: 0
    .wavefront_size: 32
    .workgroup_processor_mode: 1
  - .args:
      - .offset:         0
        .size:           40
        .value_kind:     by_value
    .group_segment_fixed_size: 0
    .kernarg_segment_align: 8
    .kernarg_segment_size: 40
    .language:       OpenCL C
    .language_version:
      - 2
      - 0
    .max_flat_workgroup_size: 128
    .name:           _ZN7rocprim17ROCPRIM_400000_NS6detail17trampoline_kernelINS0_14default_configENS1_38merge_sort_block_merge_config_selectorIjN6thrust23THRUST_200600_302600_NS5tupleIffNS6_9null_typeES8_S8_S8_S8_S8_S8_S8_EEEEZZNS1_27merge_sort_block_merge_implIS3_NS6_6detail15normal_iteratorINS6_10device_ptrIjEEEENSD_INSE_IS9_EEEEjNS1_19radix_merge_compareILb0ELb1EjNS0_19identity_decomposerEEEEE10hipError_tT0_T1_T2_jT3_P12ihipStream_tbPNSt15iterator_traitsISN_E10value_typeEPNST_ISO_E10value_typeEPSP_NS1_7vsmem_tEENKUlT_SN_SO_SP_E_clISG_PjSI_PS9_EESM_S12_SN_SO_SP_EUlS12_E_NS1_11comp_targetILNS1_3genE8ELNS1_11target_archE1030ELNS1_3gpuE2ELNS1_3repE0EEENS1_48merge_mergepath_partition_config_static_selectorELNS0_4arch9wavefront6targetE0EEEvSO_
    .private_segment_fixed_size: 0
    .sgpr_count:     10
    .sgpr_spill_count: 0
    .symbol:         _ZN7rocprim17ROCPRIM_400000_NS6detail17trampoline_kernelINS0_14default_configENS1_38merge_sort_block_merge_config_selectorIjN6thrust23THRUST_200600_302600_NS5tupleIffNS6_9null_typeES8_S8_S8_S8_S8_S8_S8_EEEEZZNS1_27merge_sort_block_merge_implIS3_NS6_6detail15normal_iteratorINS6_10device_ptrIjEEEENSD_INSE_IS9_EEEEjNS1_19radix_merge_compareILb0ELb1EjNS0_19identity_decomposerEEEEE10hipError_tT0_T1_T2_jT3_P12ihipStream_tbPNSt15iterator_traitsISN_E10value_typeEPNST_ISO_E10value_typeEPSP_NS1_7vsmem_tEENKUlT_SN_SO_SP_E_clISG_PjSI_PS9_EESM_S12_SN_SO_SP_EUlS12_E_NS1_11comp_targetILNS1_3genE8ELNS1_11target_archE1030ELNS1_3gpuE2ELNS1_3repE0EEENS1_48merge_mergepath_partition_config_static_selectorELNS0_4arch9wavefront6targetE0EEEvSO_.kd
    .uniform_work_group_size: 1
    .uses_dynamic_stack: false
    .vgpr_count:     15
    .vgpr_spill_count: 0
    .wavefront_size: 32
    .workgroup_processor_mode: 1
  - .args:
      - .offset:         0
        .size:           64
        .value_kind:     by_value
    .group_segment_fixed_size: 0
    .kernarg_segment_align: 8
    .kernarg_segment_size: 64
    .language:       OpenCL C
    .language_version:
      - 2
      - 0
    .max_flat_workgroup_size: 512
    .name:           _ZN7rocprim17ROCPRIM_400000_NS6detail17trampoline_kernelINS0_14default_configENS1_38merge_sort_block_merge_config_selectorIjN6thrust23THRUST_200600_302600_NS5tupleIffNS6_9null_typeES8_S8_S8_S8_S8_S8_S8_EEEEZZNS1_27merge_sort_block_merge_implIS3_NS6_6detail15normal_iteratorINS6_10device_ptrIjEEEENSD_INSE_IS9_EEEEjNS1_19radix_merge_compareILb0ELb1EjNS0_19identity_decomposerEEEEE10hipError_tT0_T1_T2_jT3_P12ihipStream_tbPNSt15iterator_traitsISN_E10value_typeEPNST_ISO_E10value_typeEPSP_NS1_7vsmem_tEENKUlT_SN_SO_SP_E_clISG_PjSI_PS9_EESM_S12_SN_SO_SP_EUlS12_E0_NS1_11comp_targetILNS1_3genE0ELNS1_11target_archE4294967295ELNS1_3gpuE0ELNS1_3repE0EEENS1_38merge_mergepath_config_static_selectorELNS0_4arch9wavefront6targetE0EEEvSO_
    .private_segment_fixed_size: 0
    .sgpr_count:     0
    .sgpr_spill_count: 0
    .symbol:         _ZN7rocprim17ROCPRIM_400000_NS6detail17trampoline_kernelINS0_14default_configENS1_38merge_sort_block_merge_config_selectorIjN6thrust23THRUST_200600_302600_NS5tupleIffNS6_9null_typeES8_S8_S8_S8_S8_S8_S8_EEEEZZNS1_27merge_sort_block_merge_implIS3_NS6_6detail15normal_iteratorINS6_10device_ptrIjEEEENSD_INSE_IS9_EEEEjNS1_19radix_merge_compareILb0ELb1EjNS0_19identity_decomposerEEEEE10hipError_tT0_T1_T2_jT3_P12ihipStream_tbPNSt15iterator_traitsISN_E10value_typeEPNST_ISO_E10value_typeEPSP_NS1_7vsmem_tEENKUlT_SN_SO_SP_E_clISG_PjSI_PS9_EESM_S12_SN_SO_SP_EUlS12_E0_NS1_11comp_targetILNS1_3genE0ELNS1_11target_archE4294967295ELNS1_3gpuE0ELNS1_3repE0EEENS1_38merge_mergepath_config_static_selectorELNS0_4arch9wavefront6targetE0EEEvSO_.kd
    .uniform_work_group_size: 1
    .uses_dynamic_stack: false
    .vgpr_count:     0
    .vgpr_spill_count: 0
    .wavefront_size: 32
    .workgroup_processor_mode: 1
  - .args:
      - .offset:         0
        .size:           64
        .value_kind:     by_value
    .group_segment_fixed_size: 0
    .kernarg_segment_align: 8
    .kernarg_segment_size: 64
    .language:       OpenCL C
    .language_version:
      - 2
      - 0
    .max_flat_workgroup_size: 512
    .name:           _ZN7rocprim17ROCPRIM_400000_NS6detail17trampoline_kernelINS0_14default_configENS1_38merge_sort_block_merge_config_selectorIjN6thrust23THRUST_200600_302600_NS5tupleIffNS6_9null_typeES8_S8_S8_S8_S8_S8_S8_EEEEZZNS1_27merge_sort_block_merge_implIS3_NS6_6detail15normal_iteratorINS6_10device_ptrIjEEEENSD_INSE_IS9_EEEEjNS1_19radix_merge_compareILb0ELb1EjNS0_19identity_decomposerEEEEE10hipError_tT0_T1_T2_jT3_P12ihipStream_tbPNSt15iterator_traitsISN_E10value_typeEPNST_ISO_E10value_typeEPSP_NS1_7vsmem_tEENKUlT_SN_SO_SP_E_clISG_PjSI_PS9_EESM_S12_SN_SO_SP_EUlS12_E0_NS1_11comp_targetILNS1_3genE10ELNS1_11target_archE1201ELNS1_3gpuE5ELNS1_3repE0EEENS1_38merge_mergepath_config_static_selectorELNS0_4arch9wavefront6targetE0EEEvSO_
    .private_segment_fixed_size: 0
    .sgpr_count:     0
    .sgpr_spill_count: 0
    .symbol:         _ZN7rocprim17ROCPRIM_400000_NS6detail17trampoline_kernelINS0_14default_configENS1_38merge_sort_block_merge_config_selectorIjN6thrust23THRUST_200600_302600_NS5tupleIffNS6_9null_typeES8_S8_S8_S8_S8_S8_S8_EEEEZZNS1_27merge_sort_block_merge_implIS3_NS6_6detail15normal_iteratorINS6_10device_ptrIjEEEENSD_INSE_IS9_EEEEjNS1_19radix_merge_compareILb0ELb1EjNS0_19identity_decomposerEEEEE10hipError_tT0_T1_T2_jT3_P12ihipStream_tbPNSt15iterator_traitsISN_E10value_typeEPNST_ISO_E10value_typeEPSP_NS1_7vsmem_tEENKUlT_SN_SO_SP_E_clISG_PjSI_PS9_EESM_S12_SN_SO_SP_EUlS12_E0_NS1_11comp_targetILNS1_3genE10ELNS1_11target_archE1201ELNS1_3gpuE5ELNS1_3repE0EEENS1_38merge_mergepath_config_static_selectorELNS0_4arch9wavefront6targetE0EEEvSO_.kd
    .uniform_work_group_size: 1
    .uses_dynamic_stack: false
    .vgpr_count:     0
    .vgpr_spill_count: 0
    .wavefront_size: 32
    .workgroup_processor_mode: 1
  - .args:
      - .offset:         0
        .size:           64
        .value_kind:     by_value
    .group_segment_fixed_size: 0
    .kernarg_segment_align: 8
    .kernarg_segment_size: 64
    .language:       OpenCL C
    .language_version:
      - 2
      - 0
    .max_flat_workgroup_size: 256
    .name:           _ZN7rocprim17ROCPRIM_400000_NS6detail17trampoline_kernelINS0_14default_configENS1_38merge_sort_block_merge_config_selectorIjN6thrust23THRUST_200600_302600_NS5tupleIffNS6_9null_typeES8_S8_S8_S8_S8_S8_S8_EEEEZZNS1_27merge_sort_block_merge_implIS3_NS6_6detail15normal_iteratorINS6_10device_ptrIjEEEENSD_INSE_IS9_EEEEjNS1_19radix_merge_compareILb0ELb1EjNS0_19identity_decomposerEEEEE10hipError_tT0_T1_T2_jT3_P12ihipStream_tbPNSt15iterator_traitsISN_E10value_typeEPNST_ISO_E10value_typeEPSP_NS1_7vsmem_tEENKUlT_SN_SO_SP_E_clISG_PjSI_PS9_EESM_S12_SN_SO_SP_EUlS12_E0_NS1_11comp_targetILNS1_3genE5ELNS1_11target_archE942ELNS1_3gpuE9ELNS1_3repE0EEENS1_38merge_mergepath_config_static_selectorELNS0_4arch9wavefront6targetE0EEEvSO_
    .private_segment_fixed_size: 0
    .sgpr_count:     0
    .sgpr_spill_count: 0
    .symbol:         _ZN7rocprim17ROCPRIM_400000_NS6detail17trampoline_kernelINS0_14default_configENS1_38merge_sort_block_merge_config_selectorIjN6thrust23THRUST_200600_302600_NS5tupleIffNS6_9null_typeES8_S8_S8_S8_S8_S8_S8_EEEEZZNS1_27merge_sort_block_merge_implIS3_NS6_6detail15normal_iteratorINS6_10device_ptrIjEEEENSD_INSE_IS9_EEEEjNS1_19radix_merge_compareILb0ELb1EjNS0_19identity_decomposerEEEEE10hipError_tT0_T1_T2_jT3_P12ihipStream_tbPNSt15iterator_traitsISN_E10value_typeEPNST_ISO_E10value_typeEPSP_NS1_7vsmem_tEENKUlT_SN_SO_SP_E_clISG_PjSI_PS9_EESM_S12_SN_SO_SP_EUlS12_E0_NS1_11comp_targetILNS1_3genE5ELNS1_11target_archE942ELNS1_3gpuE9ELNS1_3repE0EEENS1_38merge_mergepath_config_static_selectorELNS0_4arch9wavefront6targetE0EEEvSO_.kd
    .uniform_work_group_size: 1
    .uses_dynamic_stack: false
    .vgpr_count:     0
    .vgpr_spill_count: 0
    .wavefront_size: 32
    .workgroup_processor_mode: 1
  - .args:
      - .offset:         0
        .size:           64
        .value_kind:     by_value
    .group_segment_fixed_size: 0
    .kernarg_segment_align: 8
    .kernarg_segment_size: 64
    .language:       OpenCL C
    .language_version:
      - 2
      - 0
    .max_flat_workgroup_size: 256
    .name:           _ZN7rocprim17ROCPRIM_400000_NS6detail17trampoline_kernelINS0_14default_configENS1_38merge_sort_block_merge_config_selectorIjN6thrust23THRUST_200600_302600_NS5tupleIffNS6_9null_typeES8_S8_S8_S8_S8_S8_S8_EEEEZZNS1_27merge_sort_block_merge_implIS3_NS6_6detail15normal_iteratorINS6_10device_ptrIjEEEENSD_INSE_IS9_EEEEjNS1_19radix_merge_compareILb0ELb1EjNS0_19identity_decomposerEEEEE10hipError_tT0_T1_T2_jT3_P12ihipStream_tbPNSt15iterator_traitsISN_E10value_typeEPNST_ISO_E10value_typeEPSP_NS1_7vsmem_tEENKUlT_SN_SO_SP_E_clISG_PjSI_PS9_EESM_S12_SN_SO_SP_EUlS12_E0_NS1_11comp_targetILNS1_3genE4ELNS1_11target_archE910ELNS1_3gpuE8ELNS1_3repE0EEENS1_38merge_mergepath_config_static_selectorELNS0_4arch9wavefront6targetE0EEEvSO_
    .private_segment_fixed_size: 0
    .sgpr_count:     0
    .sgpr_spill_count: 0
    .symbol:         _ZN7rocprim17ROCPRIM_400000_NS6detail17trampoline_kernelINS0_14default_configENS1_38merge_sort_block_merge_config_selectorIjN6thrust23THRUST_200600_302600_NS5tupleIffNS6_9null_typeES8_S8_S8_S8_S8_S8_S8_EEEEZZNS1_27merge_sort_block_merge_implIS3_NS6_6detail15normal_iteratorINS6_10device_ptrIjEEEENSD_INSE_IS9_EEEEjNS1_19radix_merge_compareILb0ELb1EjNS0_19identity_decomposerEEEEE10hipError_tT0_T1_T2_jT3_P12ihipStream_tbPNSt15iterator_traitsISN_E10value_typeEPNST_ISO_E10value_typeEPSP_NS1_7vsmem_tEENKUlT_SN_SO_SP_E_clISG_PjSI_PS9_EESM_S12_SN_SO_SP_EUlS12_E0_NS1_11comp_targetILNS1_3genE4ELNS1_11target_archE910ELNS1_3gpuE8ELNS1_3repE0EEENS1_38merge_mergepath_config_static_selectorELNS0_4arch9wavefront6targetE0EEEvSO_.kd
    .uniform_work_group_size: 1
    .uses_dynamic_stack: false
    .vgpr_count:     0
    .vgpr_spill_count: 0
    .wavefront_size: 32
    .workgroup_processor_mode: 1
  - .args:
      - .offset:         0
        .size:           64
        .value_kind:     by_value
    .group_segment_fixed_size: 0
    .kernarg_segment_align: 8
    .kernarg_segment_size: 64
    .language:       OpenCL C
    .language_version:
      - 2
      - 0
    .max_flat_workgroup_size: 512
    .name:           _ZN7rocprim17ROCPRIM_400000_NS6detail17trampoline_kernelINS0_14default_configENS1_38merge_sort_block_merge_config_selectorIjN6thrust23THRUST_200600_302600_NS5tupleIffNS6_9null_typeES8_S8_S8_S8_S8_S8_S8_EEEEZZNS1_27merge_sort_block_merge_implIS3_NS6_6detail15normal_iteratorINS6_10device_ptrIjEEEENSD_INSE_IS9_EEEEjNS1_19radix_merge_compareILb0ELb1EjNS0_19identity_decomposerEEEEE10hipError_tT0_T1_T2_jT3_P12ihipStream_tbPNSt15iterator_traitsISN_E10value_typeEPNST_ISO_E10value_typeEPSP_NS1_7vsmem_tEENKUlT_SN_SO_SP_E_clISG_PjSI_PS9_EESM_S12_SN_SO_SP_EUlS12_E0_NS1_11comp_targetILNS1_3genE3ELNS1_11target_archE908ELNS1_3gpuE7ELNS1_3repE0EEENS1_38merge_mergepath_config_static_selectorELNS0_4arch9wavefront6targetE0EEEvSO_
    .private_segment_fixed_size: 0
    .sgpr_count:     0
    .sgpr_spill_count: 0
    .symbol:         _ZN7rocprim17ROCPRIM_400000_NS6detail17trampoline_kernelINS0_14default_configENS1_38merge_sort_block_merge_config_selectorIjN6thrust23THRUST_200600_302600_NS5tupleIffNS6_9null_typeES8_S8_S8_S8_S8_S8_S8_EEEEZZNS1_27merge_sort_block_merge_implIS3_NS6_6detail15normal_iteratorINS6_10device_ptrIjEEEENSD_INSE_IS9_EEEEjNS1_19radix_merge_compareILb0ELb1EjNS0_19identity_decomposerEEEEE10hipError_tT0_T1_T2_jT3_P12ihipStream_tbPNSt15iterator_traitsISN_E10value_typeEPNST_ISO_E10value_typeEPSP_NS1_7vsmem_tEENKUlT_SN_SO_SP_E_clISG_PjSI_PS9_EESM_S12_SN_SO_SP_EUlS12_E0_NS1_11comp_targetILNS1_3genE3ELNS1_11target_archE908ELNS1_3gpuE7ELNS1_3repE0EEENS1_38merge_mergepath_config_static_selectorELNS0_4arch9wavefront6targetE0EEEvSO_.kd
    .uniform_work_group_size: 1
    .uses_dynamic_stack: false
    .vgpr_count:     0
    .vgpr_spill_count: 0
    .wavefront_size: 32
    .workgroup_processor_mode: 1
  - .args:
      - .offset:         0
        .size:           64
        .value_kind:     by_value
    .group_segment_fixed_size: 0
    .kernarg_segment_align: 8
    .kernarg_segment_size: 64
    .language:       OpenCL C
    .language_version:
      - 2
      - 0
    .max_flat_workgroup_size: 256
    .name:           _ZN7rocprim17ROCPRIM_400000_NS6detail17trampoline_kernelINS0_14default_configENS1_38merge_sort_block_merge_config_selectorIjN6thrust23THRUST_200600_302600_NS5tupleIffNS6_9null_typeES8_S8_S8_S8_S8_S8_S8_EEEEZZNS1_27merge_sort_block_merge_implIS3_NS6_6detail15normal_iteratorINS6_10device_ptrIjEEEENSD_INSE_IS9_EEEEjNS1_19radix_merge_compareILb0ELb1EjNS0_19identity_decomposerEEEEE10hipError_tT0_T1_T2_jT3_P12ihipStream_tbPNSt15iterator_traitsISN_E10value_typeEPNST_ISO_E10value_typeEPSP_NS1_7vsmem_tEENKUlT_SN_SO_SP_E_clISG_PjSI_PS9_EESM_S12_SN_SO_SP_EUlS12_E0_NS1_11comp_targetILNS1_3genE2ELNS1_11target_archE906ELNS1_3gpuE6ELNS1_3repE0EEENS1_38merge_mergepath_config_static_selectorELNS0_4arch9wavefront6targetE0EEEvSO_
    .private_segment_fixed_size: 0
    .sgpr_count:     0
    .sgpr_spill_count: 0
    .symbol:         _ZN7rocprim17ROCPRIM_400000_NS6detail17trampoline_kernelINS0_14default_configENS1_38merge_sort_block_merge_config_selectorIjN6thrust23THRUST_200600_302600_NS5tupleIffNS6_9null_typeES8_S8_S8_S8_S8_S8_S8_EEEEZZNS1_27merge_sort_block_merge_implIS3_NS6_6detail15normal_iteratorINS6_10device_ptrIjEEEENSD_INSE_IS9_EEEEjNS1_19radix_merge_compareILb0ELb1EjNS0_19identity_decomposerEEEEE10hipError_tT0_T1_T2_jT3_P12ihipStream_tbPNSt15iterator_traitsISN_E10value_typeEPNST_ISO_E10value_typeEPSP_NS1_7vsmem_tEENKUlT_SN_SO_SP_E_clISG_PjSI_PS9_EESM_S12_SN_SO_SP_EUlS12_E0_NS1_11comp_targetILNS1_3genE2ELNS1_11target_archE906ELNS1_3gpuE6ELNS1_3repE0EEENS1_38merge_mergepath_config_static_selectorELNS0_4arch9wavefront6targetE0EEEvSO_.kd
    .uniform_work_group_size: 1
    .uses_dynamic_stack: false
    .vgpr_count:     0
    .vgpr_spill_count: 0
    .wavefront_size: 32
    .workgroup_processor_mode: 1
  - .args:
      - .offset:         0
        .size:           64
        .value_kind:     by_value
    .group_segment_fixed_size: 0
    .kernarg_segment_align: 8
    .kernarg_segment_size: 64
    .language:       OpenCL C
    .language_version:
      - 2
      - 0
    .max_flat_workgroup_size: 512
    .name:           _ZN7rocprim17ROCPRIM_400000_NS6detail17trampoline_kernelINS0_14default_configENS1_38merge_sort_block_merge_config_selectorIjN6thrust23THRUST_200600_302600_NS5tupleIffNS6_9null_typeES8_S8_S8_S8_S8_S8_S8_EEEEZZNS1_27merge_sort_block_merge_implIS3_NS6_6detail15normal_iteratorINS6_10device_ptrIjEEEENSD_INSE_IS9_EEEEjNS1_19radix_merge_compareILb0ELb1EjNS0_19identity_decomposerEEEEE10hipError_tT0_T1_T2_jT3_P12ihipStream_tbPNSt15iterator_traitsISN_E10value_typeEPNST_ISO_E10value_typeEPSP_NS1_7vsmem_tEENKUlT_SN_SO_SP_E_clISG_PjSI_PS9_EESM_S12_SN_SO_SP_EUlS12_E0_NS1_11comp_targetILNS1_3genE9ELNS1_11target_archE1100ELNS1_3gpuE3ELNS1_3repE0EEENS1_38merge_mergepath_config_static_selectorELNS0_4arch9wavefront6targetE0EEEvSO_
    .private_segment_fixed_size: 0
    .sgpr_count:     0
    .sgpr_spill_count: 0
    .symbol:         _ZN7rocprim17ROCPRIM_400000_NS6detail17trampoline_kernelINS0_14default_configENS1_38merge_sort_block_merge_config_selectorIjN6thrust23THRUST_200600_302600_NS5tupleIffNS6_9null_typeES8_S8_S8_S8_S8_S8_S8_EEEEZZNS1_27merge_sort_block_merge_implIS3_NS6_6detail15normal_iteratorINS6_10device_ptrIjEEEENSD_INSE_IS9_EEEEjNS1_19radix_merge_compareILb0ELb1EjNS0_19identity_decomposerEEEEE10hipError_tT0_T1_T2_jT3_P12ihipStream_tbPNSt15iterator_traitsISN_E10value_typeEPNST_ISO_E10value_typeEPSP_NS1_7vsmem_tEENKUlT_SN_SO_SP_E_clISG_PjSI_PS9_EESM_S12_SN_SO_SP_EUlS12_E0_NS1_11comp_targetILNS1_3genE9ELNS1_11target_archE1100ELNS1_3gpuE3ELNS1_3repE0EEENS1_38merge_mergepath_config_static_selectorELNS0_4arch9wavefront6targetE0EEEvSO_.kd
    .uniform_work_group_size: 1
    .uses_dynamic_stack: false
    .vgpr_count:     0
    .vgpr_spill_count: 0
    .wavefront_size: 32
    .workgroup_processor_mode: 1
  - .args:
      - .offset:         0
        .size:           64
        .value_kind:     by_value
      - .offset:         64
        .size:           4
        .value_kind:     hidden_block_count_x
      - .offset:         68
        .size:           4
        .value_kind:     hidden_block_count_y
      - .offset:         72
        .size:           4
        .value_kind:     hidden_block_count_z
      - .offset:         76
        .size:           2
        .value_kind:     hidden_group_size_x
      - .offset:         78
        .size:           2
        .value_kind:     hidden_group_size_y
      - .offset:         80
        .size:           2
        .value_kind:     hidden_group_size_z
      - .offset:         82
        .size:           2
        .value_kind:     hidden_remainder_x
      - .offset:         84
        .size:           2
        .value_kind:     hidden_remainder_y
      - .offset:         86
        .size:           2
        .value_kind:     hidden_remainder_z
      - .offset:         104
        .size:           8
        .value_kind:     hidden_global_offset_x
      - .offset:         112
        .size:           8
        .value_kind:     hidden_global_offset_y
      - .offset:         120
        .size:           8
        .value_kind:     hidden_global_offset_z
      - .offset:         128
        .size:           2
        .value_kind:     hidden_grid_dims
    .group_segment_fixed_size: 8208
    .kernarg_segment_align: 8
    .kernarg_segment_size: 320
    .language:       OpenCL C
    .language_version:
      - 2
      - 0
    .max_flat_workgroup_size: 1024
    .name:           _ZN7rocprim17ROCPRIM_400000_NS6detail17trampoline_kernelINS0_14default_configENS1_38merge_sort_block_merge_config_selectorIjN6thrust23THRUST_200600_302600_NS5tupleIffNS6_9null_typeES8_S8_S8_S8_S8_S8_S8_EEEEZZNS1_27merge_sort_block_merge_implIS3_NS6_6detail15normal_iteratorINS6_10device_ptrIjEEEENSD_INSE_IS9_EEEEjNS1_19radix_merge_compareILb0ELb1EjNS0_19identity_decomposerEEEEE10hipError_tT0_T1_T2_jT3_P12ihipStream_tbPNSt15iterator_traitsISN_E10value_typeEPNST_ISO_E10value_typeEPSP_NS1_7vsmem_tEENKUlT_SN_SO_SP_E_clISG_PjSI_PS9_EESM_S12_SN_SO_SP_EUlS12_E0_NS1_11comp_targetILNS1_3genE8ELNS1_11target_archE1030ELNS1_3gpuE2ELNS1_3repE0EEENS1_38merge_mergepath_config_static_selectorELNS0_4arch9wavefront6targetE0EEEvSO_
    .private_segment_fixed_size: 0
    .sgpr_count:     27
    .sgpr_spill_count: 0
    .symbol:         _ZN7rocprim17ROCPRIM_400000_NS6detail17trampoline_kernelINS0_14default_configENS1_38merge_sort_block_merge_config_selectorIjN6thrust23THRUST_200600_302600_NS5tupleIffNS6_9null_typeES8_S8_S8_S8_S8_S8_S8_EEEEZZNS1_27merge_sort_block_merge_implIS3_NS6_6detail15normal_iteratorINS6_10device_ptrIjEEEENSD_INSE_IS9_EEEEjNS1_19radix_merge_compareILb0ELb1EjNS0_19identity_decomposerEEEEE10hipError_tT0_T1_T2_jT3_P12ihipStream_tbPNSt15iterator_traitsISN_E10value_typeEPNST_ISO_E10value_typeEPSP_NS1_7vsmem_tEENKUlT_SN_SO_SP_E_clISG_PjSI_PS9_EESM_S12_SN_SO_SP_EUlS12_E0_NS1_11comp_targetILNS1_3genE8ELNS1_11target_archE1030ELNS1_3gpuE2ELNS1_3repE0EEENS1_38merge_mergepath_config_static_selectorELNS0_4arch9wavefront6targetE0EEEvSO_.kd
    .uniform_work_group_size: 1
    .uses_dynamic_stack: false
    .vgpr_count:     14
    .vgpr_spill_count: 0
    .wavefront_size: 32
    .workgroup_processor_mode: 1
  - .args:
      - .offset:         0
        .size:           48
        .value_kind:     by_value
    .group_segment_fixed_size: 0
    .kernarg_segment_align: 8
    .kernarg_segment_size: 48
    .language:       OpenCL C
    .language_version:
      - 2
      - 0
    .max_flat_workgroup_size: 256
    .name:           _ZN7rocprim17ROCPRIM_400000_NS6detail17trampoline_kernelINS0_14default_configENS1_38merge_sort_block_merge_config_selectorIjN6thrust23THRUST_200600_302600_NS5tupleIffNS6_9null_typeES8_S8_S8_S8_S8_S8_S8_EEEEZZNS1_27merge_sort_block_merge_implIS3_NS6_6detail15normal_iteratorINS6_10device_ptrIjEEEENSD_INSE_IS9_EEEEjNS1_19radix_merge_compareILb0ELb1EjNS0_19identity_decomposerEEEEE10hipError_tT0_T1_T2_jT3_P12ihipStream_tbPNSt15iterator_traitsISN_E10value_typeEPNST_ISO_E10value_typeEPSP_NS1_7vsmem_tEENKUlT_SN_SO_SP_E_clISG_PjSI_PS9_EESM_S12_SN_SO_SP_EUlS12_E1_NS1_11comp_targetILNS1_3genE0ELNS1_11target_archE4294967295ELNS1_3gpuE0ELNS1_3repE0EEENS1_36merge_oddeven_config_static_selectorELNS0_4arch9wavefront6targetE0EEEvSO_
    .private_segment_fixed_size: 0
    .sgpr_count:     0
    .sgpr_spill_count: 0
    .symbol:         _ZN7rocprim17ROCPRIM_400000_NS6detail17trampoline_kernelINS0_14default_configENS1_38merge_sort_block_merge_config_selectorIjN6thrust23THRUST_200600_302600_NS5tupleIffNS6_9null_typeES8_S8_S8_S8_S8_S8_S8_EEEEZZNS1_27merge_sort_block_merge_implIS3_NS6_6detail15normal_iteratorINS6_10device_ptrIjEEEENSD_INSE_IS9_EEEEjNS1_19radix_merge_compareILb0ELb1EjNS0_19identity_decomposerEEEEE10hipError_tT0_T1_T2_jT3_P12ihipStream_tbPNSt15iterator_traitsISN_E10value_typeEPNST_ISO_E10value_typeEPSP_NS1_7vsmem_tEENKUlT_SN_SO_SP_E_clISG_PjSI_PS9_EESM_S12_SN_SO_SP_EUlS12_E1_NS1_11comp_targetILNS1_3genE0ELNS1_11target_archE4294967295ELNS1_3gpuE0ELNS1_3repE0EEENS1_36merge_oddeven_config_static_selectorELNS0_4arch9wavefront6targetE0EEEvSO_.kd
    .uniform_work_group_size: 1
    .uses_dynamic_stack: false
    .vgpr_count:     0
    .vgpr_spill_count: 0
    .wavefront_size: 32
    .workgroup_processor_mode: 1
  - .args:
      - .offset:         0
        .size:           48
        .value_kind:     by_value
    .group_segment_fixed_size: 0
    .kernarg_segment_align: 8
    .kernarg_segment_size: 48
    .language:       OpenCL C
    .language_version:
      - 2
      - 0
    .max_flat_workgroup_size: 256
    .name:           _ZN7rocprim17ROCPRIM_400000_NS6detail17trampoline_kernelINS0_14default_configENS1_38merge_sort_block_merge_config_selectorIjN6thrust23THRUST_200600_302600_NS5tupleIffNS6_9null_typeES8_S8_S8_S8_S8_S8_S8_EEEEZZNS1_27merge_sort_block_merge_implIS3_NS6_6detail15normal_iteratorINS6_10device_ptrIjEEEENSD_INSE_IS9_EEEEjNS1_19radix_merge_compareILb0ELb1EjNS0_19identity_decomposerEEEEE10hipError_tT0_T1_T2_jT3_P12ihipStream_tbPNSt15iterator_traitsISN_E10value_typeEPNST_ISO_E10value_typeEPSP_NS1_7vsmem_tEENKUlT_SN_SO_SP_E_clISG_PjSI_PS9_EESM_S12_SN_SO_SP_EUlS12_E1_NS1_11comp_targetILNS1_3genE10ELNS1_11target_archE1201ELNS1_3gpuE5ELNS1_3repE0EEENS1_36merge_oddeven_config_static_selectorELNS0_4arch9wavefront6targetE0EEEvSO_
    .private_segment_fixed_size: 0
    .sgpr_count:     0
    .sgpr_spill_count: 0
    .symbol:         _ZN7rocprim17ROCPRIM_400000_NS6detail17trampoline_kernelINS0_14default_configENS1_38merge_sort_block_merge_config_selectorIjN6thrust23THRUST_200600_302600_NS5tupleIffNS6_9null_typeES8_S8_S8_S8_S8_S8_S8_EEEEZZNS1_27merge_sort_block_merge_implIS3_NS6_6detail15normal_iteratorINS6_10device_ptrIjEEEENSD_INSE_IS9_EEEEjNS1_19radix_merge_compareILb0ELb1EjNS0_19identity_decomposerEEEEE10hipError_tT0_T1_T2_jT3_P12ihipStream_tbPNSt15iterator_traitsISN_E10value_typeEPNST_ISO_E10value_typeEPSP_NS1_7vsmem_tEENKUlT_SN_SO_SP_E_clISG_PjSI_PS9_EESM_S12_SN_SO_SP_EUlS12_E1_NS1_11comp_targetILNS1_3genE10ELNS1_11target_archE1201ELNS1_3gpuE5ELNS1_3repE0EEENS1_36merge_oddeven_config_static_selectorELNS0_4arch9wavefront6targetE0EEEvSO_.kd
    .uniform_work_group_size: 1
    .uses_dynamic_stack: false
    .vgpr_count:     0
    .vgpr_spill_count: 0
    .wavefront_size: 32
    .workgroup_processor_mode: 1
  - .args:
      - .offset:         0
        .size:           48
        .value_kind:     by_value
    .group_segment_fixed_size: 0
    .kernarg_segment_align: 8
    .kernarg_segment_size: 48
    .language:       OpenCL C
    .language_version:
      - 2
      - 0
    .max_flat_workgroup_size: 256
    .name:           _ZN7rocprim17ROCPRIM_400000_NS6detail17trampoline_kernelINS0_14default_configENS1_38merge_sort_block_merge_config_selectorIjN6thrust23THRUST_200600_302600_NS5tupleIffNS6_9null_typeES8_S8_S8_S8_S8_S8_S8_EEEEZZNS1_27merge_sort_block_merge_implIS3_NS6_6detail15normal_iteratorINS6_10device_ptrIjEEEENSD_INSE_IS9_EEEEjNS1_19radix_merge_compareILb0ELb1EjNS0_19identity_decomposerEEEEE10hipError_tT0_T1_T2_jT3_P12ihipStream_tbPNSt15iterator_traitsISN_E10value_typeEPNST_ISO_E10value_typeEPSP_NS1_7vsmem_tEENKUlT_SN_SO_SP_E_clISG_PjSI_PS9_EESM_S12_SN_SO_SP_EUlS12_E1_NS1_11comp_targetILNS1_3genE5ELNS1_11target_archE942ELNS1_3gpuE9ELNS1_3repE0EEENS1_36merge_oddeven_config_static_selectorELNS0_4arch9wavefront6targetE0EEEvSO_
    .private_segment_fixed_size: 0
    .sgpr_count:     0
    .sgpr_spill_count: 0
    .symbol:         _ZN7rocprim17ROCPRIM_400000_NS6detail17trampoline_kernelINS0_14default_configENS1_38merge_sort_block_merge_config_selectorIjN6thrust23THRUST_200600_302600_NS5tupleIffNS6_9null_typeES8_S8_S8_S8_S8_S8_S8_EEEEZZNS1_27merge_sort_block_merge_implIS3_NS6_6detail15normal_iteratorINS6_10device_ptrIjEEEENSD_INSE_IS9_EEEEjNS1_19radix_merge_compareILb0ELb1EjNS0_19identity_decomposerEEEEE10hipError_tT0_T1_T2_jT3_P12ihipStream_tbPNSt15iterator_traitsISN_E10value_typeEPNST_ISO_E10value_typeEPSP_NS1_7vsmem_tEENKUlT_SN_SO_SP_E_clISG_PjSI_PS9_EESM_S12_SN_SO_SP_EUlS12_E1_NS1_11comp_targetILNS1_3genE5ELNS1_11target_archE942ELNS1_3gpuE9ELNS1_3repE0EEENS1_36merge_oddeven_config_static_selectorELNS0_4arch9wavefront6targetE0EEEvSO_.kd
    .uniform_work_group_size: 1
    .uses_dynamic_stack: false
    .vgpr_count:     0
    .vgpr_spill_count: 0
    .wavefront_size: 32
    .workgroup_processor_mode: 1
  - .args:
      - .offset:         0
        .size:           48
        .value_kind:     by_value
    .group_segment_fixed_size: 0
    .kernarg_segment_align: 8
    .kernarg_segment_size: 48
    .language:       OpenCL C
    .language_version:
      - 2
      - 0
    .max_flat_workgroup_size: 256
    .name:           _ZN7rocprim17ROCPRIM_400000_NS6detail17trampoline_kernelINS0_14default_configENS1_38merge_sort_block_merge_config_selectorIjN6thrust23THRUST_200600_302600_NS5tupleIffNS6_9null_typeES8_S8_S8_S8_S8_S8_S8_EEEEZZNS1_27merge_sort_block_merge_implIS3_NS6_6detail15normal_iteratorINS6_10device_ptrIjEEEENSD_INSE_IS9_EEEEjNS1_19radix_merge_compareILb0ELb1EjNS0_19identity_decomposerEEEEE10hipError_tT0_T1_T2_jT3_P12ihipStream_tbPNSt15iterator_traitsISN_E10value_typeEPNST_ISO_E10value_typeEPSP_NS1_7vsmem_tEENKUlT_SN_SO_SP_E_clISG_PjSI_PS9_EESM_S12_SN_SO_SP_EUlS12_E1_NS1_11comp_targetILNS1_3genE4ELNS1_11target_archE910ELNS1_3gpuE8ELNS1_3repE0EEENS1_36merge_oddeven_config_static_selectorELNS0_4arch9wavefront6targetE0EEEvSO_
    .private_segment_fixed_size: 0
    .sgpr_count:     0
    .sgpr_spill_count: 0
    .symbol:         _ZN7rocprim17ROCPRIM_400000_NS6detail17trampoline_kernelINS0_14default_configENS1_38merge_sort_block_merge_config_selectorIjN6thrust23THRUST_200600_302600_NS5tupleIffNS6_9null_typeES8_S8_S8_S8_S8_S8_S8_EEEEZZNS1_27merge_sort_block_merge_implIS3_NS6_6detail15normal_iteratorINS6_10device_ptrIjEEEENSD_INSE_IS9_EEEEjNS1_19radix_merge_compareILb0ELb1EjNS0_19identity_decomposerEEEEE10hipError_tT0_T1_T2_jT3_P12ihipStream_tbPNSt15iterator_traitsISN_E10value_typeEPNST_ISO_E10value_typeEPSP_NS1_7vsmem_tEENKUlT_SN_SO_SP_E_clISG_PjSI_PS9_EESM_S12_SN_SO_SP_EUlS12_E1_NS1_11comp_targetILNS1_3genE4ELNS1_11target_archE910ELNS1_3gpuE8ELNS1_3repE0EEENS1_36merge_oddeven_config_static_selectorELNS0_4arch9wavefront6targetE0EEEvSO_.kd
    .uniform_work_group_size: 1
    .uses_dynamic_stack: false
    .vgpr_count:     0
    .vgpr_spill_count: 0
    .wavefront_size: 32
    .workgroup_processor_mode: 1
  - .args:
      - .offset:         0
        .size:           48
        .value_kind:     by_value
    .group_segment_fixed_size: 0
    .kernarg_segment_align: 8
    .kernarg_segment_size: 48
    .language:       OpenCL C
    .language_version:
      - 2
      - 0
    .max_flat_workgroup_size: 256
    .name:           _ZN7rocprim17ROCPRIM_400000_NS6detail17trampoline_kernelINS0_14default_configENS1_38merge_sort_block_merge_config_selectorIjN6thrust23THRUST_200600_302600_NS5tupleIffNS6_9null_typeES8_S8_S8_S8_S8_S8_S8_EEEEZZNS1_27merge_sort_block_merge_implIS3_NS6_6detail15normal_iteratorINS6_10device_ptrIjEEEENSD_INSE_IS9_EEEEjNS1_19radix_merge_compareILb0ELb1EjNS0_19identity_decomposerEEEEE10hipError_tT0_T1_T2_jT3_P12ihipStream_tbPNSt15iterator_traitsISN_E10value_typeEPNST_ISO_E10value_typeEPSP_NS1_7vsmem_tEENKUlT_SN_SO_SP_E_clISG_PjSI_PS9_EESM_S12_SN_SO_SP_EUlS12_E1_NS1_11comp_targetILNS1_3genE3ELNS1_11target_archE908ELNS1_3gpuE7ELNS1_3repE0EEENS1_36merge_oddeven_config_static_selectorELNS0_4arch9wavefront6targetE0EEEvSO_
    .private_segment_fixed_size: 0
    .sgpr_count:     0
    .sgpr_spill_count: 0
    .symbol:         _ZN7rocprim17ROCPRIM_400000_NS6detail17trampoline_kernelINS0_14default_configENS1_38merge_sort_block_merge_config_selectorIjN6thrust23THRUST_200600_302600_NS5tupleIffNS6_9null_typeES8_S8_S8_S8_S8_S8_S8_EEEEZZNS1_27merge_sort_block_merge_implIS3_NS6_6detail15normal_iteratorINS6_10device_ptrIjEEEENSD_INSE_IS9_EEEEjNS1_19radix_merge_compareILb0ELb1EjNS0_19identity_decomposerEEEEE10hipError_tT0_T1_T2_jT3_P12ihipStream_tbPNSt15iterator_traitsISN_E10value_typeEPNST_ISO_E10value_typeEPSP_NS1_7vsmem_tEENKUlT_SN_SO_SP_E_clISG_PjSI_PS9_EESM_S12_SN_SO_SP_EUlS12_E1_NS1_11comp_targetILNS1_3genE3ELNS1_11target_archE908ELNS1_3gpuE7ELNS1_3repE0EEENS1_36merge_oddeven_config_static_selectorELNS0_4arch9wavefront6targetE0EEEvSO_.kd
    .uniform_work_group_size: 1
    .uses_dynamic_stack: false
    .vgpr_count:     0
    .vgpr_spill_count: 0
    .wavefront_size: 32
    .workgroup_processor_mode: 1
  - .args:
      - .offset:         0
        .size:           48
        .value_kind:     by_value
    .group_segment_fixed_size: 0
    .kernarg_segment_align: 8
    .kernarg_segment_size: 48
    .language:       OpenCL C
    .language_version:
      - 2
      - 0
    .max_flat_workgroup_size: 256
    .name:           _ZN7rocprim17ROCPRIM_400000_NS6detail17trampoline_kernelINS0_14default_configENS1_38merge_sort_block_merge_config_selectorIjN6thrust23THRUST_200600_302600_NS5tupleIffNS6_9null_typeES8_S8_S8_S8_S8_S8_S8_EEEEZZNS1_27merge_sort_block_merge_implIS3_NS6_6detail15normal_iteratorINS6_10device_ptrIjEEEENSD_INSE_IS9_EEEEjNS1_19radix_merge_compareILb0ELb1EjNS0_19identity_decomposerEEEEE10hipError_tT0_T1_T2_jT3_P12ihipStream_tbPNSt15iterator_traitsISN_E10value_typeEPNST_ISO_E10value_typeEPSP_NS1_7vsmem_tEENKUlT_SN_SO_SP_E_clISG_PjSI_PS9_EESM_S12_SN_SO_SP_EUlS12_E1_NS1_11comp_targetILNS1_3genE2ELNS1_11target_archE906ELNS1_3gpuE6ELNS1_3repE0EEENS1_36merge_oddeven_config_static_selectorELNS0_4arch9wavefront6targetE0EEEvSO_
    .private_segment_fixed_size: 0
    .sgpr_count:     0
    .sgpr_spill_count: 0
    .symbol:         _ZN7rocprim17ROCPRIM_400000_NS6detail17trampoline_kernelINS0_14default_configENS1_38merge_sort_block_merge_config_selectorIjN6thrust23THRUST_200600_302600_NS5tupleIffNS6_9null_typeES8_S8_S8_S8_S8_S8_S8_EEEEZZNS1_27merge_sort_block_merge_implIS3_NS6_6detail15normal_iteratorINS6_10device_ptrIjEEEENSD_INSE_IS9_EEEEjNS1_19radix_merge_compareILb0ELb1EjNS0_19identity_decomposerEEEEE10hipError_tT0_T1_T2_jT3_P12ihipStream_tbPNSt15iterator_traitsISN_E10value_typeEPNST_ISO_E10value_typeEPSP_NS1_7vsmem_tEENKUlT_SN_SO_SP_E_clISG_PjSI_PS9_EESM_S12_SN_SO_SP_EUlS12_E1_NS1_11comp_targetILNS1_3genE2ELNS1_11target_archE906ELNS1_3gpuE6ELNS1_3repE0EEENS1_36merge_oddeven_config_static_selectorELNS0_4arch9wavefront6targetE0EEEvSO_.kd
    .uniform_work_group_size: 1
    .uses_dynamic_stack: false
    .vgpr_count:     0
    .vgpr_spill_count: 0
    .wavefront_size: 32
    .workgroup_processor_mode: 1
  - .args:
      - .offset:         0
        .size:           48
        .value_kind:     by_value
    .group_segment_fixed_size: 0
    .kernarg_segment_align: 8
    .kernarg_segment_size: 48
    .language:       OpenCL C
    .language_version:
      - 2
      - 0
    .max_flat_workgroup_size: 256
    .name:           _ZN7rocprim17ROCPRIM_400000_NS6detail17trampoline_kernelINS0_14default_configENS1_38merge_sort_block_merge_config_selectorIjN6thrust23THRUST_200600_302600_NS5tupleIffNS6_9null_typeES8_S8_S8_S8_S8_S8_S8_EEEEZZNS1_27merge_sort_block_merge_implIS3_NS6_6detail15normal_iteratorINS6_10device_ptrIjEEEENSD_INSE_IS9_EEEEjNS1_19radix_merge_compareILb0ELb1EjNS0_19identity_decomposerEEEEE10hipError_tT0_T1_T2_jT3_P12ihipStream_tbPNSt15iterator_traitsISN_E10value_typeEPNST_ISO_E10value_typeEPSP_NS1_7vsmem_tEENKUlT_SN_SO_SP_E_clISG_PjSI_PS9_EESM_S12_SN_SO_SP_EUlS12_E1_NS1_11comp_targetILNS1_3genE9ELNS1_11target_archE1100ELNS1_3gpuE3ELNS1_3repE0EEENS1_36merge_oddeven_config_static_selectorELNS0_4arch9wavefront6targetE0EEEvSO_
    .private_segment_fixed_size: 0
    .sgpr_count:     0
    .sgpr_spill_count: 0
    .symbol:         _ZN7rocprim17ROCPRIM_400000_NS6detail17trampoline_kernelINS0_14default_configENS1_38merge_sort_block_merge_config_selectorIjN6thrust23THRUST_200600_302600_NS5tupleIffNS6_9null_typeES8_S8_S8_S8_S8_S8_S8_EEEEZZNS1_27merge_sort_block_merge_implIS3_NS6_6detail15normal_iteratorINS6_10device_ptrIjEEEENSD_INSE_IS9_EEEEjNS1_19radix_merge_compareILb0ELb1EjNS0_19identity_decomposerEEEEE10hipError_tT0_T1_T2_jT3_P12ihipStream_tbPNSt15iterator_traitsISN_E10value_typeEPNST_ISO_E10value_typeEPSP_NS1_7vsmem_tEENKUlT_SN_SO_SP_E_clISG_PjSI_PS9_EESM_S12_SN_SO_SP_EUlS12_E1_NS1_11comp_targetILNS1_3genE9ELNS1_11target_archE1100ELNS1_3gpuE3ELNS1_3repE0EEENS1_36merge_oddeven_config_static_selectorELNS0_4arch9wavefront6targetE0EEEvSO_.kd
    .uniform_work_group_size: 1
    .uses_dynamic_stack: false
    .vgpr_count:     0
    .vgpr_spill_count: 0
    .wavefront_size: 32
    .workgroup_processor_mode: 1
  - .args:
      - .offset:         0
        .size:           48
        .value_kind:     by_value
    .group_segment_fixed_size: 0
    .kernarg_segment_align: 8
    .kernarg_segment_size: 48
    .language:       OpenCL C
    .language_version:
      - 2
      - 0
    .max_flat_workgroup_size: 256
    .name:           _ZN7rocprim17ROCPRIM_400000_NS6detail17trampoline_kernelINS0_14default_configENS1_38merge_sort_block_merge_config_selectorIjN6thrust23THRUST_200600_302600_NS5tupleIffNS6_9null_typeES8_S8_S8_S8_S8_S8_S8_EEEEZZNS1_27merge_sort_block_merge_implIS3_NS6_6detail15normal_iteratorINS6_10device_ptrIjEEEENSD_INSE_IS9_EEEEjNS1_19radix_merge_compareILb0ELb1EjNS0_19identity_decomposerEEEEE10hipError_tT0_T1_T2_jT3_P12ihipStream_tbPNSt15iterator_traitsISN_E10value_typeEPNST_ISO_E10value_typeEPSP_NS1_7vsmem_tEENKUlT_SN_SO_SP_E_clISG_PjSI_PS9_EESM_S12_SN_SO_SP_EUlS12_E1_NS1_11comp_targetILNS1_3genE8ELNS1_11target_archE1030ELNS1_3gpuE2ELNS1_3repE0EEENS1_36merge_oddeven_config_static_selectorELNS0_4arch9wavefront6targetE0EEEvSO_
    .private_segment_fixed_size: 0
    .sgpr_count:     24
    .sgpr_spill_count: 0
    .symbol:         _ZN7rocprim17ROCPRIM_400000_NS6detail17trampoline_kernelINS0_14default_configENS1_38merge_sort_block_merge_config_selectorIjN6thrust23THRUST_200600_302600_NS5tupleIffNS6_9null_typeES8_S8_S8_S8_S8_S8_S8_EEEEZZNS1_27merge_sort_block_merge_implIS3_NS6_6detail15normal_iteratorINS6_10device_ptrIjEEEENSD_INSE_IS9_EEEEjNS1_19radix_merge_compareILb0ELb1EjNS0_19identity_decomposerEEEEE10hipError_tT0_T1_T2_jT3_P12ihipStream_tbPNSt15iterator_traitsISN_E10value_typeEPNST_ISO_E10value_typeEPSP_NS1_7vsmem_tEENKUlT_SN_SO_SP_E_clISG_PjSI_PS9_EESM_S12_SN_SO_SP_EUlS12_E1_NS1_11comp_targetILNS1_3genE8ELNS1_11target_archE1030ELNS1_3gpuE2ELNS1_3repE0EEENS1_36merge_oddeven_config_static_selectorELNS0_4arch9wavefront6targetE0EEEvSO_.kd
    .uniform_work_group_size: 1
    .uses_dynamic_stack: false
    .vgpr_count:     11
    .vgpr_spill_count: 0
    .wavefront_size: 32
    .workgroup_processor_mode: 1
  - .args:
      - .offset:         0
        .size:           40
        .value_kind:     by_value
    .group_segment_fixed_size: 0
    .kernarg_segment_align: 8
    .kernarg_segment_size: 40
    .language:       OpenCL C
    .language_version:
      - 2
      - 0
    .max_flat_workgroup_size: 512
    .name:           _ZN7rocprim17ROCPRIM_400000_NS6detail17trampoline_kernelINS0_14default_configENS1_35radix_sort_onesweep_config_selectorIjN6thrust23THRUST_200600_302600_NS5tupleIffNS6_9null_typeES8_S8_S8_S8_S8_S8_S8_EEEEZNS1_34radix_sort_onesweep_global_offsetsIS3_Lb0ENS6_6detail15normal_iteratorINS6_10device_ptrIjEEEENSD_INSE_IS9_EEEEjNS0_19identity_decomposerEEE10hipError_tT1_T2_PT3_SN_jT4_jjP12ihipStream_tbEUlT_E_NS1_11comp_targetILNS1_3genE0ELNS1_11target_archE4294967295ELNS1_3gpuE0ELNS1_3repE0EEENS1_52radix_sort_onesweep_histogram_config_static_selectorELNS0_4arch9wavefront6targetE0EEEvSL_
    .private_segment_fixed_size: 0
    .sgpr_count:     0
    .sgpr_spill_count: 0
    .symbol:         _ZN7rocprim17ROCPRIM_400000_NS6detail17trampoline_kernelINS0_14default_configENS1_35radix_sort_onesweep_config_selectorIjN6thrust23THRUST_200600_302600_NS5tupleIffNS6_9null_typeES8_S8_S8_S8_S8_S8_S8_EEEEZNS1_34radix_sort_onesweep_global_offsetsIS3_Lb0ENS6_6detail15normal_iteratorINS6_10device_ptrIjEEEENSD_INSE_IS9_EEEEjNS0_19identity_decomposerEEE10hipError_tT1_T2_PT3_SN_jT4_jjP12ihipStream_tbEUlT_E_NS1_11comp_targetILNS1_3genE0ELNS1_11target_archE4294967295ELNS1_3gpuE0ELNS1_3repE0EEENS1_52radix_sort_onesweep_histogram_config_static_selectorELNS0_4arch9wavefront6targetE0EEEvSL_.kd
    .uniform_work_group_size: 1
    .uses_dynamic_stack: false
    .vgpr_count:     0
    .vgpr_spill_count: 0
    .wavefront_size: 32
    .workgroup_processor_mode: 1
  - .args:
      - .offset:         0
        .size:           40
        .value_kind:     by_value
    .group_segment_fixed_size: 0
    .kernarg_segment_align: 8
    .kernarg_segment_size: 40
    .language:       OpenCL C
    .language_version:
      - 2
      - 0
    .max_flat_workgroup_size: 1024
    .name:           _ZN7rocprim17ROCPRIM_400000_NS6detail17trampoline_kernelINS0_14default_configENS1_35radix_sort_onesweep_config_selectorIjN6thrust23THRUST_200600_302600_NS5tupleIffNS6_9null_typeES8_S8_S8_S8_S8_S8_S8_EEEEZNS1_34radix_sort_onesweep_global_offsetsIS3_Lb0ENS6_6detail15normal_iteratorINS6_10device_ptrIjEEEENSD_INSE_IS9_EEEEjNS0_19identity_decomposerEEE10hipError_tT1_T2_PT3_SN_jT4_jjP12ihipStream_tbEUlT_E_NS1_11comp_targetILNS1_3genE6ELNS1_11target_archE950ELNS1_3gpuE13ELNS1_3repE0EEENS1_52radix_sort_onesweep_histogram_config_static_selectorELNS0_4arch9wavefront6targetE0EEEvSL_
    .private_segment_fixed_size: 0
    .sgpr_count:     0
    .sgpr_spill_count: 0
    .symbol:         _ZN7rocprim17ROCPRIM_400000_NS6detail17trampoline_kernelINS0_14default_configENS1_35radix_sort_onesweep_config_selectorIjN6thrust23THRUST_200600_302600_NS5tupleIffNS6_9null_typeES8_S8_S8_S8_S8_S8_S8_EEEEZNS1_34radix_sort_onesweep_global_offsetsIS3_Lb0ENS6_6detail15normal_iteratorINS6_10device_ptrIjEEEENSD_INSE_IS9_EEEEjNS0_19identity_decomposerEEE10hipError_tT1_T2_PT3_SN_jT4_jjP12ihipStream_tbEUlT_E_NS1_11comp_targetILNS1_3genE6ELNS1_11target_archE950ELNS1_3gpuE13ELNS1_3repE0EEENS1_52radix_sort_onesweep_histogram_config_static_selectorELNS0_4arch9wavefront6targetE0EEEvSL_.kd
    .uniform_work_group_size: 1
    .uses_dynamic_stack: false
    .vgpr_count:     0
    .vgpr_spill_count: 0
    .wavefront_size: 32
    .workgroup_processor_mode: 1
  - .args:
      - .offset:         0
        .size:           40
        .value_kind:     by_value
    .group_segment_fixed_size: 0
    .kernarg_segment_align: 8
    .kernarg_segment_size: 40
    .language:       OpenCL C
    .language_version:
      - 2
      - 0
    .max_flat_workgroup_size: 1024
    .name:           _ZN7rocprim17ROCPRIM_400000_NS6detail17trampoline_kernelINS0_14default_configENS1_35radix_sort_onesweep_config_selectorIjN6thrust23THRUST_200600_302600_NS5tupleIffNS6_9null_typeES8_S8_S8_S8_S8_S8_S8_EEEEZNS1_34radix_sort_onesweep_global_offsetsIS3_Lb0ENS6_6detail15normal_iteratorINS6_10device_ptrIjEEEENSD_INSE_IS9_EEEEjNS0_19identity_decomposerEEE10hipError_tT1_T2_PT3_SN_jT4_jjP12ihipStream_tbEUlT_E_NS1_11comp_targetILNS1_3genE5ELNS1_11target_archE942ELNS1_3gpuE9ELNS1_3repE0EEENS1_52radix_sort_onesweep_histogram_config_static_selectorELNS0_4arch9wavefront6targetE0EEEvSL_
    .private_segment_fixed_size: 0
    .sgpr_count:     0
    .sgpr_spill_count: 0
    .symbol:         _ZN7rocprim17ROCPRIM_400000_NS6detail17trampoline_kernelINS0_14default_configENS1_35radix_sort_onesweep_config_selectorIjN6thrust23THRUST_200600_302600_NS5tupleIffNS6_9null_typeES8_S8_S8_S8_S8_S8_S8_EEEEZNS1_34radix_sort_onesweep_global_offsetsIS3_Lb0ENS6_6detail15normal_iteratorINS6_10device_ptrIjEEEENSD_INSE_IS9_EEEEjNS0_19identity_decomposerEEE10hipError_tT1_T2_PT3_SN_jT4_jjP12ihipStream_tbEUlT_E_NS1_11comp_targetILNS1_3genE5ELNS1_11target_archE942ELNS1_3gpuE9ELNS1_3repE0EEENS1_52radix_sort_onesweep_histogram_config_static_selectorELNS0_4arch9wavefront6targetE0EEEvSL_.kd
    .uniform_work_group_size: 1
    .uses_dynamic_stack: false
    .vgpr_count:     0
    .vgpr_spill_count: 0
    .wavefront_size: 32
    .workgroup_processor_mode: 1
  - .args:
      - .offset:         0
        .size:           40
        .value_kind:     by_value
    .group_segment_fixed_size: 0
    .kernarg_segment_align: 8
    .kernarg_segment_size: 40
    .language:       OpenCL C
    .language_version:
      - 2
      - 0
    .max_flat_workgroup_size: 512
    .name:           _ZN7rocprim17ROCPRIM_400000_NS6detail17trampoline_kernelINS0_14default_configENS1_35radix_sort_onesweep_config_selectorIjN6thrust23THRUST_200600_302600_NS5tupleIffNS6_9null_typeES8_S8_S8_S8_S8_S8_S8_EEEEZNS1_34radix_sort_onesweep_global_offsetsIS3_Lb0ENS6_6detail15normal_iteratorINS6_10device_ptrIjEEEENSD_INSE_IS9_EEEEjNS0_19identity_decomposerEEE10hipError_tT1_T2_PT3_SN_jT4_jjP12ihipStream_tbEUlT_E_NS1_11comp_targetILNS1_3genE2ELNS1_11target_archE906ELNS1_3gpuE6ELNS1_3repE0EEENS1_52radix_sort_onesweep_histogram_config_static_selectorELNS0_4arch9wavefront6targetE0EEEvSL_
    .private_segment_fixed_size: 0
    .sgpr_count:     0
    .sgpr_spill_count: 0
    .symbol:         _ZN7rocprim17ROCPRIM_400000_NS6detail17trampoline_kernelINS0_14default_configENS1_35radix_sort_onesweep_config_selectorIjN6thrust23THRUST_200600_302600_NS5tupleIffNS6_9null_typeES8_S8_S8_S8_S8_S8_S8_EEEEZNS1_34radix_sort_onesweep_global_offsetsIS3_Lb0ENS6_6detail15normal_iteratorINS6_10device_ptrIjEEEENSD_INSE_IS9_EEEEjNS0_19identity_decomposerEEE10hipError_tT1_T2_PT3_SN_jT4_jjP12ihipStream_tbEUlT_E_NS1_11comp_targetILNS1_3genE2ELNS1_11target_archE906ELNS1_3gpuE6ELNS1_3repE0EEENS1_52radix_sort_onesweep_histogram_config_static_selectorELNS0_4arch9wavefront6targetE0EEEvSL_.kd
    .uniform_work_group_size: 1
    .uses_dynamic_stack: false
    .vgpr_count:     0
    .vgpr_spill_count: 0
    .wavefront_size: 32
    .workgroup_processor_mode: 1
  - .args:
      - .offset:         0
        .size:           40
        .value_kind:     by_value
    .group_segment_fixed_size: 0
    .kernarg_segment_align: 8
    .kernarg_segment_size: 40
    .language:       OpenCL C
    .language_version:
      - 2
      - 0
    .max_flat_workgroup_size: 512
    .name:           _ZN7rocprim17ROCPRIM_400000_NS6detail17trampoline_kernelINS0_14default_configENS1_35radix_sort_onesweep_config_selectorIjN6thrust23THRUST_200600_302600_NS5tupleIffNS6_9null_typeES8_S8_S8_S8_S8_S8_S8_EEEEZNS1_34radix_sort_onesweep_global_offsetsIS3_Lb0ENS6_6detail15normal_iteratorINS6_10device_ptrIjEEEENSD_INSE_IS9_EEEEjNS0_19identity_decomposerEEE10hipError_tT1_T2_PT3_SN_jT4_jjP12ihipStream_tbEUlT_E_NS1_11comp_targetILNS1_3genE4ELNS1_11target_archE910ELNS1_3gpuE8ELNS1_3repE0EEENS1_52radix_sort_onesweep_histogram_config_static_selectorELNS0_4arch9wavefront6targetE0EEEvSL_
    .private_segment_fixed_size: 0
    .sgpr_count:     0
    .sgpr_spill_count: 0
    .symbol:         _ZN7rocprim17ROCPRIM_400000_NS6detail17trampoline_kernelINS0_14default_configENS1_35radix_sort_onesweep_config_selectorIjN6thrust23THRUST_200600_302600_NS5tupleIffNS6_9null_typeES8_S8_S8_S8_S8_S8_S8_EEEEZNS1_34radix_sort_onesweep_global_offsetsIS3_Lb0ENS6_6detail15normal_iteratorINS6_10device_ptrIjEEEENSD_INSE_IS9_EEEEjNS0_19identity_decomposerEEE10hipError_tT1_T2_PT3_SN_jT4_jjP12ihipStream_tbEUlT_E_NS1_11comp_targetILNS1_3genE4ELNS1_11target_archE910ELNS1_3gpuE8ELNS1_3repE0EEENS1_52radix_sort_onesweep_histogram_config_static_selectorELNS0_4arch9wavefront6targetE0EEEvSL_.kd
    .uniform_work_group_size: 1
    .uses_dynamic_stack: false
    .vgpr_count:     0
    .vgpr_spill_count: 0
    .wavefront_size: 32
    .workgroup_processor_mode: 1
  - .args:
      - .offset:         0
        .size:           40
        .value_kind:     by_value
    .group_segment_fixed_size: 0
    .kernarg_segment_align: 8
    .kernarg_segment_size: 40
    .language:       OpenCL C
    .language_version:
      - 2
      - 0
    .max_flat_workgroup_size: 512
    .name:           _ZN7rocprim17ROCPRIM_400000_NS6detail17trampoline_kernelINS0_14default_configENS1_35radix_sort_onesweep_config_selectorIjN6thrust23THRUST_200600_302600_NS5tupleIffNS6_9null_typeES8_S8_S8_S8_S8_S8_S8_EEEEZNS1_34radix_sort_onesweep_global_offsetsIS3_Lb0ENS6_6detail15normal_iteratorINS6_10device_ptrIjEEEENSD_INSE_IS9_EEEEjNS0_19identity_decomposerEEE10hipError_tT1_T2_PT3_SN_jT4_jjP12ihipStream_tbEUlT_E_NS1_11comp_targetILNS1_3genE3ELNS1_11target_archE908ELNS1_3gpuE7ELNS1_3repE0EEENS1_52radix_sort_onesweep_histogram_config_static_selectorELNS0_4arch9wavefront6targetE0EEEvSL_
    .private_segment_fixed_size: 0
    .sgpr_count:     0
    .sgpr_spill_count: 0
    .symbol:         _ZN7rocprim17ROCPRIM_400000_NS6detail17trampoline_kernelINS0_14default_configENS1_35radix_sort_onesweep_config_selectorIjN6thrust23THRUST_200600_302600_NS5tupleIffNS6_9null_typeES8_S8_S8_S8_S8_S8_S8_EEEEZNS1_34radix_sort_onesweep_global_offsetsIS3_Lb0ENS6_6detail15normal_iteratorINS6_10device_ptrIjEEEENSD_INSE_IS9_EEEEjNS0_19identity_decomposerEEE10hipError_tT1_T2_PT3_SN_jT4_jjP12ihipStream_tbEUlT_E_NS1_11comp_targetILNS1_3genE3ELNS1_11target_archE908ELNS1_3gpuE7ELNS1_3repE0EEENS1_52radix_sort_onesweep_histogram_config_static_selectorELNS0_4arch9wavefront6targetE0EEEvSL_.kd
    .uniform_work_group_size: 1
    .uses_dynamic_stack: false
    .vgpr_count:     0
    .vgpr_spill_count: 0
    .wavefront_size: 32
    .workgroup_processor_mode: 1
  - .args:
      - .offset:         0
        .size:           40
        .value_kind:     by_value
    .group_segment_fixed_size: 0
    .kernarg_segment_align: 8
    .kernarg_segment_size: 40
    .language:       OpenCL C
    .language_version:
      - 2
      - 0
    .max_flat_workgroup_size: 1024
    .name:           _ZN7rocprim17ROCPRIM_400000_NS6detail17trampoline_kernelINS0_14default_configENS1_35radix_sort_onesweep_config_selectorIjN6thrust23THRUST_200600_302600_NS5tupleIffNS6_9null_typeES8_S8_S8_S8_S8_S8_S8_EEEEZNS1_34radix_sort_onesweep_global_offsetsIS3_Lb0ENS6_6detail15normal_iteratorINS6_10device_ptrIjEEEENSD_INSE_IS9_EEEEjNS0_19identity_decomposerEEE10hipError_tT1_T2_PT3_SN_jT4_jjP12ihipStream_tbEUlT_E_NS1_11comp_targetILNS1_3genE10ELNS1_11target_archE1201ELNS1_3gpuE5ELNS1_3repE0EEENS1_52radix_sort_onesweep_histogram_config_static_selectorELNS0_4arch9wavefront6targetE0EEEvSL_
    .private_segment_fixed_size: 0
    .sgpr_count:     0
    .sgpr_spill_count: 0
    .symbol:         _ZN7rocprim17ROCPRIM_400000_NS6detail17trampoline_kernelINS0_14default_configENS1_35radix_sort_onesweep_config_selectorIjN6thrust23THRUST_200600_302600_NS5tupleIffNS6_9null_typeES8_S8_S8_S8_S8_S8_S8_EEEEZNS1_34radix_sort_onesweep_global_offsetsIS3_Lb0ENS6_6detail15normal_iteratorINS6_10device_ptrIjEEEENSD_INSE_IS9_EEEEjNS0_19identity_decomposerEEE10hipError_tT1_T2_PT3_SN_jT4_jjP12ihipStream_tbEUlT_E_NS1_11comp_targetILNS1_3genE10ELNS1_11target_archE1201ELNS1_3gpuE5ELNS1_3repE0EEENS1_52radix_sort_onesweep_histogram_config_static_selectorELNS0_4arch9wavefront6targetE0EEEvSL_.kd
    .uniform_work_group_size: 1
    .uses_dynamic_stack: false
    .vgpr_count:     0
    .vgpr_spill_count: 0
    .wavefront_size: 32
    .workgroup_processor_mode: 1
  - .args:
      - .offset:         0
        .size:           40
        .value_kind:     by_value
    .group_segment_fixed_size: 0
    .kernarg_segment_align: 8
    .kernarg_segment_size: 40
    .language:       OpenCL C
    .language_version:
      - 2
      - 0
    .max_flat_workgroup_size: 1024
    .name:           _ZN7rocprim17ROCPRIM_400000_NS6detail17trampoline_kernelINS0_14default_configENS1_35radix_sort_onesweep_config_selectorIjN6thrust23THRUST_200600_302600_NS5tupleIffNS6_9null_typeES8_S8_S8_S8_S8_S8_S8_EEEEZNS1_34radix_sort_onesweep_global_offsetsIS3_Lb0ENS6_6detail15normal_iteratorINS6_10device_ptrIjEEEENSD_INSE_IS9_EEEEjNS0_19identity_decomposerEEE10hipError_tT1_T2_PT3_SN_jT4_jjP12ihipStream_tbEUlT_E_NS1_11comp_targetILNS1_3genE9ELNS1_11target_archE1100ELNS1_3gpuE3ELNS1_3repE0EEENS1_52radix_sort_onesweep_histogram_config_static_selectorELNS0_4arch9wavefront6targetE0EEEvSL_
    .private_segment_fixed_size: 0
    .sgpr_count:     0
    .sgpr_spill_count: 0
    .symbol:         _ZN7rocprim17ROCPRIM_400000_NS6detail17trampoline_kernelINS0_14default_configENS1_35radix_sort_onesweep_config_selectorIjN6thrust23THRUST_200600_302600_NS5tupleIffNS6_9null_typeES8_S8_S8_S8_S8_S8_S8_EEEEZNS1_34radix_sort_onesweep_global_offsetsIS3_Lb0ENS6_6detail15normal_iteratorINS6_10device_ptrIjEEEENSD_INSE_IS9_EEEEjNS0_19identity_decomposerEEE10hipError_tT1_T2_PT3_SN_jT4_jjP12ihipStream_tbEUlT_E_NS1_11comp_targetILNS1_3genE9ELNS1_11target_archE1100ELNS1_3gpuE3ELNS1_3repE0EEENS1_52radix_sort_onesweep_histogram_config_static_selectorELNS0_4arch9wavefront6targetE0EEEvSL_.kd
    .uniform_work_group_size: 1
    .uses_dynamic_stack: false
    .vgpr_count:     0
    .vgpr_spill_count: 0
    .wavefront_size: 32
    .workgroup_processor_mode: 1
  - .args:
      - .offset:         0
        .size:           40
        .value_kind:     by_value
    .group_segment_fixed_size: 16384
    .kernarg_segment_align: 8
    .kernarg_segment_size: 40
    .language:       OpenCL C
    .language_version:
      - 2
      - 0
    .max_flat_workgroup_size: 1024
    .name:           _ZN7rocprim17ROCPRIM_400000_NS6detail17trampoline_kernelINS0_14default_configENS1_35radix_sort_onesweep_config_selectorIjN6thrust23THRUST_200600_302600_NS5tupleIffNS6_9null_typeES8_S8_S8_S8_S8_S8_S8_EEEEZNS1_34radix_sort_onesweep_global_offsetsIS3_Lb0ENS6_6detail15normal_iteratorINS6_10device_ptrIjEEEENSD_INSE_IS9_EEEEjNS0_19identity_decomposerEEE10hipError_tT1_T2_PT3_SN_jT4_jjP12ihipStream_tbEUlT_E_NS1_11comp_targetILNS1_3genE8ELNS1_11target_archE1030ELNS1_3gpuE2ELNS1_3repE0EEENS1_52radix_sort_onesweep_histogram_config_static_selectorELNS0_4arch9wavefront6targetE0EEEvSL_
    .private_segment_fixed_size: 0
    .sgpr_count:     16
    .sgpr_spill_count: 0
    .symbol:         _ZN7rocprim17ROCPRIM_400000_NS6detail17trampoline_kernelINS0_14default_configENS1_35radix_sort_onesweep_config_selectorIjN6thrust23THRUST_200600_302600_NS5tupleIffNS6_9null_typeES8_S8_S8_S8_S8_S8_S8_EEEEZNS1_34radix_sort_onesweep_global_offsetsIS3_Lb0ENS6_6detail15normal_iteratorINS6_10device_ptrIjEEEENSD_INSE_IS9_EEEEjNS0_19identity_decomposerEEE10hipError_tT1_T2_PT3_SN_jT4_jjP12ihipStream_tbEUlT_E_NS1_11comp_targetILNS1_3genE8ELNS1_11target_archE1030ELNS1_3gpuE2ELNS1_3repE0EEENS1_52radix_sort_onesweep_histogram_config_static_selectorELNS0_4arch9wavefront6targetE0EEEvSL_.kd
    .uniform_work_group_size: 1
    .uses_dynamic_stack: false
    .vgpr_count:     14
    .vgpr_spill_count: 0
    .wavefront_size: 32
    .workgroup_processor_mode: 1
  - .args:
      - .address_space:  global
        .offset:         0
        .size:           8
        .value_kind:     global_buffer
    .group_segment_fixed_size: 0
    .kernarg_segment_align: 8
    .kernarg_segment_size: 8
    .language:       OpenCL C
    .language_version:
      - 2
      - 0
    .max_flat_workgroup_size: 512
    .name:           _ZN7rocprim17ROCPRIM_400000_NS6detail17trampoline_kernelINS0_14default_configENS1_35radix_sort_onesweep_config_selectorIjN6thrust23THRUST_200600_302600_NS5tupleIffNS6_9null_typeES8_S8_S8_S8_S8_S8_S8_EEEEZNS1_34radix_sort_onesweep_global_offsetsIS3_Lb0ENS6_6detail15normal_iteratorINS6_10device_ptrIjEEEENSD_INSE_IS9_EEEEjNS0_19identity_decomposerEEE10hipError_tT1_T2_PT3_SN_jT4_jjP12ihipStream_tbEUlT_E0_NS1_11comp_targetILNS1_3genE0ELNS1_11target_archE4294967295ELNS1_3gpuE0ELNS1_3repE0EEENS1_52radix_sort_onesweep_histogram_config_static_selectorELNS0_4arch9wavefront6targetE0EEEvSL_
    .private_segment_fixed_size: 0
    .sgpr_count:     0
    .sgpr_spill_count: 0
    .symbol:         _ZN7rocprim17ROCPRIM_400000_NS6detail17trampoline_kernelINS0_14default_configENS1_35radix_sort_onesweep_config_selectorIjN6thrust23THRUST_200600_302600_NS5tupleIffNS6_9null_typeES8_S8_S8_S8_S8_S8_S8_EEEEZNS1_34radix_sort_onesweep_global_offsetsIS3_Lb0ENS6_6detail15normal_iteratorINS6_10device_ptrIjEEEENSD_INSE_IS9_EEEEjNS0_19identity_decomposerEEE10hipError_tT1_T2_PT3_SN_jT4_jjP12ihipStream_tbEUlT_E0_NS1_11comp_targetILNS1_3genE0ELNS1_11target_archE4294967295ELNS1_3gpuE0ELNS1_3repE0EEENS1_52radix_sort_onesweep_histogram_config_static_selectorELNS0_4arch9wavefront6targetE0EEEvSL_.kd
    .uniform_work_group_size: 1
    .uses_dynamic_stack: false
    .vgpr_count:     0
    .vgpr_spill_count: 0
    .wavefront_size: 32
    .workgroup_processor_mode: 1
  - .args:
      - .address_space:  global
        .offset:         0
        .size:           8
        .value_kind:     global_buffer
    .group_segment_fixed_size: 0
    .kernarg_segment_align: 8
    .kernarg_segment_size: 8
    .language:       OpenCL C
    .language_version:
      - 2
      - 0
    .max_flat_workgroup_size: 1024
    .name:           _ZN7rocprim17ROCPRIM_400000_NS6detail17trampoline_kernelINS0_14default_configENS1_35radix_sort_onesweep_config_selectorIjN6thrust23THRUST_200600_302600_NS5tupleIffNS6_9null_typeES8_S8_S8_S8_S8_S8_S8_EEEEZNS1_34radix_sort_onesweep_global_offsetsIS3_Lb0ENS6_6detail15normal_iteratorINS6_10device_ptrIjEEEENSD_INSE_IS9_EEEEjNS0_19identity_decomposerEEE10hipError_tT1_T2_PT3_SN_jT4_jjP12ihipStream_tbEUlT_E0_NS1_11comp_targetILNS1_3genE6ELNS1_11target_archE950ELNS1_3gpuE13ELNS1_3repE0EEENS1_52radix_sort_onesweep_histogram_config_static_selectorELNS0_4arch9wavefront6targetE0EEEvSL_
    .private_segment_fixed_size: 0
    .sgpr_count:     0
    .sgpr_spill_count: 0
    .symbol:         _ZN7rocprim17ROCPRIM_400000_NS6detail17trampoline_kernelINS0_14default_configENS1_35radix_sort_onesweep_config_selectorIjN6thrust23THRUST_200600_302600_NS5tupleIffNS6_9null_typeES8_S8_S8_S8_S8_S8_S8_EEEEZNS1_34radix_sort_onesweep_global_offsetsIS3_Lb0ENS6_6detail15normal_iteratorINS6_10device_ptrIjEEEENSD_INSE_IS9_EEEEjNS0_19identity_decomposerEEE10hipError_tT1_T2_PT3_SN_jT4_jjP12ihipStream_tbEUlT_E0_NS1_11comp_targetILNS1_3genE6ELNS1_11target_archE950ELNS1_3gpuE13ELNS1_3repE0EEENS1_52radix_sort_onesweep_histogram_config_static_selectorELNS0_4arch9wavefront6targetE0EEEvSL_.kd
    .uniform_work_group_size: 1
    .uses_dynamic_stack: false
    .vgpr_count:     0
    .vgpr_spill_count: 0
    .wavefront_size: 32
    .workgroup_processor_mode: 1
  - .args:
      - .address_space:  global
        .offset:         0
        .size:           8
        .value_kind:     global_buffer
    .group_segment_fixed_size: 0
    .kernarg_segment_align: 8
    .kernarg_segment_size: 8
    .language:       OpenCL C
    .language_version:
      - 2
      - 0
    .max_flat_workgroup_size: 1024
    .name:           _ZN7rocprim17ROCPRIM_400000_NS6detail17trampoline_kernelINS0_14default_configENS1_35radix_sort_onesweep_config_selectorIjN6thrust23THRUST_200600_302600_NS5tupleIffNS6_9null_typeES8_S8_S8_S8_S8_S8_S8_EEEEZNS1_34radix_sort_onesweep_global_offsetsIS3_Lb0ENS6_6detail15normal_iteratorINS6_10device_ptrIjEEEENSD_INSE_IS9_EEEEjNS0_19identity_decomposerEEE10hipError_tT1_T2_PT3_SN_jT4_jjP12ihipStream_tbEUlT_E0_NS1_11comp_targetILNS1_3genE5ELNS1_11target_archE942ELNS1_3gpuE9ELNS1_3repE0EEENS1_52radix_sort_onesweep_histogram_config_static_selectorELNS0_4arch9wavefront6targetE0EEEvSL_
    .private_segment_fixed_size: 0
    .sgpr_count:     0
    .sgpr_spill_count: 0
    .symbol:         _ZN7rocprim17ROCPRIM_400000_NS6detail17trampoline_kernelINS0_14default_configENS1_35radix_sort_onesweep_config_selectorIjN6thrust23THRUST_200600_302600_NS5tupleIffNS6_9null_typeES8_S8_S8_S8_S8_S8_S8_EEEEZNS1_34radix_sort_onesweep_global_offsetsIS3_Lb0ENS6_6detail15normal_iteratorINS6_10device_ptrIjEEEENSD_INSE_IS9_EEEEjNS0_19identity_decomposerEEE10hipError_tT1_T2_PT3_SN_jT4_jjP12ihipStream_tbEUlT_E0_NS1_11comp_targetILNS1_3genE5ELNS1_11target_archE942ELNS1_3gpuE9ELNS1_3repE0EEENS1_52radix_sort_onesweep_histogram_config_static_selectorELNS0_4arch9wavefront6targetE0EEEvSL_.kd
    .uniform_work_group_size: 1
    .uses_dynamic_stack: false
    .vgpr_count:     0
    .vgpr_spill_count: 0
    .wavefront_size: 32
    .workgroup_processor_mode: 1
  - .args:
      - .address_space:  global
        .offset:         0
        .size:           8
        .value_kind:     global_buffer
    .group_segment_fixed_size: 0
    .kernarg_segment_align: 8
    .kernarg_segment_size: 8
    .language:       OpenCL C
    .language_version:
      - 2
      - 0
    .max_flat_workgroup_size: 512
    .name:           _ZN7rocprim17ROCPRIM_400000_NS6detail17trampoline_kernelINS0_14default_configENS1_35radix_sort_onesweep_config_selectorIjN6thrust23THRUST_200600_302600_NS5tupleIffNS6_9null_typeES8_S8_S8_S8_S8_S8_S8_EEEEZNS1_34radix_sort_onesweep_global_offsetsIS3_Lb0ENS6_6detail15normal_iteratorINS6_10device_ptrIjEEEENSD_INSE_IS9_EEEEjNS0_19identity_decomposerEEE10hipError_tT1_T2_PT3_SN_jT4_jjP12ihipStream_tbEUlT_E0_NS1_11comp_targetILNS1_3genE2ELNS1_11target_archE906ELNS1_3gpuE6ELNS1_3repE0EEENS1_52radix_sort_onesweep_histogram_config_static_selectorELNS0_4arch9wavefront6targetE0EEEvSL_
    .private_segment_fixed_size: 0
    .sgpr_count:     0
    .sgpr_spill_count: 0
    .symbol:         _ZN7rocprim17ROCPRIM_400000_NS6detail17trampoline_kernelINS0_14default_configENS1_35radix_sort_onesweep_config_selectorIjN6thrust23THRUST_200600_302600_NS5tupleIffNS6_9null_typeES8_S8_S8_S8_S8_S8_S8_EEEEZNS1_34radix_sort_onesweep_global_offsetsIS3_Lb0ENS6_6detail15normal_iteratorINS6_10device_ptrIjEEEENSD_INSE_IS9_EEEEjNS0_19identity_decomposerEEE10hipError_tT1_T2_PT3_SN_jT4_jjP12ihipStream_tbEUlT_E0_NS1_11comp_targetILNS1_3genE2ELNS1_11target_archE906ELNS1_3gpuE6ELNS1_3repE0EEENS1_52radix_sort_onesweep_histogram_config_static_selectorELNS0_4arch9wavefront6targetE0EEEvSL_.kd
    .uniform_work_group_size: 1
    .uses_dynamic_stack: false
    .vgpr_count:     0
    .vgpr_spill_count: 0
    .wavefront_size: 32
    .workgroup_processor_mode: 1
  - .args:
      - .address_space:  global
        .offset:         0
        .size:           8
        .value_kind:     global_buffer
    .group_segment_fixed_size: 0
    .kernarg_segment_align: 8
    .kernarg_segment_size: 8
    .language:       OpenCL C
    .language_version:
      - 2
      - 0
    .max_flat_workgroup_size: 512
    .name:           _ZN7rocprim17ROCPRIM_400000_NS6detail17trampoline_kernelINS0_14default_configENS1_35radix_sort_onesweep_config_selectorIjN6thrust23THRUST_200600_302600_NS5tupleIffNS6_9null_typeES8_S8_S8_S8_S8_S8_S8_EEEEZNS1_34radix_sort_onesweep_global_offsetsIS3_Lb0ENS6_6detail15normal_iteratorINS6_10device_ptrIjEEEENSD_INSE_IS9_EEEEjNS0_19identity_decomposerEEE10hipError_tT1_T2_PT3_SN_jT4_jjP12ihipStream_tbEUlT_E0_NS1_11comp_targetILNS1_3genE4ELNS1_11target_archE910ELNS1_3gpuE8ELNS1_3repE0EEENS1_52radix_sort_onesweep_histogram_config_static_selectorELNS0_4arch9wavefront6targetE0EEEvSL_
    .private_segment_fixed_size: 0
    .sgpr_count:     0
    .sgpr_spill_count: 0
    .symbol:         _ZN7rocprim17ROCPRIM_400000_NS6detail17trampoline_kernelINS0_14default_configENS1_35radix_sort_onesweep_config_selectorIjN6thrust23THRUST_200600_302600_NS5tupleIffNS6_9null_typeES8_S8_S8_S8_S8_S8_S8_EEEEZNS1_34radix_sort_onesweep_global_offsetsIS3_Lb0ENS6_6detail15normal_iteratorINS6_10device_ptrIjEEEENSD_INSE_IS9_EEEEjNS0_19identity_decomposerEEE10hipError_tT1_T2_PT3_SN_jT4_jjP12ihipStream_tbEUlT_E0_NS1_11comp_targetILNS1_3genE4ELNS1_11target_archE910ELNS1_3gpuE8ELNS1_3repE0EEENS1_52radix_sort_onesweep_histogram_config_static_selectorELNS0_4arch9wavefront6targetE0EEEvSL_.kd
    .uniform_work_group_size: 1
    .uses_dynamic_stack: false
    .vgpr_count:     0
    .vgpr_spill_count: 0
    .wavefront_size: 32
    .workgroup_processor_mode: 1
  - .args:
      - .address_space:  global
        .offset:         0
        .size:           8
        .value_kind:     global_buffer
    .group_segment_fixed_size: 0
    .kernarg_segment_align: 8
    .kernarg_segment_size: 8
    .language:       OpenCL C
    .language_version:
      - 2
      - 0
    .max_flat_workgroup_size: 512
    .name:           _ZN7rocprim17ROCPRIM_400000_NS6detail17trampoline_kernelINS0_14default_configENS1_35radix_sort_onesweep_config_selectorIjN6thrust23THRUST_200600_302600_NS5tupleIffNS6_9null_typeES8_S8_S8_S8_S8_S8_S8_EEEEZNS1_34radix_sort_onesweep_global_offsetsIS3_Lb0ENS6_6detail15normal_iteratorINS6_10device_ptrIjEEEENSD_INSE_IS9_EEEEjNS0_19identity_decomposerEEE10hipError_tT1_T2_PT3_SN_jT4_jjP12ihipStream_tbEUlT_E0_NS1_11comp_targetILNS1_3genE3ELNS1_11target_archE908ELNS1_3gpuE7ELNS1_3repE0EEENS1_52radix_sort_onesweep_histogram_config_static_selectorELNS0_4arch9wavefront6targetE0EEEvSL_
    .private_segment_fixed_size: 0
    .sgpr_count:     0
    .sgpr_spill_count: 0
    .symbol:         _ZN7rocprim17ROCPRIM_400000_NS6detail17trampoline_kernelINS0_14default_configENS1_35radix_sort_onesweep_config_selectorIjN6thrust23THRUST_200600_302600_NS5tupleIffNS6_9null_typeES8_S8_S8_S8_S8_S8_S8_EEEEZNS1_34radix_sort_onesweep_global_offsetsIS3_Lb0ENS6_6detail15normal_iteratorINS6_10device_ptrIjEEEENSD_INSE_IS9_EEEEjNS0_19identity_decomposerEEE10hipError_tT1_T2_PT3_SN_jT4_jjP12ihipStream_tbEUlT_E0_NS1_11comp_targetILNS1_3genE3ELNS1_11target_archE908ELNS1_3gpuE7ELNS1_3repE0EEENS1_52radix_sort_onesweep_histogram_config_static_selectorELNS0_4arch9wavefront6targetE0EEEvSL_.kd
    .uniform_work_group_size: 1
    .uses_dynamic_stack: false
    .vgpr_count:     0
    .vgpr_spill_count: 0
    .wavefront_size: 32
    .workgroup_processor_mode: 1
  - .args:
      - .address_space:  global
        .offset:         0
        .size:           8
        .value_kind:     global_buffer
    .group_segment_fixed_size: 0
    .kernarg_segment_align: 8
    .kernarg_segment_size: 8
    .language:       OpenCL C
    .language_version:
      - 2
      - 0
    .max_flat_workgroup_size: 1024
    .name:           _ZN7rocprim17ROCPRIM_400000_NS6detail17trampoline_kernelINS0_14default_configENS1_35radix_sort_onesweep_config_selectorIjN6thrust23THRUST_200600_302600_NS5tupleIffNS6_9null_typeES8_S8_S8_S8_S8_S8_S8_EEEEZNS1_34radix_sort_onesweep_global_offsetsIS3_Lb0ENS6_6detail15normal_iteratorINS6_10device_ptrIjEEEENSD_INSE_IS9_EEEEjNS0_19identity_decomposerEEE10hipError_tT1_T2_PT3_SN_jT4_jjP12ihipStream_tbEUlT_E0_NS1_11comp_targetILNS1_3genE10ELNS1_11target_archE1201ELNS1_3gpuE5ELNS1_3repE0EEENS1_52radix_sort_onesweep_histogram_config_static_selectorELNS0_4arch9wavefront6targetE0EEEvSL_
    .private_segment_fixed_size: 0
    .sgpr_count:     0
    .sgpr_spill_count: 0
    .symbol:         _ZN7rocprim17ROCPRIM_400000_NS6detail17trampoline_kernelINS0_14default_configENS1_35radix_sort_onesweep_config_selectorIjN6thrust23THRUST_200600_302600_NS5tupleIffNS6_9null_typeES8_S8_S8_S8_S8_S8_S8_EEEEZNS1_34radix_sort_onesweep_global_offsetsIS3_Lb0ENS6_6detail15normal_iteratorINS6_10device_ptrIjEEEENSD_INSE_IS9_EEEEjNS0_19identity_decomposerEEE10hipError_tT1_T2_PT3_SN_jT4_jjP12ihipStream_tbEUlT_E0_NS1_11comp_targetILNS1_3genE10ELNS1_11target_archE1201ELNS1_3gpuE5ELNS1_3repE0EEENS1_52radix_sort_onesweep_histogram_config_static_selectorELNS0_4arch9wavefront6targetE0EEEvSL_.kd
    .uniform_work_group_size: 1
    .uses_dynamic_stack: false
    .vgpr_count:     0
    .vgpr_spill_count: 0
    .wavefront_size: 32
    .workgroup_processor_mode: 1
  - .args:
      - .address_space:  global
        .offset:         0
        .size:           8
        .value_kind:     global_buffer
    .group_segment_fixed_size: 0
    .kernarg_segment_align: 8
    .kernarg_segment_size: 8
    .language:       OpenCL C
    .language_version:
      - 2
      - 0
    .max_flat_workgroup_size: 1024
    .name:           _ZN7rocprim17ROCPRIM_400000_NS6detail17trampoline_kernelINS0_14default_configENS1_35radix_sort_onesweep_config_selectorIjN6thrust23THRUST_200600_302600_NS5tupleIffNS6_9null_typeES8_S8_S8_S8_S8_S8_S8_EEEEZNS1_34radix_sort_onesweep_global_offsetsIS3_Lb0ENS6_6detail15normal_iteratorINS6_10device_ptrIjEEEENSD_INSE_IS9_EEEEjNS0_19identity_decomposerEEE10hipError_tT1_T2_PT3_SN_jT4_jjP12ihipStream_tbEUlT_E0_NS1_11comp_targetILNS1_3genE9ELNS1_11target_archE1100ELNS1_3gpuE3ELNS1_3repE0EEENS1_52radix_sort_onesweep_histogram_config_static_selectorELNS0_4arch9wavefront6targetE0EEEvSL_
    .private_segment_fixed_size: 0
    .sgpr_count:     0
    .sgpr_spill_count: 0
    .symbol:         _ZN7rocprim17ROCPRIM_400000_NS6detail17trampoline_kernelINS0_14default_configENS1_35radix_sort_onesweep_config_selectorIjN6thrust23THRUST_200600_302600_NS5tupleIffNS6_9null_typeES8_S8_S8_S8_S8_S8_S8_EEEEZNS1_34radix_sort_onesweep_global_offsetsIS3_Lb0ENS6_6detail15normal_iteratorINS6_10device_ptrIjEEEENSD_INSE_IS9_EEEEjNS0_19identity_decomposerEEE10hipError_tT1_T2_PT3_SN_jT4_jjP12ihipStream_tbEUlT_E0_NS1_11comp_targetILNS1_3genE9ELNS1_11target_archE1100ELNS1_3gpuE3ELNS1_3repE0EEENS1_52radix_sort_onesweep_histogram_config_static_selectorELNS0_4arch9wavefront6targetE0EEEvSL_.kd
    .uniform_work_group_size: 1
    .uses_dynamic_stack: false
    .vgpr_count:     0
    .vgpr_spill_count: 0
    .wavefront_size: 32
    .workgroup_processor_mode: 1
  - .args:
      - .address_space:  global
        .offset:         0
        .size:           8
        .value_kind:     global_buffer
    .group_segment_fixed_size: 128
    .kernarg_segment_align: 8
    .kernarg_segment_size: 8
    .language:       OpenCL C
    .language_version:
      - 2
      - 0
    .max_flat_workgroup_size: 1024
    .name:           _ZN7rocprim17ROCPRIM_400000_NS6detail17trampoline_kernelINS0_14default_configENS1_35radix_sort_onesweep_config_selectorIjN6thrust23THRUST_200600_302600_NS5tupleIffNS6_9null_typeES8_S8_S8_S8_S8_S8_S8_EEEEZNS1_34radix_sort_onesweep_global_offsetsIS3_Lb0ENS6_6detail15normal_iteratorINS6_10device_ptrIjEEEENSD_INSE_IS9_EEEEjNS0_19identity_decomposerEEE10hipError_tT1_T2_PT3_SN_jT4_jjP12ihipStream_tbEUlT_E0_NS1_11comp_targetILNS1_3genE8ELNS1_11target_archE1030ELNS1_3gpuE2ELNS1_3repE0EEENS1_52radix_sort_onesweep_histogram_config_static_selectorELNS0_4arch9wavefront6targetE0EEEvSL_
    .private_segment_fixed_size: 0
    .sgpr_count:     12
    .sgpr_spill_count: 0
    .symbol:         _ZN7rocprim17ROCPRIM_400000_NS6detail17trampoline_kernelINS0_14default_configENS1_35radix_sort_onesweep_config_selectorIjN6thrust23THRUST_200600_302600_NS5tupleIffNS6_9null_typeES8_S8_S8_S8_S8_S8_S8_EEEEZNS1_34radix_sort_onesweep_global_offsetsIS3_Lb0ENS6_6detail15normal_iteratorINS6_10device_ptrIjEEEENSD_INSE_IS9_EEEEjNS0_19identity_decomposerEEE10hipError_tT1_T2_PT3_SN_jT4_jjP12ihipStream_tbEUlT_E0_NS1_11comp_targetILNS1_3genE8ELNS1_11target_archE1030ELNS1_3gpuE2ELNS1_3repE0EEENS1_52radix_sort_onesweep_histogram_config_static_selectorELNS0_4arch9wavefront6targetE0EEEvSL_.kd
    .uniform_work_group_size: 1
    .uses_dynamic_stack: false
    .vgpr_count:     8
    .vgpr_spill_count: 0
    .wavefront_size: 32
    .workgroup_processor_mode: 1
  - .args:
      - .offset:         0
        .size:           40
        .value_kind:     by_value
    .group_segment_fixed_size: 0
    .kernarg_segment_align: 8
    .kernarg_segment_size: 40
    .language:       OpenCL C
    .language_version:
      - 2
      - 0
    .max_flat_workgroup_size: 128
    .name:           _ZN7rocprim17ROCPRIM_400000_NS6detail17trampoline_kernelINS0_14default_configENS1_25transform_config_selectorIjLb0EEEZNS1_14transform_implILb0ES3_S5_N6thrust23THRUST_200600_302600_NS6detail15normal_iteratorINS8_10device_ptrIjEEEEPjNS0_8identityIjEEEE10hipError_tT2_T3_mT4_P12ihipStream_tbEUlT_E_NS1_11comp_targetILNS1_3genE0ELNS1_11target_archE4294967295ELNS1_3gpuE0ELNS1_3repE0EEENS1_30default_config_static_selectorELNS0_4arch9wavefront6targetE0EEEvT1_
    .private_segment_fixed_size: 0
    .sgpr_count:     0
    .sgpr_spill_count: 0
    .symbol:         _ZN7rocprim17ROCPRIM_400000_NS6detail17trampoline_kernelINS0_14default_configENS1_25transform_config_selectorIjLb0EEEZNS1_14transform_implILb0ES3_S5_N6thrust23THRUST_200600_302600_NS6detail15normal_iteratorINS8_10device_ptrIjEEEEPjNS0_8identityIjEEEE10hipError_tT2_T3_mT4_P12ihipStream_tbEUlT_E_NS1_11comp_targetILNS1_3genE0ELNS1_11target_archE4294967295ELNS1_3gpuE0ELNS1_3repE0EEENS1_30default_config_static_selectorELNS0_4arch9wavefront6targetE0EEEvT1_.kd
    .uniform_work_group_size: 1
    .uses_dynamic_stack: false
    .vgpr_count:     0
    .vgpr_spill_count: 0
    .wavefront_size: 32
    .workgroup_processor_mode: 1
  - .args:
      - .offset:         0
        .size:           40
        .value_kind:     by_value
    .group_segment_fixed_size: 0
    .kernarg_segment_align: 8
    .kernarg_segment_size: 40
    .language:       OpenCL C
    .language_version:
      - 2
      - 0
    .max_flat_workgroup_size: 512
    .name:           _ZN7rocprim17ROCPRIM_400000_NS6detail17trampoline_kernelINS0_14default_configENS1_25transform_config_selectorIjLb0EEEZNS1_14transform_implILb0ES3_S5_N6thrust23THRUST_200600_302600_NS6detail15normal_iteratorINS8_10device_ptrIjEEEEPjNS0_8identityIjEEEE10hipError_tT2_T3_mT4_P12ihipStream_tbEUlT_E_NS1_11comp_targetILNS1_3genE5ELNS1_11target_archE942ELNS1_3gpuE9ELNS1_3repE0EEENS1_30default_config_static_selectorELNS0_4arch9wavefront6targetE0EEEvT1_
    .private_segment_fixed_size: 0
    .sgpr_count:     0
    .sgpr_spill_count: 0
    .symbol:         _ZN7rocprim17ROCPRIM_400000_NS6detail17trampoline_kernelINS0_14default_configENS1_25transform_config_selectorIjLb0EEEZNS1_14transform_implILb0ES3_S5_N6thrust23THRUST_200600_302600_NS6detail15normal_iteratorINS8_10device_ptrIjEEEEPjNS0_8identityIjEEEE10hipError_tT2_T3_mT4_P12ihipStream_tbEUlT_E_NS1_11comp_targetILNS1_3genE5ELNS1_11target_archE942ELNS1_3gpuE9ELNS1_3repE0EEENS1_30default_config_static_selectorELNS0_4arch9wavefront6targetE0EEEvT1_.kd
    .uniform_work_group_size: 1
    .uses_dynamic_stack: false
    .vgpr_count:     0
    .vgpr_spill_count: 0
    .wavefront_size: 32
    .workgroup_processor_mode: 1
  - .args:
      - .offset:         0
        .size:           40
        .value_kind:     by_value
    .group_segment_fixed_size: 0
    .kernarg_segment_align: 8
    .kernarg_segment_size: 40
    .language:       OpenCL C
    .language_version:
      - 2
      - 0
    .max_flat_workgroup_size: 1024
    .name:           _ZN7rocprim17ROCPRIM_400000_NS6detail17trampoline_kernelINS0_14default_configENS1_25transform_config_selectorIjLb0EEEZNS1_14transform_implILb0ES3_S5_N6thrust23THRUST_200600_302600_NS6detail15normal_iteratorINS8_10device_ptrIjEEEEPjNS0_8identityIjEEEE10hipError_tT2_T3_mT4_P12ihipStream_tbEUlT_E_NS1_11comp_targetILNS1_3genE4ELNS1_11target_archE910ELNS1_3gpuE8ELNS1_3repE0EEENS1_30default_config_static_selectorELNS0_4arch9wavefront6targetE0EEEvT1_
    .private_segment_fixed_size: 0
    .sgpr_count:     0
    .sgpr_spill_count: 0
    .symbol:         _ZN7rocprim17ROCPRIM_400000_NS6detail17trampoline_kernelINS0_14default_configENS1_25transform_config_selectorIjLb0EEEZNS1_14transform_implILb0ES3_S5_N6thrust23THRUST_200600_302600_NS6detail15normal_iteratorINS8_10device_ptrIjEEEEPjNS0_8identityIjEEEE10hipError_tT2_T3_mT4_P12ihipStream_tbEUlT_E_NS1_11comp_targetILNS1_3genE4ELNS1_11target_archE910ELNS1_3gpuE8ELNS1_3repE0EEENS1_30default_config_static_selectorELNS0_4arch9wavefront6targetE0EEEvT1_.kd
    .uniform_work_group_size: 1
    .uses_dynamic_stack: false
    .vgpr_count:     0
    .vgpr_spill_count: 0
    .wavefront_size: 32
    .workgroup_processor_mode: 1
  - .args:
      - .offset:         0
        .size:           40
        .value_kind:     by_value
    .group_segment_fixed_size: 0
    .kernarg_segment_align: 8
    .kernarg_segment_size: 40
    .language:       OpenCL C
    .language_version:
      - 2
      - 0
    .max_flat_workgroup_size: 128
    .name:           _ZN7rocprim17ROCPRIM_400000_NS6detail17trampoline_kernelINS0_14default_configENS1_25transform_config_selectorIjLb0EEEZNS1_14transform_implILb0ES3_S5_N6thrust23THRUST_200600_302600_NS6detail15normal_iteratorINS8_10device_ptrIjEEEEPjNS0_8identityIjEEEE10hipError_tT2_T3_mT4_P12ihipStream_tbEUlT_E_NS1_11comp_targetILNS1_3genE3ELNS1_11target_archE908ELNS1_3gpuE7ELNS1_3repE0EEENS1_30default_config_static_selectorELNS0_4arch9wavefront6targetE0EEEvT1_
    .private_segment_fixed_size: 0
    .sgpr_count:     0
    .sgpr_spill_count: 0
    .symbol:         _ZN7rocprim17ROCPRIM_400000_NS6detail17trampoline_kernelINS0_14default_configENS1_25transform_config_selectorIjLb0EEEZNS1_14transform_implILb0ES3_S5_N6thrust23THRUST_200600_302600_NS6detail15normal_iteratorINS8_10device_ptrIjEEEEPjNS0_8identityIjEEEE10hipError_tT2_T3_mT4_P12ihipStream_tbEUlT_E_NS1_11comp_targetILNS1_3genE3ELNS1_11target_archE908ELNS1_3gpuE7ELNS1_3repE0EEENS1_30default_config_static_selectorELNS0_4arch9wavefront6targetE0EEEvT1_.kd
    .uniform_work_group_size: 1
    .uses_dynamic_stack: false
    .vgpr_count:     0
    .vgpr_spill_count: 0
    .wavefront_size: 32
    .workgroup_processor_mode: 1
  - .args:
      - .offset:         0
        .size:           40
        .value_kind:     by_value
    .group_segment_fixed_size: 0
    .kernarg_segment_align: 8
    .kernarg_segment_size: 40
    .language:       OpenCL C
    .language_version:
      - 2
      - 0
    .max_flat_workgroup_size: 1024
    .name:           _ZN7rocprim17ROCPRIM_400000_NS6detail17trampoline_kernelINS0_14default_configENS1_25transform_config_selectorIjLb0EEEZNS1_14transform_implILb0ES3_S5_N6thrust23THRUST_200600_302600_NS6detail15normal_iteratorINS8_10device_ptrIjEEEEPjNS0_8identityIjEEEE10hipError_tT2_T3_mT4_P12ihipStream_tbEUlT_E_NS1_11comp_targetILNS1_3genE2ELNS1_11target_archE906ELNS1_3gpuE6ELNS1_3repE0EEENS1_30default_config_static_selectorELNS0_4arch9wavefront6targetE0EEEvT1_
    .private_segment_fixed_size: 0
    .sgpr_count:     0
    .sgpr_spill_count: 0
    .symbol:         _ZN7rocprim17ROCPRIM_400000_NS6detail17trampoline_kernelINS0_14default_configENS1_25transform_config_selectorIjLb0EEEZNS1_14transform_implILb0ES3_S5_N6thrust23THRUST_200600_302600_NS6detail15normal_iteratorINS8_10device_ptrIjEEEEPjNS0_8identityIjEEEE10hipError_tT2_T3_mT4_P12ihipStream_tbEUlT_E_NS1_11comp_targetILNS1_3genE2ELNS1_11target_archE906ELNS1_3gpuE6ELNS1_3repE0EEENS1_30default_config_static_selectorELNS0_4arch9wavefront6targetE0EEEvT1_.kd
    .uniform_work_group_size: 1
    .uses_dynamic_stack: false
    .vgpr_count:     0
    .vgpr_spill_count: 0
    .wavefront_size: 32
    .workgroup_processor_mode: 1
  - .args:
      - .offset:         0
        .size:           40
        .value_kind:     by_value
    .group_segment_fixed_size: 0
    .kernarg_segment_align: 8
    .kernarg_segment_size: 40
    .language:       OpenCL C
    .language_version:
      - 2
      - 0
    .max_flat_workgroup_size: 1024
    .name:           _ZN7rocprim17ROCPRIM_400000_NS6detail17trampoline_kernelINS0_14default_configENS1_25transform_config_selectorIjLb0EEEZNS1_14transform_implILb0ES3_S5_N6thrust23THRUST_200600_302600_NS6detail15normal_iteratorINS8_10device_ptrIjEEEEPjNS0_8identityIjEEEE10hipError_tT2_T3_mT4_P12ihipStream_tbEUlT_E_NS1_11comp_targetILNS1_3genE10ELNS1_11target_archE1201ELNS1_3gpuE5ELNS1_3repE0EEENS1_30default_config_static_selectorELNS0_4arch9wavefront6targetE0EEEvT1_
    .private_segment_fixed_size: 0
    .sgpr_count:     0
    .sgpr_spill_count: 0
    .symbol:         _ZN7rocprim17ROCPRIM_400000_NS6detail17trampoline_kernelINS0_14default_configENS1_25transform_config_selectorIjLb0EEEZNS1_14transform_implILb0ES3_S5_N6thrust23THRUST_200600_302600_NS6detail15normal_iteratorINS8_10device_ptrIjEEEEPjNS0_8identityIjEEEE10hipError_tT2_T3_mT4_P12ihipStream_tbEUlT_E_NS1_11comp_targetILNS1_3genE10ELNS1_11target_archE1201ELNS1_3gpuE5ELNS1_3repE0EEENS1_30default_config_static_selectorELNS0_4arch9wavefront6targetE0EEEvT1_.kd
    .uniform_work_group_size: 1
    .uses_dynamic_stack: false
    .vgpr_count:     0
    .vgpr_spill_count: 0
    .wavefront_size: 32
    .workgroup_processor_mode: 1
  - .args:
      - .offset:         0
        .size:           40
        .value_kind:     by_value
    .group_segment_fixed_size: 0
    .kernarg_segment_align: 8
    .kernarg_segment_size: 40
    .language:       OpenCL C
    .language_version:
      - 2
      - 0
    .max_flat_workgroup_size: 512
    .name:           _ZN7rocprim17ROCPRIM_400000_NS6detail17trampoline_kernelINS0_14default_configENS1_25transform_config_selectorIjLb0EEEZNS1_14transform_implILb0ES3_S5_N6thrust23THRUST_200600_302600_NS6detail15normal_iteratorINS8_10device_ptrIjEEEEPjNS0_8identityIjEEEE10hipError_tT2_T3_mT4_P12ihipStream_tbEUlT_E_NS1_11comp_targetILNS1_3genE10ELNS1_11target_archE1200ELNS1_3gpuE4ELNS1_3repE0EEENS1_30default_config_static_selectorELNS0_4arch9wavefront6targetE0EEEvT1_
    .private_segment_fixed_size: 0
    .sgpr_count:     0
    .sgpr_spill_count: 0
    .symbol:         _ZN7rocprim17ROCPRIM_400000_NS6detail17trampoline_kernelINS0_14default_configENS1_25transform_config_selectorIjLb0EEEZNS1_14transform_implILb0ES3_S5_N6thrust23THRUST_200600_302600_NS6detail15normal_iteratorINS8_10device_ptrIjEEEEPjNS0_8identityIjEEEE10hipError_tT2_T3_mT4_P12ihipStream_tbEUlT_E_NS1_11comp_targetILNS1_3genE10ELNS1_11target_archE1200ELNS1_3gpuE4ELNS1_3repE0EEENS1_30default_config_static_selectorELNS0_4arch9wavefront6targetE0EEEvT1_.kd
    .uniform_work_group_size: 1
    .uses_dynamic_stack: false
    .vgpr_count:     0
    .vgpr_spill_count: 0
    .wavefront_size: 32
    .workgroup_processor_mode: 1
  - .args:
      - .offset:         0
        .size:           40
        .value_kind:     by_value
    .group_segment_fixed_size: 0
    .kernarg_segment_align: 8
    .kernarg_segment_size: 40
    .language:       OpenCL C
    .language_version:
      - 2
      - 0
    .max_flat_workgroup_size: 64
    .name:           _ZN7rocprim17ROCPRIM_400000_NS6detail17trampoline_kernelINS0_14default_configENS1_25transform_config_selectorIjLb0EEEZNS1_14transform_implILb0ES3_S5_N6thrust23THRUST_200600_302600_NS6detail15normal_iteratorINS8_10device_ptrIjEEEEPjNS0_8identityIjEEEE10hipError_tT2_T3_mT4_P12ihipStream_tbEUlT_E_NS1_11comp_targetILNS1_3genE9ELNS1_11target_archE1100ELNS1_3gpuE3ELNS1_3repE0EEENS1_30default_config_static_selectorELNS0_4arch9wavefront6targetE0EEEvT1_
    .private_segment_fixed_size: 0
    .sgpr_count:     0
    .sgpr_spill_count: 0
    .symbol:         _ZN7rocprim17ROCPRIM_400000_NS6detail17trampoline_kernelINS0_14default_configENS1_25transform_config_selectorIjLb0EEEZNS1_14transform_implILb0ES3_S5_N6thrust23THRUST_200600_302600_NS6detail15normal_iteratorINS8_10device_ptrIjEEEEPjNS0_8identityIjEEEE10hipError_tT2_T3_mT4_P12ihipStream_tbEUlT_E_NS1_11comp_targetILNS1_3genE9ELNS1_11target_archE1100ELNS1_3gpuE3ELNS1_3repE0EEENS1_30default_config_static_selectorELNS0_4arch9wavefront6targetE0EEEvT1_.kd
    .uniform_work_group_size: 1
    .uses_dynamic_stack: false
    .vgpr_count:     0
    .vgpr_spill_count: 0
    .wavefront_size: 32
    .workgroup_processor_mode: 1
  - .args:
      - .offset:         0
        .size:           40
        .value_kind:     by_value
      - .offset:         40
        .size:           4
        .value_kind:     hidden_block_count_x
      - .offset:         44
        .size:           4
        .value_kind:     hidden_block_count_y
      - .offset:         48
        .size:           4
        .value_kind:     hidden_block_count_z
      - .offset:         52
        .size:           2
        .value_kind:     hidden_group_size_x
      - .offset:         54
        .size:           2
        .value_kind:     hidden_group_size_y
      - .offset:         56
        .size:           2
        .value_kind:     hidden_group_size_z
      - .offset:         58
        .size:           2
        .value_kind:     hidden_remainder_x
      - .offset:         60
        .size:           2
        .value_kind:     hidden_remainder_y
      - .offset:         62
        .size:           2
        .value_kind:     hidden_remainder_z
      - .offset:         80
        .size:           8
        .value_kind:     hidden_global_offset_x
      - .offset:         88
        .size:           8
        .value_kind:     hidden_global_offset_y
      - .offset:         96
        .size:           8
        .value_kind:     hidden_global_offset_z
      - .offset:         104
        .size:           2
        .value_kind:     hidden_grid_dims
    .group_segment_fixed_size: 0
    .kernarg_segment_align: 8
    .kernarg_segment_size: 296
    .language:       OpenCL C
    .language_version:
      - 2
      - 0
    .max_flat_workgroup_size: 256
    .name:           _ZN7rocprim17ROCPRIM_400000_NS6detail17trampoline_kernelINS0_14default_configENS1_25transform_config_selectorIjLb0EEEZNS1_14transform_implILb0ES3_S5_N6thrust23THRUST_200600_302600_NS6detail15normal_iteratorINS8_10device_ptrIjEEEEPjNS0_8identityIjEEEE10hipError_tT2_T3_mT4_P12ihipStream_tbEUlT_E_NS1_11comp_targetILNS1_3genE8ELNS1_11target_archE1030ELNS1_3gpuE2ELNS1_3repE0EEENS1_30default_config_static_selectorELNS0_4arch9wavefront6targetE0EEEvT1_
    .private_segment_fixed_size: 0
    .sgpr_count:     14
    .sgpr_spill_count: 0
    .symbol:         _ZN7rocprim17ROCPRIM_400000_NS6detail17trampoline_kernelINS0_14default_configENS1_25transform_config_selectorIjLb0EEEZNS1_14transform_implILb0ES3_S5_N6thrust23THRUST_200600_302600_NS6detail15normal_iteratorINS8_10device_ptrIjEEEEPjNS0_8identityIjEEEE10hipError_tT2_T3_mT4_P12ihipStream_tbEUlT_E_NS1_11comp_targetILNS1_3genE8ELNS1_11target_archE1030ELNS1_3gpuE2ELNS1_3repE0EEENS1_30default_config_static_selectorELNS0_4arch9wavefront6targetE0EEEvT1_.kd
    .uniform_work_group_size: 1
    .uses_dynamic_stack: false
    .vgpr_count:     3
    .vgpr_spill_count: 0
    .wavefront_size: 32
    .workgroup_processor_mode: 1
  - .args:
      - .offset:         0
        .size:           40
        .value_kind:     by_value
    .group_segment_fixed_size: 0
    .kernarg_segment_align: 8
    .kernarg_segment_size: 40
    .language:       OpenCL C
    .language_version:
      - 2
      - 0
    .max_flat_workgroup_size: 128
    .name:           _ZN7rocprim17ROCPRIM_400000_NS6detail17trampoline_kernelINS0_14default_configENS1_25transform_config_selectorIN6thrust23THRUST_200600_302600_NS5tupleIffNS6_9null_typeES8_S8_S8_S8_S8_S8_S8_EELb0EEEZNS1_14transform_implILb0ES3_SA_NS6_6detail15normal_iteratorINS6_10device_ptrIS9_EEEEPS9_NS0_8identityIS9_EEEE10hipError_tT2_T3_mT4_P12ihipStream_tbEUlT_E_NS1_11comp_targetILNS1_3genE0ELNS1_11target_archE4294967295ELNS1_3gpuE0ELNS1_3repE0EEENS1_30default_config_static_selectorELNS0_4arch9wavefront6targetE0EEEvT1_
    .private_segment_fixed_size: 0
    .sgpr_count:     0
    .sgpr_spill_count: 0
    .symbol:         _ZN7rocprim17ROCPRIM_400000_NS6detail17trampoline_kernelINS0_14default_configENS1_25transform_config_selectorIN6thrust23THRUST_200600_302600_NS5tupleIffNS6_9null_typeES8_S8_S8_S8_S8_S8_S8_EELb0EEEZNS1_14transform_implILb0ES3_SA_NS6_6detail15normal_iteratorINS6_10device_ptrIS9_EEEEPS9_NS0_8identityIS9_EEEE10hipError_tT2_T3_mT4_P12ihipStream_tbEUlT_E_NS1_11comp_targetILNS1_3genE0ELNS1_11target_archE4294967295ELNS1_3gpuE0ELNS1_3repE0EEENS1_30default_config_static_selectorELNS0_4arch9wavefront6targetE0EEEvT1_.kd
    .uniform_work_group_size: 1
    .uses_dynamic_stack: false
    .vgpr_count:     0
    .vgpr_spill_count: 0
    .wavefront_size: 32
    .workgroup_processor_mode: 1
  - .args:
      - .offset:         0
        .size:           40
        .value_kind:     by_value
    .group_segment_fixed_size: 0
    .kernarg_segment_align: 8
    .kernarg_segment_size: 40
    .language:       OpenCL C
    .language_version:
      - 2
      - 0
    .max_flat_workgroup_size: 512
    .name:           _ZN7rocprim17ROCPRIM_400000_NS6detail17trampoline_kernelINS0_14default_configENS1_25transform_config_selectorIN6thrust23THRUST_200600_302600_NS5tupleIffNS6_9null_typeES8_S8_S8_S8_S8_S8_S8_EELb0EEEZNS1_14transform_implILb0ES3_SA_NS6_6detail15normal_iteratorINS6_10device_ptrIS9_EEEEPS9_NS0_8identityIS9_EEEE10hipError_tT2_T3_mT4_P12ihipStream_tbEUlT_E_NS1_11comp_targetILNS1_3genE5ELNS1_11target_archE942ELNS1_3gpuE9ELNS1_3repE0EEENS1_30default_config_static_selectorELNS0_4arch9wavefront6targetE0EEEvT1_
    .private_segment_fixed_size: 0
    .sgpr_count:     0
    .sgpr_spill_count: 0
    .symbol:         _ZN7rocprim17ROCPRIM_400000_NS6detail17trampoline_kernelINS0_14default_configENS1_25transform_config_selectorIN6thrust23THRUST_200600_302600_NS5tupleIffNS6_9null_typeES8_S8_S8_S8_S8_S8_S8_EELb0EEEZNS1_14transform_implILb0ES3_SA_NS6_6detail15normal_iteratorINS6_10device_ptrIS9_EEEEPS9_NS0_8identityIS9_EEEE10hipError_tT2_T3_mT4_P12ihipStream_tbEUlT_E_NS1_11comp_targetILNS1_3genE5ELNS1_11target_archE942ELNS1_3gpuE9ELNS1_3repE0EEENS1_30default_config_static_selectorELNS0_4arch9wavefront6targetE0EEEvT1_.kd
    .uniform_work_group_size: 1
    .uses_dynamic_stack: false
    .vgpr_count:     0
    .vgpr_spill_count: 0
    .wavefront_size: 32
    .workgroup_processor_mode: 1
  - .args:
      - .offset:         0
        .size:           40
        .value_kind:     by_value
    .group_segment_fixed_size: 0
    .kernarg_segment_align: 8
    .kernarg_segment_size: 40
    .language:       OpenCL C
    .language_version:
      - 2
      - 0
    .max_flat_workgroup_size: 256
    .name:           _ZN7rocprim17ROCPRIM_400000_NS6detail17trampoline_kernelINS0_14default_configENS1_25transform_config_selectorIN6thrust23THRUST_200600_302600_NS5tupleIffNS6_9null_typeES8_S8_S8_S8_S8_S8_S8_EELb0EEEZNS1_14transform_implILb0ES3_SA_NS6_6detail15normal_iteratorINS6_10device_ptrIS9_EEEEPS9_NS0_8identityIS9_EEEE10hipError_tT2_T3_mT4_P12ihipStream_tbEUlT_E_NS1_11comp_targetILNS1_3genE4ELNS1_11target_archE910ELNS1_3gpuE8ELNS1_3repE0EEENS1_30default_config_static_selectorELNS0_4arch9wavefront6targetE0EEEvT1_
    .private_segment_fixed_size: 0
    .sgpr_count:     0
    .sgpr_spill_count: 0
    .symbol:         _ZN7rocprim17ROCPRIM_400000_NS6detail17trampoline_kernelINS0_14default_configENS1_25transform_config_selectorIN6thrust23THRUST_200600_302600_NS5tupleIffNS6_9null_typeES8_S8_S8_S8_S8_S8_S8_EELb0EEEZNS1_14transform_implILb0ES3_SA_NS6_6detail15normal_iteratorINS6_10device_ptrIS9_EEEEPS9_NS0_8identityIS9_EEEE10hipError_tT2_T3_mT4_P12ihipStream_tbEUlT_E_NS1_11comp_targetILNS1_3genE4ELNS1_11target_archE910ELNS1_3gpuE8ELNS1_3repE0EEENS1_30default_config_static_selectorELNS0_4arch9wavefront6targetE0EEEvT1_.kd
    .uniform_work_group_size: 1
    .uses_dynamic_stack: false
    .vgpr_count:     0
    .vgpr_spill_count: 0
    .wavefront_size: 32
    .workgroup_processor_mode: 1
  - .args:
      - .offset:         0
        .size:           40
        .value_kind:     by_value
    .group_segment_fixed_size: 0
    .kernarg_segment_align: 8
    .kernarg_segment_size: 40
    .language:       OpenCL C
    .language_version:
      - 2
      - 0
    .max_flat_workgroup_size: 128
    .name:           _ZN7rocprim17ROCPRIM_400000_NS6detail17trampoline_kernelINS0_14default_configENS1_25transform_config_selectorIN6thrust23THRUST_200600_302600_NS5tupleIffNS6_9null_typeES8_S8_S8_S8_S8_S8_S8_EELb0EEEZNS1_14transform_implILb0ES3_SA_NS6_6detail15normal_iteratorINS6_10device_ptrIS9_EEEEPS9_NS0_8identityIS9_EEEE10hipError_tT2_T3_mT4_P12ihipStream_tbEUlT_E_NS1_11comp_targetILNS1_3genE3ELNS1_11target_archE908ELNS1_3gpuE7ELNS1_3repE0EEENS1_30default_config_static_selectorELNS0_4arch9wavefront6targetE0EEEvT1_
    .private_segment_fixed_size: 0
    .sgpr_count:     0
    .sgpr_spill_count: 0
    .symbol:         _ZN7rocprim17ROCPRIM_400000_NS6detail17trampoline_kernelINS0_14default_configENS1_25transform_config_selectorIN6thrust23THRUST_200600_302600_NS5tupleIffNS6_9null_typeES8_S8_S8_S8_S8_S8_S8_EELb0EEEZNS1_14transform_implILb0ES3_SA_NS6_6detail15normal_iteratorINS6_10device_ptrIS9_EEEEPS9_NS0_8identityIS9_EEEE10hipError_tT2_T3_mT4_P12ihipStream_tbEUlT_E_NS1_11comp_targetILNS1_3genE3ELNS1_11target_archE908ELNS1_3gpuE7ELNS1_3repE0EEENS1_30default_config_static_selectorELNS0_4arch9wavefront6targetE0EEEvT1_.kd
    .uniform_work_group_size: 1
    .uses_dynamic_stack: false
    .vgpr_count:     0
    .vgpr_spill_count: 0
    .wavefront_size: 32
    .workgroup_processor_mode: 1
  - .args:
      - .offset:         0
        .size:           40
        .value_kind:     by_value
    .group_segment_fixed_size: 0
    .kernarg_segment_align: 8
    .kernarg_segment_size: 40
    .language:       OpenCL C
    .language_version:
      - 2
      - 0
    .max_flat_workgroup_size: 512
    .name:           _ZN7rocprim17ROCPRIM_400000_NS6detail17trampoline_kernelINS0_14default_configENS1_25transform_config_selectorIN6thrust23THRUST_200600_302600_NS5tupleIffNS6_9null_typeES8_S8_S8_S8_S8_S8_S8_EELb0EEEZNS1_14transform_implILb0ES3_SA_NS6_6detail15normal_iteratorINS6_10device_ptrIS9_EEEEPS9_NS0_8identityIS9_EEEE10hipError_tT2_T3_mT4_P12ihipStream_tbEUlT_E_NS1_11comp_targetILNS1_3genE2ELNS1_11target_archE906ELNS1_3gpuE6ELNS1_3repE0EEENS1_30default_config_static_selectorELNS0_4arch9wavefront6targetE0EEEvT1_
    .private_segment_fixed_size: 0
    .sgpr_count:     0
    .sgpr_spill_count: 0
    .symbol:         _ZN7rocprim17ROCPRIM_400000_NS6detail17trampoline_kernelINS0_14default_configENS1_25transform_config_selectorIN6thrust23THRUST_200600_302600_NS5tupleIffNS6_9null_typeES8_S8_S8_S8_S8_S8_S8_EELb0EEEZNS1_14transform_implILb0ES3_SA_NS6_6detail15normal_iteratorINS6_10device_ptrIS9_EEEEPS9_NS0_8identityIS9_EEEE10hipError_tT2_T3_mT4_P12ihipStream_tbEUlT_E_NS1_11comp_targetILNS1_3genE2ELNS1_11target_archE906ELNS1_3gpuE6ELNS1_3repE0EEENS1_30default_config_static_selectorELNS0_4arch9wavefront6targetE0EEEvT1_.kd
    .uniform_work_group_size: 1
    .uses_dynamic_stack: false
    .vgpr_count:     0
    .vgpr_spill_count: 0
    .wavefront_size: 32
    .workgroup_processor_mode: 1
  - .args:
      - .offset:         0
        .size:           40
        .value_kind:     by_value
    .group_segment_fixed_size: 0
    .kernarg_segment_align: 8
    .kernarg_segment_size: 40
    .language:       OpenCL C
    .language_version:
      - 2
      - 0
    .max_flat_workgroup_size: 1024
    .name:           _ZN7rocprim17ROCPRIM_400000_NS6detail17trampoline_kernelINS0_14default_configENS1_25transform_config_selectorIN6thrust23THRUST_200600_302600_NS5tupleIffNS6_9null_typeES8_S8_S8_S8_S8_S8_S8_EELb0EEEZNS1_14transform_implILb0ES3_SA_NS6_6detail15normal_iteratorINS6_10device_ptrIS9_EEEEPS9_NS0_8identityIS9_EEEE10hipError_tT2_T3_mT4_P12ihipStream_tbEUlT_E_NS1_11comp_targetILNS1_3genE10ELNS1_11target_archE1201ELNS1_3gpuE5ELNS1_3repE0EEENS1_30default_config_static_selectorELNS0_4arch9wavefront6targetE0EEEvT1_
    .private_segment_fixed_size: 0
    .sgpr_count:     0
    .sgpr_spill_count: 0
    .symbol:         _ZN7rocprim17ROCPRIM_400000_NS6detail17trampoline_kernelINS0_14default_configENS1_25transform_config_selectorIN6thrust23THRUST_200600_302600_NS5tupleIffNS6_9null_typeES8_S8_S8_S8_S8_S8_S8_EELb0EEEZNS1_14transform_implILb0ES3_SA_NS6_6detail15normal_iteratorINS6_10device_ptrIS9_EEEEPS9_NS0_8identityIS9_EEEE10hipError_tT2_T3_mT4_P12ihipStream_tbEUlT_E_NS1_11comp_targetILNS1_3genE10ELNS1_11target_archE1201ELNS1_3gpuE5ELNS1_3repE0EEENS1_30default_config_static_selectorELNS0_4arch9wavefront6targetE0EEEvT1_.kd
    .uniform_work_group_size: 1
    .uses_dynamic_stack: false
    .vgpr_count:     0
    .vgpr_spill_count: 0
    .wavefront_size: 32
    .workgroup_processor_mode: 1
  - .args:
      - .offset:         0
        .size:           40
        .value_kind:     by_value
    .group_segment_fixed_size: 0
    .kernarg_segment_align: 8
    .kernarg_segment_size: 40
    .language:       OpenCL C
    .language_version:
      - 2
      - 0
    .max_flat_workgroup_size: 512
    .name:           _ZN7rocprim17ROCPRIM_400000_NS6detail17trampoline_kernelINS0_14default_configENS1_25transform_config_selectorIN6thrust23THRUST_200600_302600_NS5tupleIffNS6_9null_typeES8_S8_S8_S8_S8_S8_S8_EELb0EEEZNS1_14transform_implILb0ES3_SA_NS6_6detail15normal_iteratorINS6_10device_ptrIS9_EEEEPS9_NS0_8identityIS9_EEEE10hipError_tT2_T3_mT4_P12ihipStream_tbEUlT_E_NS1_11comp_targetILNS1_3genE10ELNS1_11target_archE1200ELNS1_3gpuE4ELNS1_3repE0EEENS1_30default_config_static_selectorELNS0_4arch9wavefront6targetE0EEEvT1_
    .private_segment_fixed_size: 0
    .sgpr_count:     0
    .sgpr_spill_count: 0
    .symbol:         _ZN7rocprim17ROCPRIM_400000_NS6detail17trampoline_kernelINS0_14default_configENS1_25transform_config_selectorIN6thrust23THRUST_200600_302600_NS5tupleIffNS6_9null_typeES8_S8_S8_S8_S8_S8_S8_EELb0EEEZNS1_14transform_implILb0ES3_SA_NS6_6detail15normal_iteratorINS6_10device_ptrIS9_EEEEPS9_NS0_8identityIS9_EEEE10hipError_tT2_T3_mT4_P12ihipStream_tbEUlT_E_NS1_11comp_targetILNS1_3genE10ELNS1_11target_archE1200ELNS1_3gpuE4ELNS1_3repE0EEENS1_30default_config_static_selectorELNS0_4arch9wavefront6targetE0EEEvT1_.kd
    .uniform_work_group_size: 1
    .uses_dynamic_stack: false
    .vgpr_count:     0
    .vgpr_spill_count: 0
    .wavefront_size: 32
    .workgroup_processor_mode: 1
  - .args:
      - .offset:         0
        .size:           40
        .value_kind:     by_value
    .group_segment_fixed_size: 0
    .kernarg_segment_align: 8
    .kernarg_segment_size: 40
    .language:       OpenCL C
    .language_version:
      - 2
      - 0
    .max_flat_workgroup_size: 512
    .name:           _ZN7rocprim17ROCPRIM_400000_NS6detail17trampoline_kernelINS0_14default_configENS1_25transform_config_selectorIN6thrust23THRUST_200600_302600_NS5tupleIffNS6_9null_typeES8_S8_S8_S8_S8_S8_S8_EELb0EEEZNS1_14transform_implILb0ES3_SA_NS6_6detail15normal_iteratorINS6_10device_ptrIS9_EEEEPS9_NS0_8identityIS9_EEEE10hipError_tT2_T3_mT4_P12ihipStream_tbEUlT_E_NS1_11comp_targetILNS1_3genE9ELNS1_11target_archE1100ELNS1_3gpuE3ELNS1_3repE0EEENS1_30default_config_static_selectorELNS0_4arch9wavefront6targetE0EEEvT1_
    .private_segment_fixed_size: 0
    .sgpr_count:     0
    .sgpr_spill_count: 0
    .symbol:         _ZN7rocprim17ROCPRIM_400000_NS6detail17trampoline_kernelINS0_14default_configENS1_25transform_config_selectorIN6thrust23THRUST_200600_302600_NS5tupleIffNS6_9null_typeES8_S8_S8_S8_S8_S8_S8_EELb0EEEZNS1_14transform_implILb0ES3_SA_NS6_6detail15normal_iteratorINS6_10device_ptrIS9_EEEEPS9_NS0_8identityIS9_EEEE10hipError_tT2_T3_mT4_P12ihipStream_tbEUlT_E_NS1_11comp_targetILNS1_3genE9ELNS1_11target_archE1100ELNS1_3gpuE3ELNS1_3repE0EEENS1_30default_config_static_selectorELNS0_4arch9wavefront6targetE0EEEvT1_.kd
    .uniform_work_group_size: 1
    .uses_dynamic_stack: false
    .vgpr_count:     0
    .vgpr_spill_count: 0
    .wavefront_size: 32
    .workgroup_processor_mode: 1
  - .args:
      - .offset:         0
        .size:           40
        .value_kind:     by_value
      - .offset:         40
        .size:           4
        .value_kind:     hidden_block_count_x
      - .offset:         44
        .size:           4
        .value_kind:     hidden_block_count_y
      - .offset:         48
        .size:           4
        .value_kind:     hidden_block_count_z
      - .offset:         52
        .size:           2
        .value_kind:     hidden_group_size_x
      - .offset:         54
        .size:           2
        .value_kind:     hidden_group_size_y
      - .offset:         56
        .size:           2
        .value_kind:     hidden_group_size_z
      - .offset:         58
        .size:           2
        .value_kind:     hidden_remainder_x
      - .offset:         60
        .size:           2
        .value_kind:     hidden_remainder_y
      - .offset:         62
        .size:           2
        .value_kind:     hidden_remainder_z
      - .offset:         80
        .size:           8
        .value_kind:     hidden_global_offset_x
      - .offset:         88
        .size:           8
        .value_kind:     hidden_global_offset_y
      - .offset:         96
        .size:           8
        .value_kind:     hidden_global_offset_z
      - .offset:         104
        .size:           2
        .value_kind:     hidden_grid_dims
    .group_segment_fixed_size: 0
    .kernarg_segment_align: 8
    .kernarg_segment_size: 296
    .language:       OpenCL C
    .language_version:
      - 2
      - 0
    .max_flat_workgroup_size: 512
    .name:           _ZN7rocprim17ROCPRIM_400000_NS6detail17trampoline_kernelINS0_14default_configENS1_25transform_config_selectorIN6thrust23THRUST_200600_302600_NS5tupleIffNS6_9null_typeES8_S8_S8_S8_S8_S8_S8_EELb0EEEZNS1_14transform_implILb0ES3_SA_NS6_6detail15normal_iteratorINS6_10device_ptrIS9_EEEEPS9_NS0_8identityIS9_EEEE10hipError_tT2_T3_mT4_P12ihipStream_tbEUlT_E_NS1_11comp_targetILNS1_3genE8ELNS1_11target_archE1030ELNS1_3gpuE2ELNS1_3repE0EEENS1_30default_config_static_selectorELNS0_4arch9wavefront6targetE0EEEvT1_
    .private_segment_fixed_size: 0
    .sgpr_count:     18
    .sgpr_spill_count: 0
    .symbol:         _ZN7rocprim17ROCPRIM_400000_NS6detail17trampoline_kernelINS0_14default_configENS1_25transform_config_selectorIN6thrust23THRUST_200600_302600_NS5tupleIffNS6_9null_typeES8_S8_S8_S8_S8_S8_S8_EELb0EEEZNS1_14transform_implILb0ES3_SA_NS6_6detail15normal_iteratorINS6_10device_ptrIS9_EEEEPS9_NS0_8identityIS9_EEEE10hipError_tT2_T3_mT4_P12ihipStream_tbEUlT_E_NS1_11comp_targetILNS1_3genE8ELNS1_11target_archE1030ELNS1_3gpuE2ELNS1_3repE0EEENS1_30default_config_static_selectorELNS0_4arch9wavefront6targetE0EEEvT1_.kd
    .uniform_work_group_size: 1
    .uses_dynamic_stack: false
    .vgpr_count:     8
    .vgpr_spill_count: 0
    .wavefront_size: 32
    .workgroup_processor_mode: 1
  - .args:
      - .offset:         0
        .size:           88
        .value_kind:     by_value
    .group_segment_fixed_size: 0
    .kernarg_segment_align: 8
    .kernarg_segment_size: 88
    .language:       OpenCL C
    .language_version:
      - 2
      - 0
    .max_flat_workgroup_size: 512
    .name:           _ZN7rocprim17ROCPRIM_400000_NS6detail17trampoline_kernelINS0_14default_configENS1_35radix_sort_onesweep_config_selectorIjN6thrust23THRUST_200600_302600_NS5tupleIffNS6_9null_typeES8_S8_S8_S8_S8_S8_S8_EEEEZZNS1_29radix_sort_onesweep_iterationIS3_Lb0ENS6_6detail15normal_iteratorINS6_10device_ptrIjEEEESG_NSD_INSE_IS9_EEEESI_jNS0_19identity_decomposerENS1_16block_id_wrapperIjLb1EEEEE10hipError_tT1_PNSt15iterator_traitsISN_E10value_typeET2_T3_PNSO_IST_E10value_typeET4_T5_PSY_SZ_PNS1_23onesweep_lookback_stateEbbT6_jjT7_P12ihipStream_tbENKUlT_T0_SN_SS_E_clISG_SG_SI_SI_EEDaS16_S17_SN_SS_EUlS16_E_NS1_11comp_targetILNS1_3genE0ELNS1_11target_archE4294967295ELNS1_3gpuE0ELNS1_3repE0EEENS1_47radix_sort_onesweep_sort_config_static_selectorELNS0_4arch9wavefront6targetE0EEEvSN_
    .private_segment_fixed_size: 0
    .sgpr_count:     0
    .sgpr_spill_count: 0
    .symbol:         _ZN7rocprim17ROCPRIM_400000_NS6detail17trampoline_kernelINS0_14default_configENS1_35radix_sort_onesweep_config_selectorIjN6thrust23THRUST_200600_302600_NS5tupleIffNS6_9null_typeES8_S8_S8_S8_S8_S8_S8_EEEEZZNS1_29radix_sort_onesweep_iterationIS3_Lb0ENS6_6detail15normal_iteratorINS6_10device_ptrIjEEEESG_NSD_INSE_IS9_EEEESI_jNS0_19identity_decomposerENS1_16block_id_wrapperIjLb1EEEEE10hipError_tT1_PNSt15iterator_traitsISN_E10value_typeET2_T3_PNSO_IST_E10value_typeET4_T5_PSY_SZ_PNS1_23onesweep_lookback_stateEbbT6_jjT7_P12ihipStream_tbENKUlT_T0_SN_SS_E_clISG_SG_SI_SI_EEDaS16_S17_SN_SS_EUlS16_E_NS1_11comp_targetILNS1_3genE0ELNS1_11target_archE4294967295ELNS1_3gpuE0ELNS1_3repE0EEENS1_47radix_sort_onesweep_sort_config_static_selectorELNS0_4arch9wavefront6targetE0EEEvSN_.kd
    .uniform_work_group_size: 1
    .uses_dynamic_stack: false
    .vgpr_count:     0
    .vgpr_spill_count: 0
    .wavefront_size: 32
    .workgroup_processor_mode: 1
  - .args:
      - .offset:         0
        .size:           88
        .value_kind:     by_value
    .group_segment_fixed_size: 0
    .kernarg_segment_align: 8
    .kernarg_segment_size: 88
    .language:       OpenCL C
    .language_version:
      - 2
      - 0
    .max_flat_workgroup_size: 1024
    .name:           _ZN7rocprim17ROCPRIM_400000_NS6detail17trampoline_kernelINS0_14default_configENS1_35radix_sort_onesweep_config_selectorIjN6thrust23THRUST_200600_302600_NS5tupleIffNS6_9null_typeES8_S8_S8_S8_S8_S8_S8_EEEEZZNS1_29radix_sort_onesweep_iterationIS3_Lb0ENS6_6detail15normal_iteratorINS6_10device_ptrIjEEEESG_NSD_INSE_IS9_EEEESI_jNS0_19identity_decomposerENS1_16block_id_wrapperIjLb1EEEEE10hipError_tT1_PNSt15iterator_traitsISN_E10value_typeET2_T3_PNSO_IST_E10value_typeET4_T5_PSY_SZ_PNS1_23onesweep_lookback_stateEbbT6_jjT7_P12ihipStream_tbENKUlT_T0_SN_SS_E_clISG_SG_SI_SI_EEDaS16_S17_SN_SS_EUlS16_E_NS1_11comp_targetILNS1_3genE6ELNS1_11target_archE950ELNS1_3gpuE13ELNS1_3repE0EEENS1_47radix_sort_onesweep_sort_config_static_selectorELNS0_4arch9wavefront6targetE0EEEvSN_
    .private_segment_fixed_size: 0
    .sgpr_count:     0
    .sgpr_spill_count: 0
    .symbol:         _ZN7rocprim17ROCPRIM_400000_NS6detail17trampoline_kernelINS0_14default_configENS1_35radix_sort_onesweep_config_selectorIjN6thrust23THRUST_200600_302600_NS5tupleIffNS6_9null_typeES8_S8_S8_S8_S8_S8_S8_EEEEZZNS1_29radix_sort_onesweep_iterationIS3_Lb0ENS6_6detail15normal_iteratorINS6_10device_ptrIjEEEESG_NSD_INSE_IS9_EEEESI_jNS0_19identity_decomposerENS1_16block_id_wrapperIjLb1EEEEE10hipError_tT1_PNSt15iterator_traitsISN_E10value_typeET2_T3_PNSO_IST_E10value_typeET4_T5_PSY_SZ_PNS1_23onesweep_lookback_stateEbbT6_jjT7_P12ihipStream_tbENKUlT_T0_SN_SS_E_clISG_SG_SI_SI_EEDaS16_S17_SN_SS_EUlS16_E_NS1_11comp_targetILNS1_3genE6ELNS1_11target_archE950ELNS1_3gpuE13ELNS1_3repE0EEENS1_47radix_sort_onesweep_sort_config_static_selectorELNS0_4arch9wavefront6targetE0EEEvSN_.kd
    .uniform_work_group_size: 1
    .uses_dynamic_stack: false
    .vgpr_count:     0
    .vgpr_spill_count: 0
    .wavefront_size: 32
    .workgroup_processor_mode: 1
  - .args:
      - .offset:         0
        .size:           88
        .value_kind:     by_value
    .group_segment_fixed_size: 0
    .kernarg_segment_align: 8
    .kernarg_segment_size: 88
    .language:       OpenCL C
    .language_version:
      - 2
      - 0
    .max_flat_workgroup_size: 1024
    .name:           _ZN7rocprim17ROCPRIM_400000_NS6detail17trampoline_kernelINS0_14default_configENS1_35radix_sort_onesweep_config_selectorIjN6thrust23THRUST_200600_302600_NS5tupleIffNS6_9null_typeES8_S8_S8_S8_S8_S8_S8_EEEEZZNS1_29radix_sort_onesweep_iterationIS3_Lb0ENS6_6detail15normal_iteratorINS6_10device_ptrIjEEEESG_NSD_INSE_IS9_EEEESI_jNS0_19identity_decomposerENS1_16block_id_wrapperIjLb1EEEEE10hipError_tT1_PNSt15iterator_traitsISN_E10value_typeET2_T3_PNSO_IST_E10value_typeET4_T5_PSY_SZ_PNS1_23onesweep_lookback_stateEbbT6_jjT7_P12ihipStream_tbENKUlT_T0_SN_SS_E_clISG_SG_SI_SI_EEDaS16_S17_SN_SS_EUlS16_E_NS1_11comp_targetILNS1_3genE5ELNS1_11target_archE942ELNS1_3gpuE9ELNS1_3repE0EEENS1_47radix_sort_onesweep_sort_config_static_selectorELNS0_4arch9wavefront6targetE0EEEvSN_
    .private_segment_fixed_size: 0
    .sgpr_count:     0
    .sgpr_spill_count: 0
    .symbol:         _ZN7rocprim17ROCPRIM_400000_NS6detail17trampoline_kernelINS0_14default_configENS1_35radix_sort_onesweep_config_selectorIjN6thrust23THRUST_200600_302600_NS5tupleIffNS6_9null_typeES8_S8_S8_S8_S8_S8_S8_EEEEZZNS1_29radix_sort_onesweep_iterationIS3_Lb0ENS6_6detail15normal_iteratorINS6_10device_ptrIjEEEESG_NSD_INSE_IS9_EEEESI_jNS0_19identity_decomposerENS1_16block_id_wrapperIjLb1EEEEE10hipError_tT1_PNSt15iterator_traitsISN_E10value_typeET2_T3_PNSO_IST_E10value_typeET4_T5_PSY_SZ_PNS1_23onesweep_lookback_stateEbbT6_jjT7_P12ihipStream_tbENKUlT_T0_SN_SS_E_clISG_SG_SI_SI_EEDaS16_S17_SN_SS_EUlS16_E_NS1_11comp_targetILNS1_3genE5ELNS1_11target_archE942ELNS1_3gpuE9ELNS1_3repE0EEENS1_47radix_sort_onesweep_sort_config_static_selectorELNS0_4arch9wavefront6targetE0EEEvSN_.kd
    .uniform_work_group_size: 1
    .uses_dynamic_stack: false
    .vgpr_count:     0
    .vgpr_spill_count: 0
    .wavefront_size: 32
    .workgroup_processor_mode: 1
  - .args:
      - .offset:         0
        .size:           88
        .value_kind:     by_value
    .group_segment_fixed_size: 0
    .kernarg_segment_align: 8
    .kernarg_segment_size: 88
    .language:       OpenCL C
    .language_version:
      - 2
      - 0
    .max_flat_workgroup_size: 512
    .name:           _ZN7rocprim17ROCPRIM_400000_NS6detail17trampoline_kernelINS0_14default_configENS1_35radix_sort_onesweep_config_selectorIjN6thrust23THRUST_200600_302600_NS5tupleIffNS6_9null_typeES8_S8_S8_S8_S8_S8_S8_EEEEZZNS1_29radix_sort_onesweep_iterationIS3_Lb0ENS6_6detail15normal_iteratorINS6_10device_ptrIjEEEESG_NSD_INSE_IS9_EEEESI_jNS0_19identity_decomposerENS1_16block_id_wrapperIjLb1EEEEE10hipError_tT1_PNSt15iterator_traitsISN_E10value_typeET2_T3_PNSO_IST_E10value_typeET4_T5_PSY_SZ_PNS1_23onesweep_lookback_stateEbbT6_jjT7_P12ihipStream_tbENKUlT_T0_SN_SS_E_clISG_SG_SI_SI_EEDaS16_S17_SN_SS_EUlS16_E_NS1_11comp_targetILNS1_3genE2ELNS1_11target_archE906ELNS1_3gpuE6ELNS1_3repE0EEENS1_47radix_sort_onesweep_sort_config_static_selectorELNS0_4arch9wavefront6targetE0EEEvSN_
    .private_segment_fixed_size: 0
    .sgpr_count:     0
    .sgpr_spill_count: 0
    .symbol:         _ZN7rocprim17ROCPRIM_400000_NS6detail17trampoline_kernelINS0_14default_configENS1_35radix_sort_onesweep_config_selectorIjN6thrust23THRUST_200600_302600_NS5tupleIffNS6_9null_typeES8_S8_S8_S8_S8_S8_S8_EEEEZZNS1_29radix_sort_onesweep_iterationIS3_Lb0ENS6_6detail15normal_iteratorINS6_10device_ptrIjEEEESG_NSD_INSE_IS9_EEEESI_jNS0_19identity_decomposerENS1_16block_id_wrapperIjLb1EEEEE10hipError_tT1_PNSt15iterator_traitsISN_E10value_typeET2_T3_PNSO_IST_E10value_typeET4_T5_PSY_SZ_PNS1_23onesweep_lookback_stateEbbT6_jjT7_P12ihipStream_tbENKUlT_T0_SN_SS_E_clISG_SG_SI_SI_EEDaS16_S17_SN_SS_EUlS16_E_NS1_11comp_targetILNS1_3genE2ELNS1_11target_archE906ELNS1_3gpuE6ELNS1_3repE0EEENS1_47radix_sort_onesweep_sort_config_static_selectorELNS0_4arch9wavefront6targetE0EEEvSN_.kd
    .uniform_work_group_size: 1
    .uses_dynamic_stack: false
    .vgpr_count:     0
    .vgpr_spill_count: 0
    .wavefront_size: 32
    .workgroup_processor_mode: 1
  - .args:
      - .offset:         0
        .size:           88
        .value_kind:     by_value
    .group_segment_fixed_size: 0
    .kernarg_segment_align: 8
    .kernarg_segment_size: 88
    .language:       OpenCL C
    .language_version:
      - 2
      - 0
    .max_flat_workgroup_size: 512
    .name:           _ZN7rocprim17ROCPRIM_400000_NS6detail17trampoline_kernelINS0_14default_configENS1_35radix_sort_onesweep_config_selectorIjN6thrust23THRUST_200600_302600_NS5tupleIffNS6_9null_typeES8_S8_S8_S8_S8_S8_S8_EEEEZZNS1_29radix_sort_onesweep_iterationIS3_Lb0ENS6_6detail15normal_iteratorINS6_10device_ptrIjEEEESG_NSD_INSE_IS9_EEEESI_jNS0_19identity_decomposerENS1_16block_id_wrapperIjLb1EEEEE10hipError_tT1_PNSt15iterator_traitsISN_E10value_typeET2_T3_PNSO_IST_E10value_typeET4_T5_PSY_SZ_PNS1_23onesweep_lookback_stateEbbT6_jjT7_P12ihipStream_tbENKUlT_T0_SN_SS_E_clISG_SG_SI_SI_EEDaS16_S17_SN_SS_EUlS16_E_NS1_11comp_targetILNS1_3genE4ELNS1_11target_archE910ELNS1_3gpuE8ELNS1_3repE0EEENS1_47radix_sort_onesweep_sort_config_static_selectorELNS0_4arch9wavefront6targetE0EEEvSN_
    .private_segment_fixed_size: 0
    .sgpr_count:     0
    .sgpr_spill_count: 0
    .symbol:         _ZN7rocprim17ROCPRIM_400000_NS6detail17trampoline_kernelINS0_14default_configENS1_35radix_sort_onesweep_config_selectorIjN6thrust23THRUST_200600_302600_NS5tupleIffNS6_9null_typeES8_S8_S8_S8_S8_S8_S8_EEEEZZNS1_29radix_sort_onesweep_iterationIS3_Lb0ENS6_6detail15normal_iteratorINS6_10device_ptrIjEEEESG_NSD_INSE_IS9_EEEESI_jNS0_19identity_decomposerENS1_16block_id_wrapperIjLb1EEEEE10hipError_tT1_PNSt15iterator_traitsISN_E10value_typeET2_T3_PNSO_IST_E10value_typeET4_T5_PSY_SZ_PNS1_23onesweep_lookback_stateEbbT6_jjT7_P12ihipStream_tbENKUlT_T0_SN_SS_E_clISG_SG_SI_SI_EEDaS16_S17_SN_SS_EUlS16_E_NS1_11comp_targetILNS1_3genE4ELNS1_11target_archE910ELNS1_3gpuE8ELNS1_3repE0EEENS1_47radix_sort_onesweep_sort_config_static_selectorELNS0_4arch9wavefront6targetE0EEEvSN_.kd
    .uniform_work_group_size: 1
    .uses_dynamic_stack: false
    .vgpr_count:     0
    .vgpr_spill_count: 0
    .wavefront_size: 32
    .workgroup_processor_mode: 1
  - .args:
      - .offset:         0
        .size:           88
        .value_kind:     by_value
    .group_segment_fixed_size: 0
    .kernarg_segment_align: 8
    .kernarg_segment_size: 88
    .language:       OpenCL C
    .language_version:
      - 2
      - 0
    .max_flat_workgroup_size: 512
    .name:           _ZN7rocprim17ROCPRIM_400000_NS6detail17trampoline_kernelINS0_14default_configENS1_35radix_sort_onesweep_config_selectorIjN6thrust23THRUST_200600_302600_NS5tupleIffNS6_9null_typeES8_S8_S8_S8_S8_S8_S8_EEEEZZNS1_29radix_sort_onesweep_iterationIS3_Lb0ENS6_6detail15normal_iteratorINS6_10device_ptrIjEEEESG_NSD_INSE_IS9_EEEESI_jNS0_19identity_decomposerENS1_16block_id_wrapperIjLb1EEEEE10hipError_tT1_PNSt15iterator_traitsISN_E10value_typeET2_T3_PNSO_IST_E10value_typeET4_T5_PSY_SZ_PNS1_23onesweep_lookback_stateEbbT6_jjT7_P12ihipStream_tbENKUlT_T0_SN_SS_E_clISG_SG_SI_SI_EEDaS16_S17_SN_SS_EUlS16_E_NS1_11comp_targetILNS1_3genE3ELNS1_11target_archE908ELNS1_3gpuE7ELNS1_3repE0EEENS1_47radix_sort_onesweep_sort_config_static_selectorELNS0_4arch9wavefront6targetE0EEEvSN_
    .private_segment_fixed_size: 0
    .sgpr_count:     0
    .sgpr_spill_count: 0
    .symbol:         _ZN7rocprim17ROCPRIM_400000_NS6detail17trampoline_kernelINS0_14default_configENS1_35radix_sort_onesweep_config_selectorIjN6thrust23THRUST_200600_302600_NS5tupleIffNS6_9null_typeES8_S8_S8_S8_S8_S8_S8_EEEEZZNS1_29radix_sort_onesweep_iterationIS3_Lb0ENS6_6detail15normal_iteratorINS6_10device_ptrIjEEEESG_NSD_INSE_IS9_EEEESI_jNS0_19identity_decomposerENS1_16block_id_wrapperIjLb1EEEEE10hipError_tT1_PNSt15iterator_traitsISN_E10value_typeET2_T3_PNSO_IST_E10value_typeET4_T5_PSY_SZ_PNS1_23onesweep_lookback_stateEbbT6_jjT7_P12ihipStream_tbENKUlT_T0_SN_SS_E_clISG_SG_SI_SI_EEDaS16_S17_SN_SS_EUlS16_E_NS1_11comp_targetILNS1_3genE3ELNS1_11target_archE908ELNS1_3gpuE7ELNS1_3repE0EEENS1_47radix_sort_onesweep_sort_config_static_selectorELNS0_4arch9wavefront6targetE0EEEvSN_.kd
    .uniform_work_group_size: 1
    .uses_dynamic_stack: false
    .vgpr_count:     0
    .vgpr_spill_count: 0
    .wavefront_size: 32
    .workgroup_processor_mode: 1
  - .args:
      - .offset:         0
        .size:           88
        .value_kind:     by_value
    .group_segment_fixed_size: 0
    .kernarg_segment_align: 8
    .kernarg_segment_size: 88
    .language:       OpenCL C
    .language_version:
      - 2
      - 0
    .max_flat_workgroup_size: 1024
    .name:           _ZN7rocprim17ROCPRIM_400000_NS6detail17trampoline_kernelINS0_14default_configENS1_35radix_sort_onesweep_config_selectorIjN6thrust23THRUST_200600_302600_NS5tupleIffNS6_9null_typeES8_S8_S8_S8_S8_S8_S8_EEEEZZNS1_29radix_sort_onesweep_iterationIS3_Lb0ENS6_6detail15normal_iteratorINS6_10device_ptrIjEEEESG_NSD_INSE_IS9_EEEESI_jNS0_19identity_decomposerENS1_16block_id_wrapperIjLb1EEEEE10hipError_tT1_PNSt15iterator_traitsISN_E10value_typeET2_T3_PNSO_IST_E10value_typeET4_T5_PSY_SZ_PNS1_23onesweep_lookback_stateEbbT6_jjT7_P12ihipStream_tbENKUlT_T0_SN_SS_E_clISG_SG_SI_SI_EEDaS16_S17_SN_SS_EUlS16_E_NS1_11comp_targetILNS1_3genE10ELNS1_11target_archE1201ELNS1_3gpuE5ELNS1_3repE0EEENS1_47radix_sort_onesweep_sort_config_static_selectorELNS0_4arch9wavefront6targetE0EEEvSN_
    .private_segment_fixed_size: 0
    .sgpr_count:     0
    .sgpr_spill_count: 0
    .symbol:         _ZN7rocprim17ROCPRIM_400000_NS6detail17trampoline_kernelINS0_14default_configENS1_35radix_sort_onesweep_config_selectorIjN6thrust23THRUST_200600_302600_NS5tupleIffNS6_9null_typeES8_S8_S8_S8_S8_S8_S8_EEEEZZNS1_29radix_sort_onesweep_iterationIS3_Lb0ENS6_6detail15normal_iteratorINS6_10device_ptrIjEEEESG_NSD_INSE_IS9_EEEESI_jNS0_19identity_decomposerENS1_16block_id_wrapperIjLb1EEEEE10hipError_tT1_PNSt15iterator_traitsISN_E10value_typeET2_T3_PNSO_IST_E10value_typeET4_T5_PSY_SZ_PNS1_23onesweep_lookback_stateEbbT6_jjT7_P12ihipStream_tbENKUlT_T0_SN_SS_E_clISG_SG_SI_SI_EEDaS16_S17_SN_SS_EUlS16_E_NS1_11comp_targetILNS1_3genE10ELNS1_11target_archE1201ELNS1_3gpuE5ELNS1_3repE0EEENS1_47radix_sort_onesweep_sort_config_static_selectorELNS0_4arch9wavefront6targetE0EEEvSN_.kd
    .uniform_work_group_size: 1
    .uses_dynamic_stack: false
    .vgpr_count:     0
    .vgpr_spill_count: 0
    .wavefront_size: 32
    .workgroup_processor_mode: 1
  - .args:
      - .offset:         0
        .size:           88
        .value_kind:     by_value
    .group_segment_fixed_size: 0
    .kernarg_segment_align: 8
    .kernarg_segment_size: 88
    .language:       OpenCL C
    .language_version:
      - 2
      - 0
    .max_flat_workgroup_size: 1024
    .name:           _ZN7rocprim17ROCPRIM_400000_NS6detail17trampoline_kernelINS0_14default_configENS1_35radix_sort_onesweep_config_selectorIjN6thrust23THRUST_200600_302600_NS5tupleIffNS6_9null_typeES8_S8_S8_S8_S8_S8_S8_EEEEZZNS1_29radix_sort_onesweep_iterationIS3_Lb0ENS6_6detail15normal_iteratorINS6_10device_ptrIjEEEESG_NSD_INSE_IS9_EEEESI_jNS0_19identity_decomposerENS1_16block_id_wrapperIjLb1EEEEE10hipError_tT1_PNSt15iterator_traitsISN_E10value_typeET2_T3_PNSO_IST_E10value_typeET4_T5_PSY_SZ_PNS1_23onesweep_lookback_stateEbbT6_jjT7_P12ihipStream_tbENKUlT_T0_SN_SS_E_clISG_SG_SI_SI_EEDaS16_S17_SN_SS_EUlS16_E_NS1_11comp_targetILNS1_3genE9ELNS1_11target_archE1100ELNS1_3gpuE3ELNS1_3repE0EEENS1_47radix_sort_onesweep_sort_config_static_selectorELNS0_4arch9wavefront6targetE0EEEvSN_
    .private_segment_fixed_size: 0
    .sgpr_count:     0
    .sgpr_spill_count: 0
    .symbol:         _ZN7rocprim17ROCPRIM_400000_NS6detail17trampoline_kernelINS0_14default_configENS1_35radix_sort_onesweep_config_selectorIjN6thrust23THRUST_200600_302600_NS5tupleIffNS6_9null_typeES8_S8_S8_S8_S8_S8_S8_EEEEZZNS1_29radix_sort_onesweep_iterationIS3_Lb0ENS6_6detail15normal_iteratorINS6_10device_ptrIjEEEESG_NSD_INSE_IS9_EEEESI_jNS0_19identity_decomposerENS1_16block_id_wrapperIjLb1EEEEE10hipError_tT1_PNSt15iterator_traitsISN_E10value_typeET2_T3_PNSO_IST_E10value_typeET4_T5_PSY_SZ_PNS1_23onesweep_lookback_stateEbbT6_jjT7_P12ihipStream_tbENKUlT_T0_SN_SS_E_clISG_SG_SI_SI_EEDaS16_S17_SN_SS_EUlS16_E_NS1_11comp_targetILNS1_3genE9ELNS1_11target_archE1100ELNS1_3gpuE3ELNS1_3repE0EEENS1_47radix_sort_onesweep_sort_config_static_selectorELNS0_4arch9wavefront6targetE0EEEvSN_.kd
    .uniform_work_group_size: 1
    .uses_dynamic_stack: false
    .vgpr_count:     0
    .vgpr_spill_count: 0
    .wavefront_size: 32
    .workgroup_processor_mode: 1
  - .args:
      - .offset:         0
        .size:           88
        .value_kind:     by_value
      - .offset:         88
        .size:           4
        .value_kind:     hidden_block_count_x
      - .offset:         92
        .size:           4
        .value_kind:     hidden_block_count_y
      - .offset:         96
        .size:           4
        .value_kind:     hidden_block_count_z
      - .offset:         100
        .size:           2
        .value_kind:     hidden_group_size_x
      - .offset:         102
        .size:           2
        .value_kind:     hidden_group_size_y
      - .offset:         104
        .size:           2
        .value_kind:     hidden_group_size_z
      - .offset:         106
        .size:           2
        .value_kind:     hidden_remainder_x
      - .offset:         108
        .size:           2
        .value_kind:     hidden_remainder_y
      - .offset:         110
        .size:           2
        .value_kind:     hidden_remainder_z
      - .offset:         128
        .size:           8
        .value_kind:     hidden_global_offset_x
      - .offset:         136
        .size:           8
        .value_kind:     hidden_global_offset_y
      - .offset:         144
        .size:           8
        .value_kind:     hidden_global_offset_z
      - .offset:         152
        .size:           2
        .value_kind:     hidden_grid_dims
    .group_segment_fixed_size: 37000
    .kernarg_segment_align: 8
    .kernarg_segment_size: 344
    .language:       OpenCL C
    .language_version:
      - 2
      - 0
    .max_flat_workgroup_size: 1024
    .name:           _ZN7rocprim17ROCPRIM_400000_NS6detail17trampoline_kernelINS0_14default_configENS1_35radix_sort_onesweep_config_selectorIjN6thrust23THRUST_200600_302600_NS5tupleIffNS6_9null_typeES8_S8_S8_S8_S8_S8_S8_EEEEZZNS1_29radix_sort_onesweep_iterationIS3_Lb0ENS6_6detail15normal_iteratorINS6_10device_ptrIjEEEESG_NSD_INSE_IS9_EEEESI_jNS0_19identity_decomposerENS1_16block_id_wrapperIjLb1EEEEE10hipError_tT1_PNSt15iterator_traitsISN_E10value_typeET2_T3_PNSO_IST_E10value_typeET4_T5_PSY_SZ_PNS1_23onesweep_lookback_stateEbbT6_jjT7_P12ihipStream_tbENKUlT_T0_SN_SS_E_clISG_SG_SI_SI_EEDaS16_S17_SN_SS_EUlS16_E_NS1_11comp_targetILNS1_3genE8ELNS1_11target_archE1030ELNS1_3gpuE2ELNS1_3repE0EEENS1_47radix_sort_onesweep_sort_config_static_selectorELNS0_4arch9wavefront6targetE0EEEvSN_
    .private_segment_fixed_size: 0
    .sgpr_count:     40
    .sgpr_spill_count: 0
    .symbol:         _ZN7rocprim17ROCPRIM_400000_NS6detail17trampoline_kernelINS0_14default_configENS1_35radix_sort_onesweep_config_selectorIjN6thrust23THRUST_200600_302600_NS5tupleIffNS6_9null_typeES8_S8_S8_S8_S8_S8_S8_EEEEZZNS1_29radix_sort_onesweep_iterationIS3_Lb0ENS6_6detail15normal_iteratorINS6_10device_ptrIjEEEESG_NSD_INSE_IS9_EEEESI_jNS0_19identity_decomposerENS1_16block_id_wrapperIjLb1EEEEE10hipError_tT1_PNSt15iterator_traitsISN_E10value_typeET2_T3_PNSO_IST_E10value_typeET4_T5_PSY_SZ_PNS1_23onesweep_lookback_stateEbbT6_jjT7_P12ihipStream_tbENKUlT_T0_SN_SS_E_clISG_SG_SI_SI_EEDaS16_S17_SN_SS_EUlS16_E_NS1_11comp_targetILNS1_3genE8ELNS1_11target_archE1030ELNS1_3gpuE2ELNS1_3repE0EEENS1_47radix_sort_onesweep_sort_config_static_selectorELNS0_4arch9wavefront6targetE0EEEvSN_.kd
    .uniform_work_group_size: 1
    .uses_dynamic_stack: false
    .vgpr_count:     35
    .vgpr_spill_count: 0
    .wavefront_size: 32
    .workgroup_processor_mode: 1
  - .args:
      - .offset:         0
        .size:           88
        .value_kind:     by_value
    .group_segment_fixed_size: 0
    .kernarg_segment_align: 8
    .kernarg_segment_size: 88
    .language:       OpenCL C
    .language_version:
      - 2
      - 0
    .max_flat_workgroup_size: 512
    .name:           _ZN7rocprim17ROCPRIM_400000_NS6detail17trampoline_kernelINS0_14default_configENS1_35radix_sort_onesweep_config_selectorIjN6thrust23THRUST_200600_302600_NS5tupleIffNS6_9null_typeES8_S8_S8_S8_S8_S8_S8_EEEEZZNS1_29radix_sort_onesweep_iterationIS3_Lb0ENS6_6detail15normal_iteratorINS6_10device_ptrIjEEEESG_NSD_INSE_IS9_EEEESI_jNS0_19identity_decomposerENS1_16block_id_wrapperIjLb1EEEEE10hipError_tT1_PNSt15iterator_traitsISN_E10value_typeET2_T3_PNSO_IST_E10value_typeET4_T5_PSY_SZ_PNS1_23onesweep_lookback_stateEbbT6_jjT7_P12ihipStream_tbENKUlT_T0_SN_SS_E_clISG_PjSI_PS9_EEDaS16_S17_SN_SS_EUlS16_E_NS1_11comp_targetILNS1_3genE0ELNS1_11target_archE4294967295ELNS1_3gpuE0ELNS1_3repE0EEENS1_47radix_sort_onesweep_sort_config_static_selectorELNS0_4arch9wavefront6targetE0EEEvSN_
    .private_segment_fixed_size: 0
    .sgpr_count:     0
    .sgpr_spill_count: 0
    .symbol:         _ZN7rocprim17ROCPRIM_400000_NS6detail17trampoline_kernelINS0_14default_configENS1_35radix_sort_onesweep_config_selectorIjN6thrust23THRUST_200600_302600_NS5tupleIffNS6_9null_typeES8_S8_S8_S8_S8_S8_S8_EEEEZZNS1_29radix_sort_onesweep_iterationIS3_Lb0ENS6_6detail15normal_iteratorINS6_10device_ptrIjEEEESG_NSD_INSE_IS9_EEEESI_jNS0_19identity_decomposerENS1_16block_id_wrapperIjLb1EEEEE10hipError_tT1_PNSt15iterator_traitsISN_E10value_typeET2_T3_PNSO_IST_E10value_typeET4_T5_PSY_SZ_PNS1_23onesweep_lookback_stateEbbT6_jjT7_P12ihipStream_tbENKUlT_T0_SN_SS_E_clISG_PjSI_PS9_EEDaS16_S17_SN_SS_EUlS16_E_NS1_11comp_targetILNS1_3genE0ELNS1_11target_archE4294967295ELNS1_3gpuE0ELNS1_3repE0EEENS1_47radix_sort_onesweep_sort_config_static_selectorELNS0_4arch9wavefront6targetE0EEEvSN_.kd
    .uniform_work_group_size: 1
    .uses_dynamic_stack: false
    .vgpr_count:     0
    .vgpr_spill_count: 0
    .wavefront_size: 32
    .workgroup_processor_mode: 1
  - .args:
      - .offset:         0
        .size:           88
        .value_kind:     by_value
    .group_segment_fixed_size: 0
    .kernarg_segment_align: 8
    .kernarg_segment_size: 88
    .language:       OpenCL C
    .language_version:
      - 2
      - 0
    .max_flat_workgroup_size: 1024
    .name:           _ZN7rocprim17ROCPRIM_400000_NS6detail17trampoline_kernelINS0_14default_configENS1_35radix_sort_onesweep_config_selectorIjN6thrust23THRUST_200600_302600_NS5tupleIffNS6_9null_typeES8_S8_S8_S8_S8_S8_S8_EEEEZZNS1_29radix_sort_onesweep_iterationIS3_Lb0ENS6_6detail15normal_iteratorINS6_10device_ptrIjEEEESG_NSD_INSE_IS9_EEEESI_jNS0_19identity_decomposerENS1_16block_id_wrapperIjLb1EEEEE10hipError_tT1_PNSt15iterator_traitsISN_E10value_typeET2_T3_PNSO_IST_E10value_typeET4_T5_PSY_SZ_PNS1_23onesweep_lookback_stateEbbT6_jjT7_P12ihipStream_tbENKUlT_T0_SN_SS_E_clISG_PjSI_PS9_EEDaS16_S17_SN_SS_EUlS16_E_NS1_11comp_targetILNS1_3genE6ELNS1_11target_archE950ELNS1_3gpuE13ELNS1_3repE0EEENS1_47radix_sort_onesweep_sort_config_static_selectorELNS0_4arch9wavefront6targetE0EEEvSN_
    .private_segment_fixed_size: 0
    .sgpr_count:     0
    .sgpr_spill_count: 0
    .symbol:         _ZN7rocprim17ROCPRIM_400000_NS6detail17trampoline_kernelINS0_14default_configENS1_35radix_sort_onesweep_config_selectorIjN6thrust23THRUST_200600_302600_NS5tupleIffNS6_9null_typeES8_S8_S8_S8_S8_S8_S8_EEEEZZNS1_29radix_sort_onesweep_iterationIS3_Lb0ENS6_6detail15normal_iteratorINS6_10device_ptrIjEEEESG_NSD_INSE_IS9_EEEESI_jNS0_19identity_decomposerENS1_16block_id_wrapperIjLb1EEEEE10hipError_tT1_PNSt15iterator_traitsISN_E10value_typeET2_T3_PNSO_IST_E10value_typeET4_T5_PSY_SZ_PNS1_23onesweep_lookback_stateEbbT6_jjT7_P12ihipStream_tbENKUlT_T0_SN_SS_E_clISG_PjSI_PS9_EEDaS16_S17_SN_SS_EUlS16_E_NS1_11comp_targetILNS1_3genE6ELNS1_11target_archE950ELNS1_3gpuE13ELNS1_3repE0EEENS1_47radix_sort_onesweep_sort_config_static_selectorELNS0_4arch9wavefront6targetE0EEEvSN_.kd
    .uniform_work_group_size: 1
    .uses_dynamic_stack: false
    .vgpr_count:     0
    .vgpr_spill_count: 0
    .wavefront_size: 32
    .workgroup_processor_mode: 1
  - .args:
      - .offset:         0
        .size:           88
        .value_kind:     by_value
    .group_segment_fixed_size: 0
    .kernarg_segment_align: 8
    .kernarg_segment_size: 88
    .language:       OpenCL C
    .language_version:
      - 2
      - 0
    .max_flat_workgroup_size: 1024
    .name:           _ZN7rocprim17ROCPRIM_400000_NS6detail17trampoline_kernelINS0_14default_configENS1_35radix_sort_onesweep_config_selectorIjN6thrust23THRUST_200600_302600_NS5tupleIffNS6_9null_typeES8_S8_S8_S8_S8_S8_S8_EEEEZZNS1_29radix_sort_onesweep_iterationIS3_Lb0ENS6_6detail15normal_iteratorINS6_10device_ptrIjEEEESG_NSD_INSE_IS9_EEEESI_jNS0_19identity_decomposerENS1_16block_id_wrapperIjLb1EEEEE10hipError_tT1_PNSt15iterator_traitsISN_E10value_typeET2_T3_PNSO_IST_E10value_typeET4_T5_PSY_SZ_PNS1_23onesweep_lookback_stateEbbT6_jjT7_P12ihipStream_tbENKUlT_T0_SN_SS_E_clISG_PjSI_PS9_EEDaS16_S17_SN_SS_EUlS16_E_NS1_11comp_targetILNS1_3genE5ELNS1_11target_archE942ELNS1_3gpuE9ELNS1_3repE0EEENS1_47radix_sort_onesweep_sort_config_static_selectorELNS0_4arch9wavefront6targetE0EEEvSN_
    .private_segment_fixed_size: 0
    .sgpr_count:     0
    .sgpr_spill_count: 0
    .symbol:         _ZN7rocprim17ROCPRIM_400000_NS6detail17trampoline_kernelINS0_14default_configENS1_35radix_sort_onesweep_config_selectorIjN6thrust23THRUST_200600_302600_NS5tupleIffNS6_9null_typeES8_S8_S8_S8_S8_S8_S8_EEEEZZNS1_29radix_sort_onesweep_iterationIS3_Lb0ENS6_6detail15normal_iteratorINS6_10device_ptrIjEEEESG_NSD_INSE_IS9_EEEESI_jNS0_19identity_decomposerENS1_16block_id_wrapperIjLb1EEEEE10hipError_tT1_PNSt15iterator_traitsISN_E10value_typeET2_T3_PNSO_IST_E10value_typeET4_T5_PSY_SZ_PNS1_23onesweep_lookback_stateEbbT6_jjT7_P12ihipStream_tbENKUlT_T0_SN_SS_E_clISG_PjSI_PS9_EEDaS16_S17_SN_SS_EUlS16_E_NS1_11comp_targetILNS1_3genE5ELNS1_11target_archE942ELNS1_3gpuE9ELNS1_3repE0EEENS1_47radix_sort_onesweep_sort_config_static_selectorELNS0_4arch9wavefront6targetE0EEEvSN_.kd
    .uniform_work_group_size: 1
    .uses_dynamic_stack: false
    .vgpr_count:     0
    .vgpr_spill_count: 0
    .wavefront_size: 32
    .workgroup_processor_mode: 1
  - .args:
      - .offset:         0
        .size:           88
        .value_kind:     by_value
    .group_segment_fixed_size: 0
    .kernarg_segment_align: 8
    .kernarg_segment_size: 88
    .language:       OpenCL C
    .language_version:
      - 2
      - 0
    .max_flat_workgroup_size: 512
    .name:           _ZN7rocprim17ROCPRIM_400000_NS6detail17trampoline_kernelINS0_14default_configENS1_35radix_sort_onesweep_config_selectorIjN6thrust23THRUST_200600_302600_NS5tupleIffNS6_9null_typeES8_S8_S8_S8_S8_S8_S8_EEEEZZNS1_29radix_sort_onesweep_iterationIS3_Lb0ENS6_6detail15normal_iteratorINS6_10device_ptrIjEEEESG_NSD_INSE_IS9_EEEESI_jNS0_19identity_decomposerENS1_16block_id_wrapperIjLb1EEEEE10hipError_tT1_PNSt15iterator_traitsISN_E10value_typeET2_T3_PNSO_IST_E10value_typeET4_T5_PSY_SZ_PNS1_23onesweep_lookback_stateEbbT6_jjT7_P12ihipStream_tbENKUlT_T0_SN_SS_E_clISG_PjSI_PS9_EEDaS16_S17_SN_SS_EUlS16_E_NS1_11comp_targetILNS1_3genE2ELNS1_11target_archE906ELNS1_3gpuE6ELNS1_3repE0EEENS1_47radix_sort_onesweep_sort_config_static_selectorELNS0_4arch9wavefront6targetE0EEEvSN_
    .private_segment_fixed_size: 0
    .sgpr_count:     0
    .sgpr_spill_count: 0
    .symbol:         _ZN7rocprim17ROCPRIM_400000_NS6detail17trampoline_kernelINS0_14default_configENS1_35radix_sort_onesweep_config_selectorIjN6thrust23THRUST_200600_302600_NS5tupleIffNS6_9null_typeES8_S8_S8_S8_S8_S8_S8_EEEEZZNS1_29radix_sort_onesweep_iterationIS3_Lb0ENS6_6detail15normal_iteratorINS6_10device_ptrIjEEEESG_NSD_INSE_IS9_EEEESI_jNS0_19identity_decomposerENS1_16block_id_wrapperIjLb1EEEEE10hipError_tT1_PNSt15iterator_traitsISN_E10value_typeET2_T3_PNSO_IST_E10value_typeET4_T5_PSY_SZ_PNS1_23onesweep_lookback_stateEbbT6_jjT7_P12ihipStream_tbENKUlT_T0_SN_SS_E_clISG_PjSI_PS9_EEDaS16_S17_SN_SS_EUlS16_E_NS1_11comp_targetILNS1_3genE2ELNS1_11target_archE906ELNS1_3gpuE6ELNS1_3repE0EEENS1_47radix_sort_onesweep_sort_config_static_selectorELNS0_4arch9wavefront6targetE0EEEvSN_.kd
    .uniform_work_group_size: 1
    .uses_dynamic_stack: false
    .vgpr_count:     0
    .vgpr_spill_count: 0
    .wavefront_size: 32
    .workgroup_processor_mode: 1
  - .args:
      - .offset:         0
        .size:           88
        .value_kind:     by_value
    .group_segment_fixed_size: 0
    .kernarg_segment_align: 8
    .kernarg_segment_size: 88
    .language:       OpenCL C
    .language_version:
      - 2
      - 0
    .max_flat_workgroup_size: 512
    .name:           _ZN7rocprim17ROCPRIM_400000_NS6detail17trampoline_kernelINS0_14default_configENS1_35radix_sort_onesweep_config_selectorIjN6thrust23THRUST_200600_302600_NS5tupleIffNS6_9null_typeES8_S8_S8_S8_S8_S8_S8_EEEEZZNS1_29radix_sort_onesweep_iterationIS3_Lb0ENS6_6detail15normal_iteratorINS6_10device_ptrIjEEEESG_NSD_INSE_IS9_EEEESI_jNS0_19identity_decomposerENS1_16block_id_wrapperIjLb1EEEEE10hipError_tT1_PNSt15iterator_traitsISN_E10value_typeET2_T3_PNSO_IST_E10value_typeET4_T5_PSY_SZ_PNS1_23onesweep_lookback_stateEbbT6_jjT7_P12ihipStream_tbENKUlT_T0_SN_SS_E_clISG_PjSI_PS9_EEDaS16_S17_SN_SS_EUlS16_E_NS1_11comp_targetILNS1_3genE4ELNS1_11target_archE910ELNS1_3gpuE8ELNS1_3repE0EEENS1_47radix_sort_onesweep_sort_config_static_selectorELNS0_4arch9wavefront6targetE0EEEvSN_
    .private_segment_fixed_size: 0
    .sgpr_count:     0
    .sgpr_spill_count: 0
    .symbol:         _ZN7rocprim17ROCPRIM_400000_NS6detail17trampoline_kernelINS0_14default_configENS1_35radix_sort_onesweep_config_selectorIjN6thrust23THRUST_200600_302600_NS5tupleIffNS6_9null_typeES8_S8_S8_S8_S8_S8_S8_EEEEZZNS1_29radix_sort_onesweep_iterationIS3_Lb0ENS6_6detail15normal_iteratorINS6_10device_ptrIjEEEESG_NSD_INSE_IS9_EEEESI_jNS0_19identity_decomposerENS1_16block_id_wrapperIjLb1EEEEE10hipError_tT1_PNSt15iterator_traitsISN_E10value_typeET2_T3_PNSO_IST_E10value_typeET4_T5_PSY_SZ_PNS1_23onesweep_lookback_stateEbbT6_jjT7_P12ihipStream_tbENKUlT_T0_SN_SS_E_clISG_PjSI_PS9_EEDaS16_S17_SN_SS_EUlS16_E_NS1_11comp_targetILNS1_3genE4ELNS1_11target_archE910ELNS1_3gpuE8ELNS1_3repE0EEENS1_47radix_sort_onesweep_sort_config_static_selectorELNS0_4arch9wavefront6targetE0EEEvSN_.kd
    .uniform_work_group_size: 1
    .uses_dynamic_stack: false
    .vgpr_count:     0
    .vgpr_spill_count: 0
    .wavefront_size: 32
    .workgroup_processor_mode: 1
  - .args:
      - .offset:         0
        .size:           88
        .value_kind:     by_value
    .group_segment_fixed_size: 0
    .kernarg_segment_align: 8
    .kernarg_segment_size: 88
    .language:       OpenCL C
    .language_version:
      - 2
      - 0
    .max_flat_workgroup_size: 512
    .name:           _ZN7rocprim17ROCPRIM_400000_NS6detail17trampoline_kernelINS0_14default_configENS1_35radix_sort_onesweep_config_selectorIjN6thrust23THRUST_200600_302600_NS5tupleIffNS6_9null_typeES8_S8_S8_S8_S8_S8_S8_EEEEZZNS1_29radix_sort_onesweep_iterationIS3_Lb0ENS6_6detail15normal_iteratorINS6_10device_ptrIjEEEESG_NSD_INSE_IS9_EEEESI_jNS0_19identity_decomposerENS1_16block_id_wrapperIjLb1EEEEE10hipError_tT1_PNSt15iterator_traitsISN_E10value_typeET2_T3_PNSO_IST_E10value_typeET4_T5_PSY_SZ_PNS1_23onesweep_lookback_stateEbbT6_jjT7_P12ihipStream_tbENKUlT_T0_SN_SS_E_clISG_PjSI_PS9_EEDaS16_S17_SN_SS_EUlS16_E_NS1_11comp_targetILNS1_3genE3ELNS1_11target_archE908ELNS1_3gpuE7ELNS1_3repE0EEENS1_47radix_sort_onesweep_sort_config_static_selectorELNS0_4arch9wavefront6targetE0EEEvSN_
    .private_segment_fixed_size: 0
    .sgpr_count:     0
    .sgpr_spill_count: 0
    .symbol:         _ZN7rocprim17ROCPRIM_400000_NS6detail17trampoline_kernelINS0_14default_configENS1_35radix_sort_onesweep_config_selectorIjN6thrust23THRUST_200600_302600_NS5tupleIffNS6_9null_typeES8_S8_S8_S8_S8_S8_S8_EEEEZZNS1_29radix_sort_onesweep_iterationIS3_Lb0ENS6_6detail15normal_iteratorINS6_10device_ptrIjEEEESG_NSD_INSE_IS9_EEEESI_jNS0_19identity_decomposerENS1_16block_id_wrapperIjLb1EEEEE10hipError_tT1_PNSt15iterator_traitsISN_E10value_typeET2_T3_PNSO_IST_E10value_typeET4_T5_PSY_SZ_PNS1_23onesweep_lookback_stateEbbT6_jjT7_P12ihipStream_tbENKUlT_T0_SN_SS_E_clISG_PjSI_PS9_EEDaS16_S17_SN_SS_EUlS16_E_NS1_11comp_targetILNS1_3genE3ELNS1_11target_archE908ELNS1_3gpuE7ELNS1_3repE0EEENS1_47radix_sort_onesweep_sort_config_static_selectorELNS0_4arch9wavefront6targetE0EEEvSN_.kd
    .uniform_work_group_size: 1
    .uses_dynamic_stack: false
    .vgpr_count:     0
    .vgpr_spill_count: 0
    .wavefront_size: 32
    .workgroup_processor_mode: 1
  - .args:
      - .offset:         0
        .size:           88
        .value_kind:     by_value
    .group_segment_fixed_size: 0
    .kernarg_segment_align: 8
    .kernarg_segment_size: 88
    .language:       OpenCL C
    .language_version:
      - 2
      - 0
    .max_flat_workgroup_size: 1024
    .name:           _ZN7rocprim17ROCPRIM_400000_NS6detail17trampoline_kernelINS0_14default_configENS1_35radix_sort_onesweep_config_selectorIjN6thrust23THRUST_200600_302600_NS5tupleIffNS6_9null_typeES8_S8_S8_S8_S8_S8_S8_EEEEZZNS1_29radix_sort_onesweep_iterationIS3_Lb0ENS6_6detail15normal_iteratorINS6_10device_ptrIjEEEESG_NSD_INSE_IS9_EEEESI_jNS0_19identity_decomposerENS1_16block_id_wrapperIjLb1EEEEE10hipError_tT1_PNSt15iterator_traitsISN_E10value_typeET2_T3_PNSO_IST_E10value_typeET4_T5_PSY_SZ_PNS1_23onesweep_lookback_stateEbbT6_jjT7_P12ihipStream_tbENKUlT_T0_SN_SS_E_clISG_PjSI_PS9_EEDaS16_S17_SN_SS_EUlS16_E_NS1_11comp_targetILNS1_3genE10ELNS1_11target_archE1201ELNS1_3gpuE5ELNS1_3repE0EEENS1_47radix_sort_onesweep_sort_config_static_selectorELNS0_4arch9wavefront6targetE0EEEvSN_
    .private_segment_fixed_size: 0
    .sgpr_count:     0
    .sgpr_spill_count: 0
    .symbol:         _ZN7rocprim17ROCPRIM_400000_NS6detail17trampoline_kernelINS0_14default_configENS1_35radix_sort_onesweep_config_selectorIjN6thrust23THRUST_200600_302600_NS5tupleIffNS6_9null_typeES8_S8_S8_S8_S8_S8_S8_EEEEZZNS1_29radix_sort_onesweep_iterationIS3_Lb0ENS6_6detail15normal_iteratorINS6_10device_ptrIjEEEESG_NSD_INSE_IS9_EEEESI_jNS0_19identity_decomposerENS1_16block_id_wrapperIjLb1EEEEE10hipError_tT1_PNSt15iterator_traitsISN_E10value_typeET2_T3_PNSO_IST_E10value_typeET4_T5_PSY_SZ_PNS1_23onesweep_lookback_stateEbbT6_jjT7_P12ihipStream_tbENKUlT_T0_SN_SS_E_clISG_PjSI_PS9_EEDaS16_S17_SN_SS_EUlS16_E_NS1_11comp_targetILNS1_3genE10ELNS1_11target_archE1201ELNS1_3gpuE5ELNS1_3repE0EEENS1_47radix_sort_onesweep_sort_config_static_selectorELNS0_4arch9wavefront6targetE0EEEvSN_.kd
    .uniform_work_group_size: 1
    .uses_dynamic_stack: false
    .vgpr_count:     0
    .vgpr_spill_count: 0
    .wavefront_size: 32
    .workgroup_processor_mode: 1
  - .args:
      - .offset:         0
        .size:           88
        .value_kind:     by_value
    .group_segment_fixed_size: 0
    .kernarg_segment_align: 8
    .kernarg_segment_size: 88
    .language:       OpenCL C
    .language_version:
      - 2
      - 0
    .max_flat_workgroup_size: 1024
    .name:           _ZN7rocprim17ROCPRIM_400000_NS6detail17trampoline_kernelINS0_14default_configENS1_35radix_sort_onesweep_config_selectorIjN6thrust23THRUST_200600_302600_NS5tupleIffNS6_9null_typeES8_S8_S8_S8_S8_S8_S8_EEEEZZNS1_29radix_sort_onesweep_iterationIS3_Lb0ENS6_6detail15normal_iteratorINS6_10device_ptrIjEEEESG_NSD_INSE_IS9_EEEESI_jNS0_19identity_decomposerENS1_16block_id_wrapperIjLb1EEEEE10hipError_tT1_PNSt15iterator_traitsISN_E10value_typeET2_T3_PNSO_IST_E10value_typeET4_T5_PSY_SZ_PNS1_23onesweep_lookback_stateEbbT6_jjT7_P12ihipStream_tbENKUlT_T0_SN_SS_E_clISG_PjSI_PS9_EEDaS16_S17_SN_SS_EUlS16_E_NS1_11comp_targetILNS1_3genE9ELNS1_11target_archE1100ELNS1_3gpuE3ELNS1_3repE0EEENS1_47radix_sort_onesweep_sort_config_static_selectorELNS0_4arch9wavefront6targetE0EEEvSN_
    .private_segment_fixed_size: 0
    .sgpr_count:     0
    .sgpr_spill_count: 0
    .symbol:         _ZN7rocprim17ROCPRIM_400000_NS6detail17trampoline_kernelINS0_14default_configENS1_35radix_sort_onesweep_config_selectorIjN6thrust23THRUST_200600_302600_NS5tupleIffNS6_9null_typeES8_S8_S8_S8_S8_S8_S8_EEEEZZNS1_29radix_sort_onesweep_iterationIS3_Lb0ENS6_6detail15normal_iteratorINS6_10device_ptrIjEEEESG_NSD_INSE_IS9_EEEESI_jNS0_19identity_decomposerENS1_16block_id_wrapperIjLb1EEEEE10hipError_tT1_PNSt15iterator_traitsISN_E10value_typeET2_T3_PNSO_IST_E10value_typeET4_T5_PSY_SZ_PNS1_23onesweep_lookback_stateEbbT6_jjT7_P12ihipStream_tbENKUlT_T0_SN_SS_E_clISG_PjSI_PS9_EEDaS16_S17_SN_SS_EUlS16_E_NS1_11comp_targetILNS1_3genE9ELNS1_11target_archE1100ELNS1_3gpuE3ELNS1_3repE0EEENS1_47radix_sort_onesweep_sort_config_static_selectorELNS0_4arch9wavefront6targetE0EEEvSN_.kd
    .uniform_work_group_size: 1
    .uses_dynamic_stack: false
    .vgpr_count:     0
    .vgpr_spill_count: 0
    .wavefront_size: 32
    .workgroup_processor_mode: 1
  - .args:
      - .offset:         0
        .size:           88
        .value_kind:     by_value
      - .offset:         88
        .size:           4
        .value_kind:     hidden_block_count_x
      - .offset:         92
        .size:           4
        .value_kind:     hidden_block_count_y
      - .offset:         96
        .size:           4
        .value_kind:     hidden_block_count_z
      - .offset:         100
        .size:           2
        .value_kind:     hidden_group_size_x
      - .offset:         102
        .size:           2
        .value_kind:     hidden_group_size_y
      - .offset:         104
        .size:           2
        .value_kind:     hidden_group_size_z
      - .offset:         106
        .size:           2
        .value_kind:     hidden_remainder_x
      - .offset:         108
        .size:           2
        .value_kind:     hidden_remainder_y
      - .offset:         110
        .size:           2
        .value_kind:     hidden_remainder_z
      - .offset:         128
        .size:           8
        .value_kind:     hidden_global_offset_x
      - .offset:         136
        .size:           8
        .value_kind:     hidden_global_offset_y
      - .offset:         144
        .size:           8
        .value_kind:     hidden_global_offset_z
      - .offset:         152
        .size:           2
        .value_kind:     hidden_grid_dims
    .group_segment_fixed_size: 37000
    .kernarg_segment_align: 8
    .kernarg_segment_size: 344
    .language:       OpenCL C
    .language_version:
      - 2
      - 0
    .max_flat_workgroup_size: 1024
    .name:           _ZN7rocprim17ROCPRIM_400000_NS6detail17trampoline_kernelINS0_14default_configENS1_35radix_sort_onesweep_config_selectorIjN6thrust23THRUST_200600_302600_NS5tupleIffNS6_9null_typeES8_S8_S8_S8_S8_S8_S8_EEEEZZNS1_29radix_sort_onesweep_iterationIS3_Lb0ENS6_6detail15normal_iteratorINS6_10device_ptrIjEEEESG_NSD_INSE_IS9_EEEESI_jNS0_19identity_decomposerENS1_16block_id_wrapperIjLb1EEEEE10hipError_tT1_PNSt15iterator_traitsISN_E10value_typeET2_T3_PNSO_IST_E10value_typeET4_T5_PSY_SZ_PNS1_23onesweep_lookback_stateEbbT6_jjT7_P12ihipStream_tbENKUlT_T0_SN_SS_E_clISG_PjSI_PS9_EEDaS16_S17_SN_SS_EUlS16_E_NS1_11comp_targetILNS1_3genE8ELNS1_11target_archE1030ELNS1_3gpuE2ELNS1_3repE0EEENS1_47radix_sort_onesweep_sort_config_static_selectorELNS0_4arch9wavefront6targetE0EEEvSN_
    .private_segment_fixed_size: 0
    .sgpr_count:     40
    .sgpr_spill_count: 0
    .symbol:         _ZN7rocprim17ROCPRIM_400000_NS6detail17trampoline_kernelINS0_14default_configENS1_35radix_sort_onesweep_config_selectorIjN6thrust23THRUST_200600_302600_NS5tupleIffNS6_9null_typeES8_S8_S8_S8_S8_S8_S8_EEEEZZNS1_29radix_sort_onesweep_iterationIS3_Lb0ENS6_6detail15normal_iteratorINS6_10device_ptrIjEEEESG_NSD_INSE_IS9_EEEESI_jNS0_19identity_decomposerENS1_16block_id_wrapperIjLb1EEEEE10hipError_tT1_PNSt15iterator_traitsISN_E10value_typeET2_T3_PNSO_IST_E10value_typeET4_T5_PSY_SZ_PNS1_23onesweep_lookback_stateEbbT6_jjT7_P12ihipStream_tbENKUlT_T0_SN_SS_E_clISG_PjSI_PS9_EEDaS16_S17_SN_SS_EUlS16_E_NS1_11comp_targetILNS1_3genE8ELNS1_11target_archE1030ELNS1_3gpuE2ELNS1_3repE0EEENS1_47radix_sort_onesweep_sort_config_static_selectorELNS0_4arch9wavefront6targetE0EEEvSN_.kd
    .uniform_work_group_size: 1
    .uses_dynamic_stack: false
    .vgpr_count:     35
    .vgpr_spill_count: 0
    .wavefront_size: 32
    .workgroup_processor_mode: 1
  - .args:
      - .offset:         0
        .size:           88
        .value_kind:     by_value
    .group_segment_fixed_size: 0
    .kernarg_segment_align: 8
    .kernarg_segment_size: 88
    .language:       OpenCL C
    .language_version:
      - 2
      - 0
    .max_flat_workgroup_size: 512
    .name:           _ZN7rocprim17ROCPRIM_400000_NS6detail17trampoline_kernelINS0_14default_configENS1_35radix_sort_onesweep_config_selectorIjN6thrust23THRUST_200600_302600_NS5tupleIffNS6_9null_typeES8_S8_S8_S8_S8_S8_S8_EEEEZZNS1_29radix_sort_onesweep_iterationIS3_Lb0ENS6_6detail15normal_iteratorINS6_10device_ptrIjEEEESG_NSD_INSE_IS9_EEEESI_jNS0_19identity_decomposerENS1_16block_id_wrapperIjLb1EEEEE10hipError_tT1_PNSt15iterator_traitsISN_E10value_typeET2_T3_PNSO_IST_E10value_typeET4_T5_PSY_SZ_PNS1_23onesweep_lookback_stateEbbT6_jjT7_P12ihipStream_tbENKUlT_T0_SN_SS_E_clIPjSG_PS9_SI_EEDaS16_S17_SN_SS_EUlS16_E_NS1_11comp_targetILNS1_3genE0ELNS1_11target_archE4294967295ELNS1_3gpuE0ELNS1_3repE0EEENS1_47radix_sort_onesweep_sort_config_static_selectorELNS0_4arch9wavefront6targetE0EEEvSN_
    .private_segment_fixed_size: 0
    .sgpr_count:     0
    .sgpr_spill_count: 0
    .symbol:         _ZN7rocprim17ROCPRIM_400000_NS6detail17trampoline_kernelINS0_14default_configENS1_35radix_sort_onesweep_config_selectorIjN6thrust23THRUST_200600_302600_NS5tupleIffNS6_9null_typeES8_S8_S8_S8_S8_S8_S8_EEEEZZNS1_29radix_sort_onesweep_iterationIS3_Lb0ENS6_6detail15normal_iteratorINS6_10device_ptrIjEEEESG_NSD_INSE_IS9_EEEESI_jNS0_19identity_decomposerENS1_16block_id_wrapperIjLb1EEEEE10hipError_tT1_PNSt15iterator_traitsISN_E10value_typeET2_T3_PNSO_IST_E10value_typeET4_T5_PSY_SZ_PNS1_23onesweep_lookback_stateEbbT6_jjT7_P12ihipStream_tbENKUlT_T0_SN_SS_E_clIPjSG_PS9_SI_EEDaS16_S17_SN_SS_EUlS16_E_NS1_11comp_targetILNS1_3genE0ELNS1_11target_archE4294967295ELNS1_3gpuE0ELNS1_3repE0EEENS1_47radix_sort_onesweep_sort_config_static_selectorELNS0_4arch9wavefront6targetE0EEEvSN_.kd
    .uniform_work_group_size: 1
    .uses_dynamic_stack: false
    .vgpr_count:     0
    .vgpr_spill_count: 0
    .wavefront_size: 32
    .workgroup_processor_mode: 1
  - .args:
      - .offset:         0
        .size:           88
        .value_kind:     by_value
    .group_segment_fixed_size: 0
    .kernarg_segment_align: 8
    .kernarg_segment_size: 88
    .language:       OpenCL C
    .language_version:
      - 2
      - 0
    .max_flat_workgroup_size: 1024
    .name:           _ZN7rocprim17ROCPRIM_400000_NS6detail17trampoline_kernelINS0_14default_configENS1_35radix_sort_onesweep_config_selectorIjN6thrust23THRUST_200600_302600_NS5tupleIffNS6_9null_typeES8_S8_S8_S8_S8_S8_S8_EEEEZZNS1_29radix_sort_onesweep_iterationIS3_Lb0ENS6_6detail15normal_iteratorINS6_10device_ptrIjEEEESG_NSD_INSE_IS9_EEEESI_jNS0_19identity_decomposerENS1_16block_id_wrapperIjLb1EEEEE10hipError_tT1_PNSt15iterator_traitsISN_E10value_typeET2_T3_PNSO_IST_E10value_typeET4_T5_PSY_SZ_PNS1_23onesweep_lookback_stateEbbT6_jjT7_P12ihipStream_tbENKUlT_T0_SN_SS_E_clIPjSG_PS9_SI_EEDaS16_S17_SN_SS_EUlS16_E_NS1_11comp_targetILNS1_3genE6ELNS1_11target_archE950ELNS1_3gpuE13ELNS1_3repE0EEENS1_47radix_sort_onesweep_sort_config_static_selectorELNS0_4arch9wavefront6targetE0EEEvSN_
    .private_segment_fixed_size: 0
    .sgpr_count:     0
    .sgpr_spill_count: 0
    .symbol:         _ZN7rocprim17ROCPRIM_400000_NS6detail17trampoline_kernelINS0_14default_configENS1_35radix_sort_onesweep_config_selectorIjN6thrust23THRUST_200600_302600_NS5tupleIffNS6_9null_typeES8_S8_S8_S8_S8_S8_S8_EEEEZZNS1_29radix_sort_onesweep_iterationIS3_Lb0ENS6_6detail15normal_iteratorINS6_10device_ptrIjEEEESG_NSD_INSE_IS9_EEEESI_jNS0_19identity_decomposerENS1_16block_id_wrapperIjLb1EEEEE10hipError_tT1_PNSt15iterator_traitsISN_E10value_typeET2_T3_PNSO_IST_E10value_typeET4_T5_PSY_SZ_PNS1_23onesweep_lookback_stateEbbT6_jjT7_P12ihipStream_tbENKUlT_T0_SN_SS_E_clIPjSG_PS9_SI_EEDaS16_S17_SN_SS_EUlS16_E_NS1_11comp_targetILNS1_3genE6ELNS1_11target_archE950ELNS1_3gpuE13ELNS1_3repE0EEENS1_47radix_sort_onesweep_sort_config_static_selectorELNS0_4arch9wavefront6targetE0EEEvSN_.kd
    .uniform_work_group_size: 1
    .uses_dynamic_stack: false
    .vgpr_count:     0
    .vgpr_spill_count: 0
    .wavefront_size: 32
    .workgroup_processor_mode: 1
  - .args:
      - .offset:         0
        .size:           88
        .value_kind:     by_value
    .group_segment_fixed_size: 0
    .kernarg_segment_align: 8
    .kernarg_segment_size: 88
    .language:       OpenCL C
    .language_version:
      - 2
      - 0
    .max_flat_workgroup_size: 1024
    .name:           _ZN7rocprim17ROCPRIM_400000_NS6detail17trampoline_kernelINS0_14default_configENS1_35radix_sort_onesweep_config_selectorIjN6thrust23THRUST_200600_302600_NS5tupleIffNS6_9null_typeES8_S8_S8_S8_S8_S8_S8_EEEEZZNS1_29radix_sort_onesweep_iterationIS3_Lb0ENS6_6detail15normal_iteratorINS6_10device_ptrIjEEEESG_NSD_INSE_IS9_EEEESI_jNS0_19identity_decomposerENS1_16block_id_wrapperIjLb1EEEEE10hipError_tT1_PNSt15iterator_traitsISN_E10value_typeET2_T3_PNSO_IST_E10value_typeET4_T5_PSY_SZ_PNS1_23onesweep_lookback_stateEbbT6_jjT7_P12ihipStream_tbENKUlT_T0_SN_SS_E_clIPjSG_PS9_SI_EEDaS16_S17_SN_SS_EUlS16_E_NS1_11comp_targetILNS1_3genE5ELNS1_11target_archE942ELNS1_3gpuE9ELNS1_3repE0EEENS1_47radix_sort_onesweep_sort_config_static_selectorELNS0_4arch9wavefront6targetE0EEEvSN_
    .private_segment_fixed_size: 0
    .sgpr_count:     0
    .sgpr_spill_count: 0
    .symbol:         _ZN7rocprim17ROCPRIM_400000_NS6detail17trampoline_kernelINS0_14default_configENS1_35radix_sort_onesweep_config_selectorIjN6thrust23THRUST_200600_302600_NS5tupleIffNS6_9null_typeES8_S8_S8_S8_S8_S8_S8_EEEEZZNS1_29radix_sort_onesweep_iterationIS3_Lb0ENS6_6detail15normal_iteratorINS6_10device_ptrIjEEEESG_NSD_INSE_IS9_EEEESI_jNS0_19identity_decomposerENS1_16block_id_wrapperIjLb1EEEEE10hipError_tT1_PNSt15iterator_traitsISN_E10value_typeET2_T3_PNSO_IST_E10value_typeET4_T5_PSY_SZ_PNS1_23onesweep_lookback_stateEbbT6_jjT7_P12ihipStream_tbENKUlT_T0_SN_SS_E_clIPjSG_PS9_SI_EEDaS16_S17_SN_SS_EUlS16_E_NS1_11comp_targetILNS1_3genE5ELNS1_11target_archE942ELNS1_3gpuE9ELNS1_3repE0EEENS1_47radix_sort_onesweep_sort_config_static_selectorELNS0_4arch9wavefront6targetE0EEEvSN_.kd
    .uniform_work_group_size: 1
    .uses_dynamic_stack: false
    .vgpr_count:     0
    .vgpr_spill_count: 0
    .wavefront_size: 32
    .workgroup_processor_mode: 1
  - .args:
      - .offset:         0
        .size:           88
        .value_kind:     by_value
    .group_segment_fixed_size: 0
    .kernarg_segment_align: 8
    .kernarg_segment_size: 88
    .language:       OpenCL C
    .language_version:
      - 2
      - 0
    .max_flat_workgroup_size: 512
    .name:           _ZN7rocprim17ROCPRIM_400000_NS6detail17trampoline_kernelINS0_14default_configENS1_35radix_sort_onesweep_config_selectorIjN6thrust23THRUST_200600_302600_NS5tupleIffNS6_9null_typeES8_S8_S8_S8_S8_S8_S8_EEEEZZNS1_29radix_sort_onesweep_iterationIS3_Lb0ENS6_6detail15normal_iteratorINS6_10device_ptrIjEEEESG_NSD_INSE_IS9_EEEESI_jNS0_19identity_decomposerENS1_16block_id_wrapperIjLb1EEEEE10hipError_tT1_PNSt15iterator_traitsISN_E10value_typeET2_T3_PNSO_IST_E10value_typeET4_T5_PSY_SZ_PNS1_23onesweep_lookback_stateEbbT6_jjT7_P12ihipStream_tbENKUlT_T0_SN_SS_E_clIPjSG_PS9_SI_EEDaS16_S17_SN_SS_EUlS16_E_NS1_11comp_targetILNS1_3genE2ELNS1_11target_archE906ELNS1_3gpuE6ELNS1_3repE0EEENS1_47radix_sort_onesweep_sort_config_static_selectorELNS0_4arch9wavefront6targetE0EEEvSN_
    .private_segment_fixed_size: 0
    .sgpr_count:     0
    .sgpr_spill_count: 0
    .symbol:         _ZN7rocprim17ROCPRIM_400000_NS6detail17trampoline_kernelINS0_14default_configENS1_35radix_sort_onesweep_config_selectorIjN6thrust23THRUST_200600_302600_NS5tupleIffNS6_9null_typeES8_S8_S8_S8_S8_S8_S8_EEEEZZNS1_29radix_sort_onesweep_iterationIS3_Lb0ENS6_6detail15normal_iteratorINS6_10device_ptrIjEEEESG_NSD_INSE_IS9_EEEESI_jNS0_19identity_decomposerENS1_16block_id_wrapperIjLb1EEEEE10hipError_tT1_PNSt15iterator_traitsISN_E10value_typeET2_T3_PNSO_IST_E10value_typeET4_T5_PSY_SZ_PNS1_23onesweep_lookback_stateEbbT6_jjT7_P12ihipStream_tbENKUlT_T0_SN_SS_E_clIPjSG_PS9_SI_EEDaS16_S17_SN_SS_EUlS16_E_NS1_11comp_targetILNS1_3genE2ELNS1_11target_archE906ELNS1_3gpuE6ELNS1_3repE0EEENS1_47radix_sort_onesweep_sort_config_static_selectorELNS0_4arch9wavefront6targetE0EEEvSN_.kd
    .uniform_work_group_size: 1
    .uses_dynamic_stack: false
    .vgpr_count:     0
    .vgpr_spill_count: 0
    .wavefront_size: 32
    .workgroup_processor_mode: 1
  - .args:
      - .offset:         0
        .size:           88
        .value_kind:     by_value
    .group_segment_fixed_size: 0
    .kernarg_segment_align: 8
    .kernarg_segment_size: 88
    .language:       OpenCL C
    .language_version:
      - 2
      - 0
    .max_flat_workgroup_size: 512
    .name:           _ZN7rocprim17ROCPRIM_400000_NS6detail17trampoline_kernelINS0_14default_configENS1_35radix_sort_onesweep_config_selectorIjN6thrust23THRUST_200600_302600_NS5tupleIffNS6_9null_typeES8_S8_S8_S8_S8_S8_S8_EEEEZZNS1_29radix_sort_onesweep_iterationIS3_Lb0ENS6_6detail15normal_iteratorINS6_10device_ptrIjEEEESG_NSD_INSE_IS9_EEEESI_jNS0_19identity_decomposerENS1_16block_id_wrapperIjLb1EEEEE10hipError_tT1_PNSt15iterator_traitsISN_E10value_typeET2_T3_PNSO_IST_E10value_typeET4_T5_PSY_SZ_PNS1_23onesweep_lookback_stateEbbT6_jjT7_P12ihipStream_tbENKUlT_T0_SN_SS_E_clIPjSG_PS9_SI_EEDaS16_S17_SN_SS_EUlS16_E_NS1_11comp_targetILNS1_3genE4ELNS1_11target_archE910ELNS1_3gpuE8ELNS1_3repE0EEENS1_47radix_sort_onesweep_sort_config_static_selectorELNS0_4arch9wavefront6targetE0EEEvSN_
    .private_segment_fixed_size: 0
    .sgpr_count:     0
    .sgpr_spill_count: 0
    .symbol:         _ZN7rocprim17ROCPRIM_400000_NS6detail17trampoline_kernelINS0_14default_configENS1_35radix_sort_onesweep_config_selectorIjN6thrust23THRUST_200600_302600_NS5tupleIffNS6_9null_typeES8_S8_S8_S8_S8_S8_S8_EEEEZZNS1_29radix_sort_onesweep_iterationIS3_Lb0ENS6_6detail15normal_iteratorINS6_10device_ptrIjEEEESG_NSD_INSE_IS9_EEEESI_jNS0_19identity_decomposerENS1_16block_id_wrapperIjLb1EEEEE10hipError_tT1_PNSt15iterator_traitsISN_E10value_typeET2_T3_PNSO_IST_E10value_typeET4_T5_PSY_SZ_PNS1_23onesweep_lookback_stateEbbT6_jjT7_P12ihipStream_tbENKUlT_T0_SN_SS_E_clIPjSG_PS9_SI_EEDaS16_S17_SN_SS_EUlS16_E_NS1_11comp_targetILNS1_3genE4ELNS1_11target_archE910ELNS1_3gpuE8ELNS1_3repE0EEENS1_47radix_sort_onesweep_sort_config_static_selectorELNS0_4arch9wavefront6targetE0EEEvSN_.kd
    .uniform_work_group_size: 1
    .uses_dynamic_stack: false
    .vgpr_count:     0
    .vgpr_spill_count: 0
    .wavefront_size: 32
    .workgroup_processor_mode: 1
  - .args:
      - .offset:         0
        .size:           88
        .value_kind:     by_value
    .group_segment_fixed_size: 0
    .kernarg_segment_align: 8
    .kernarg_segment_size: 88
    .language:       OpenCL C
    .language_version:
      - 2
      - 0
    .max_flat_workgroup_size: 512
    .name:           _ZN7rocprim17ROCPRIM_400000_NS6detail17trampoline_kernelINS0_14default_configENS1_35radix_sort_onesweep_config_selectorIjN6thrust23THRUST_200600_302600_NS5tupleIffNS6_9null_typeES8_S8_S8_S8_S8_S8_S8_EEEEZZNS1_29radix_sort_onesweep_iterationIS3_Lb0ENS6_6detail15normal_iteratorINS6_10device_ptrIjEEEESG_NSD_INSE_IS9_EEEESI_jNS0_19identity_decomposerENS1_16block_id_wrapperIjLb1EEEEE10hipError_tT1_PNSt15iterator_traitsISN_E10value_typeET2_T3_PNSO_IST_E10value_typeET4_T5_PSY_SZ_PNS1_23onesweep_lookback_stateEbbT6_jjT7_P12ihipStream_tbENKUlT_T0_SN_SS_E_clIPjSG_PS9_SI_EEDaS16_S17_SN_SS_EUlS16_E_NS1_11comp_targetILNS1_3genE3ELNS1_11target_archE908ELNS1_3gpuE7ELNS1_3repE0EEENS1_47radix_sort_onesweep_sort_config_static_selectorELNS0_4arch9wavefront6targetE0EEEvSN_
    .private_segment_fixed_size: 0
    .sgpr_count:     0
    .sgpr_spill_count: 0
    .symbol:         _ZN7rocprim17ROCPRIM_400000_NS6detail17trampoline_kernelINS0_14default_configENS1_35radix_sort_onesweep_config_selectorIjN6thrust23THRUST_200600_302600_NS5tupleIffNS6_9null_typeES8_S8_S8_S8_S8_S8_S8_EEEEZZNS1_29radix_sort_onesweep_iterationIS3_Lb0ENS6_6detail15normal_iteratorINS6_10device_ptrIjEEEESG_NSD_INSE_IS9_EEEESI_jNS0_19identity_decomposerENS1_16block_id_wrapperIjLb1EEEEE10hipError_tT1_PNSt15iterator_traitsISN_E10value_typeET2_T3_PNSO_IST_E10value_typeET4_T5_PSY_SZ_PNS1_23onesweep_lookback_stateEbbT6_jjT7_P12ihipStream_tbENKUlT_T0_SN_SS_E_clIPjSG_PS9_SI_EEDaS16_S17_SN_SS_EUlS16_E_NS1_11comp_targetILNS1_3genE3ELNS1_11target_archE908ELNS1_3gpuE7ELNS1_3repE0EEENS1_47radix_sort_onesweep_sort_config_static_selectorELNS0_4arch9wavefront6targetE0EEEvSN_.kd
    .uniform_work_group_size: 1
    .uses_dynamic_stack: false
    .vgpr_count:     0
    .vgpr_spill_count: 0
    .wavefront_size: 32
    .workgroup_processor_mode: 1
  - .args:
      - .offset:         0
        .size:           88
        .value_kind:     by_value
    .group_segment_fixed_size: 0
    .kernarg_segment_align: 8
    .kernarg_segment_size: 88
    .language:       OpenCL C
    .language_version:
      - 2
      - 0
    .max_flat_workgroup_size: 1024
    .name:           _ZN7rocprim17ROCPRIM_400000_NS6detail17trampoline_kernelINS0_14default_configENS1_35radix_sort_onesweep_config_selectorIjN6thrust23THRUST_200600_302600_NS5tupleIffNS6_9null_typeES8_S8_S8_S8_S8_S8_S8_EEEEZZNS1_29radix_sort_onesweep_iterationIS3_Lb0ENS6_6detail15normal_iteratorINS6_10device_ptrIjEEEESG_NSD_INSE_IS9_EEEESI_jNS0_19identity_decomposerENS1_16block_id_wrapperIjLb1EEEEE10hipError_tT1_PNSt15iterator_traitsISN_E10value_typeET2_T3_PNSO_IST_E10value_typeET4_T5_PSY_SZ_PNS1_23onesweep_lookback_stateEbbT6_jjT7_P12ihipStream_tbENKUlT_T0_SN_SS_E_clIPjSG_PS9_SI_EEDaS16_S17_SN_SS_EUlS16_E_NS1_11comp_targetILNS1_3genE10ELNS1_11target_archE1201ELNS1_3gpuE5ELNS1_3repE0EEENS1_47radix_sort_onesweep_sort_config_static_selectorELNS0_4arch9wavefront6targetE0EEEvSN_
    .private_segment_fixed_size: 0
    .sgpr_count:     0
    .sgpr_spill_count: 0
    .symbol:         _ZN7rocprim17ROCPRIM_400000_NS6detail17trampoline_kernelINS0_14default_configENS1_35radix_sort_onesweep_config_selectorIjN6thrust23THRUST_200600_302600_NS5tupleIffNS6_9null_typeES8_S8_S8_S8_S8_S8_S8_EEEEZZNS1_29radix_sort_onesweep_iterationIS3_Lb0ENS6_6detail15normal_iteratorINS6_10device_ptrIjEEEESG_NSD_INSE_IS9_EEEESI_jNS0_19identity_decomposerENS1_16block_id_wrapperIjLb1EEEEE10hipError_tT1_PNSt15iterator_traitsISN_E10value_typeET2_T3_PNSO_IST_E10value_typeET4_T5_PSY_SZ_PNS1_23onesweep_lookback_stateEbbT6_jjT7_P12ihipStream_tbENKUlT_T0_SN_SS_E_clIPjSG_PS9_SI_EEDaS16_S17_SN_SS_EUlS16_E_NS1_11comp_targetILNS1_3genE10ELNS1_11target_archE1201ELNS1_3gpuE5ELNS1_3repE0EEENS1_47radix_sort_onesweep_sort_config_static_selectorELNS0_4arch9wavefront6targetE0EEEvSN_.kd
    .uniform_work_group_size: 1
    .uses_dynamic_stack: false
    .vgpr_count:     0
    .vgpr_spill_count: 0
    .wavefront_size: 32
    .workgroup_processor_mode: 1
  - .args:
      - .offset:         0
        .size:           88
        .value_kind:     by_value
    .group_segment_fixed_size: 0
    .kernarg_segment_align: 8
    .kernarg_segment_size: 88
    .language:       OpenCL C
    .language_version:
      - 2
      - 0
    .max_flat_workgroup_size: 1024
    .name:           _ZN7rocprim17ROCPRIM_400000_NS6detail17trampoline_kernelINS0_14default_configENS1_35radix_sort_onesweep_config_selectorIjN6thrust23THRUST_200600_302600_NS5tupleIffNS6_9null_typeES8_S8_S8_S8_S8_S8_S8_EEEEZZNS1_29radix_sort_onesweep_iterationIS3_Lb0ENS6_6detail15normal_iteratorINS6_10device_ptrIjEEEESG_NSD_INSE_IS9_EEEESI_jNS0_19identity_decomposerENS1_16block_id_wrapperIjLb1EEEEE10hipError_tT1_PNSt15iterator_traitsISN_E10value_typeET2_T3_PNSO_IST_E10value_typeET4_T5_PSY_SZ_PNS1_23onesweep_lookback_stateEbbT6_jjT7_P12ihipStream_tbENKUlT_T0_SN_SS_E_clIPjSG_PS9_SI_EEDaS16_S17_SN_SS_EUlS16_E_NS1_11comp_targetILNS1_3genE9ELNS1_11target_archE1100ELNS1_3gpuE3ELNS1_3repE0EEENS1_47radix_sort_onesweep_sort_config_static_selectorELNS0_4arch9wavefront6targetE0EEEvSN_
    .private_segment_fixed_size: 0
    .sgpr_count:     0
    .sgpr_spill_count: 0
    .symbol:         _ZN7rocprim17ROCPRIM_400000_NS6detail17trampoline_kernelINS0_14default_configENS1_35radix_sort_onesweep_config_selectorIjN6thrust23THRUST_200600_302600_NS5tupleIffNS6_9null_typeES8_S8_S8_S8_S8_S8_S8_EEEEZZNS1_29radix_sort_onesweep_iterationIS3_Lb0ENS6_6detail15normal_iteratorINS6_10device_ptrIjEEEESG_NSD_INSE_IS9_EEEESI_jNS0_19identity_decomposerENS1_16block_id_wrapperIjLb1EEEEE10hipError_tT1_PNSt15iterator_traitsISN_E10value_typeET2_T3_PNSO_IST_E10value_typeET4_T5_PSY_SZ_PNS1_23onesweep_lookback_stateEbbT6_jjT7_P12ihipStream_tbENKUlT_T0_SN_SS_E_clIPjSG_PS9_SI_EEDaS16_S17_SN_SS_EUlS16_E_NS1_11comp_targetILNS1_3genE9ELNS1_11target_archE1100ELNS1_3gpuE3ELNS1_3repE0EEENS1_47radix_sort_onesweep_sort_config_static_selectorELNS0_4arch9wavefront6targetE0EEEvSN_.kd
    .uniform_work_group_size: 1
    .uses_dynamic_stack: false
    .vgpr_count:     0
    .vgpr_spill_count: 0
    .wavefront_size: 32
    .workgroup_processor_mode: 1
  - .args:
      - .offset:         0
        .size:           88
        .value_kind:     by_value
      - .offset:         88
        .size:           4
        .value_kind:     hidden_block_count_x
      - .offset:         92
        .size:           4
        .value_kind:     hidden_block_count_y
      - .offset:         96
        .size:           4
        .value_kind:     hidden_block_count_z
      - .offset:         100
        .size:           2
        .value_kind:     hidden_group_size_x
      - .offset:         102
        .size:           2
        .value_kind:     hidden_group_size_y
      - .offset:         104
        .size:           2
        .value_kind:     hidden_group_size_z
      - .offset:         106
        .size:           2
        .value_kind:     hidden_remainder_x
      - .offset:         108
        .size:           2
        .value_kind:     hidden_remainder_y
      - .offset:         110
        .size:           2
        .value_kind:     hidden_remainder_z
      - .offset:         128
        .size:           8
        .value_kind:     hidden_global_offset_x
      - .offset:         136
        .size:           8
        .value_kind:     hidden_global_offset_y
      - .offset:         144
        .size:           8
        .value_kind:     hidden_global_offset_z
      - .offset:         152
        .size:           2
        .value_kind:     hidden_grid_dims
    .group_segment_fixed_size: 37000
    .kernarg_segment_align: 8
    .kernarg_segment_size: 344
    .language:       OpenCL C
    .language_version:
      - 2
      - 0
    .max_flat_workgroup_size: 1024
    .name:           _ZN7rocprim17ROCPRIM_400000_NS6detail17trampoline_kernelINS0_14default_configENS1_35radix_sort_onesweep_config_selectorIjN6thrust23THRUST_200600_302600_NS5tupleIffNS6_9null_typeES8_S8_S8_S8_S8_S8_S8_EEEEZZNS1_29radix_sort_onesweep_iterationIS3_Lb0ENS6_6detail15normal_iteratorINS6_10device_ptrIjEEEESG_NSD_INSE_IS9_EEEESI_jNS0_19identity_decomposerENS1_16block_id_wrapperIjLb1EEEEE10hipError_tT1_PNSt15iterator_traitsISN_E10value_typeET2_T3_PNSO_IST_E10value_typeET4_T5_PSY_SZ_PNS1_23onesweep_lookback_stateEbbT6_jjT7_P12ihipStream_tbENKUlT_T0_SN_SS_E_clIPjSG_PS9_SI_EEDaS16_S17_SN_SS_EUlS16_E_NS1_11comp_targetILNS1_3genE8ELNS1_11target_archE1030ELNS1_3gpuE2ELNS1_3repE0EEENS1_47radix_sort_onesweep_sort_config_static_selectorELNS0_4arch9wavefront6targetE0EEEvSN_
    .private_segment_fixed_size: 0
    .sgpr_count:     40
    .sgpr_spill_count: 0
    .symbol:         _ZN7rocprim17ROCPRIM_400000_NS6detail17trampoline_kernelINS0_14default_configENS1_35radix_sort_onesweep_config_selectorIjN6thrust23THRUST_200600_302600_NS5tupleIffNS6_9null_typeES8_S8_S8_S8_S8_S8_S8_EEEEZZNS1_29radix_sort_onesweep_iterationIS3_Lb0ENS6_6detail15normal_iteratorINS6_10device_ptrIjEEEESG_NSD_INSE_IS9_EEEESI_jNS0_19identity_decomposerENS1_16block_id_wrapperIjLb1EEEEE10hipError_tT1_PNSt15iterator_traitsISN_E10value_typeET2_T3_PNSO_IST_E10value_typeET4_T5_PSY_SZ_PNS1_23onesweep_lookback_stateEbbT6_jjT7_P12ihipStream_tbENKUlT_T0_SN_SS_E_clIPjSG_PS9_SI_EEDaS16_S17_SN_SS_EUlS16_E_NS1_11comp_targetILNS1_3genE8ELNS1_11target_archE1030ELNS1_3gpuE2ELNS1_3repE0EEENS1_47radix_sort_onesweep_sort_config_static_selectorELNS0_4arch9wavefront6targetE0EEEvSN_.kd
    .uniform_work_group_size: 1
    .uses_dynamic_stack: false
    .vgpr_count:     37
    .vgpr_spill_count: 0
    .wavefront_size: 32
    .workgroup_processor_mode: 1
  - .args:
      - .offset:         0
        .size:           88
        .value_kind:     by_value
    .group_segment_fixed_size: 0
    .kernarg_segment_align: 8
    .kernarg_segment_size: 88
    .language:       OpenCL C
    .language_version:
      - 2
      - 0
    .max_flat_workgroup_size: 512
    .name:           _ZN7rocprim17ROCPRIM_400000_NS6detail17trampoline_kernelINS0_14default_configENS1_35radix_sort_onesweep_config_selectorIjN6thrust23THRUST_200600_302600_NS5tupleIffNS6_9null_typeES8_S8_S8_S8_S8_S8_S8_EEEEZZNS1_29radix_sort_onesweep_iterationIS3_Lb0ENS6_6detail15normal_iteratorINS6_10device_ptrIjEEEESG_NSD_INSE_IS9_EEEESI_jNS0_19identity_decomposerENS1_16block_id_wrapperIjLb0EEEEE10hipError_tT1_PNSt15iterator_traitsISN_E10value_typeET2_T3_PNSO_IST_E10value_typeET4_T5_PSY_SZ_PNS1_23onesweep_lookback_stateEbbT6_jjT7_P12ihipStream_tbENKUlT_T0_SN_SS_E_clISG_SG_SI_SI_EEDaS16_S17_SN_SS_EUlS16_E_NS1_11comp_targetILNS1_3genE0ELNS1_11target_archE4294967295ELNS1_3gpuE0ELNS1_3repE0EEENS1_47radix_sort_onesweep_sort_config_static_selectorELNS0_4arch9wavefront6targetE0EEEvSN_
    .private_segment_fixed_size: 0
    .sgpr_count:     0
    .sgpr_spill_count: 0
    .symbol:         _ZN7rocprim17ROCPRIM_400000_NS6detail17trampoline_kernelINS0_14default_configENS1_35radix_sort_onesweep_config_selectorIjN6thrust23THRUST_200600_302600_NS5tupleIffNS6_9null_typeES8_S8_S8_S8_S8_S8_S8_EEEEZZNS1_29radix_sort_onesweep_iterationIS3_Lb0ENS6_6detail15normal_iteratorINS6_10device_ptrIjEEEESG_NSD_INSE_IS9_EEEESI_jNS0_19identity_decomposerENS1_16block_id_wrapperIjLb0EEEEE10hipError_tT1_PNSt15iterator_traitsISN_E10value_typeET2_T3_PNSO_IST_E10value_typeET4_T5_PSY_SZ_PNS1_23onesweep_lookback_stateEbbT6_jjT7_P12ihipStream_tbENKUlT_T0_SN_SS_E_clISG_SG_SI_SI_EEDaS16_S17_SN_SS_EUlS16_E_NS1_11comp_targetILNS1_3genE0ELNS1_11target_archE4294967295ELNS1_3gpuE0ELNS1_3repE0EEENS1_47radix_sort_onesweep_sort_config_static_selectorELNS0_4arch9wavefront6targetE0EEEvSN_.kd
    .uniform_work_group_size: 1
    .uses_dynamic_stack: false
    .vgpr_count:     0
    .vgpr_spill_count: 0
    .wavefront_size: 32
    .workgroup_processor_mode: 1
  - .args:
      - .offset:         0
        .size:           88
        .value_kind:     by_value
    .group_segment_fixed_size: 0
    .kernarg_segment_align: 8
    .kernarg_segment_size: 88
    .language:       OpenCL C
    .language_version:
      - 2
      - 0
    .max_flat_workgroup_size: 1024
    .name:           _ZN7rocprim17ROCPRIM_400000_NS6detail17trampoline_kernelINS0_14default_configENS1_35radix_sort_onesweep_config_selectorIjN6thrust23THRUST_200600_302600_NS5tupleIffNS6_9null_typeES8_S8_S8_S8_S8_S8_S8_EEEEZZNS1_29radix_sort_onesweep_iterationIS3_Lb0ENS6_6detail15normal_iteratorINS6_10device_ptrIjEEEESG_NSD_INSE_IS9_EEEESI_jNS0_19identity_decomposerENS1_16block_id_wrapperIjLb0EEEEE10hipError_tT1_PNSt15iterator_traitsISN_E10value_typeET2_T3_PNSO_IST_E10value_typeET4_T5_PSY_SZ_PNS1_23onesweep_lookback_stateEbbT6_jjT7_P12ihipStream_tbENKUlT_T0_SN_SS_E_clISG_SG_SI_SI_EEDaS16_S17_SN_SS_EUlS16_E_NS1_11comp_targetILNS1_3genE6ELNS1_11target_archE950ELNS1_3gpuE13ELNS1_3repE0EEENS1_47radix_sort_onesweep_sort_config_static_selectorELNS0_4arch9wavefront6targetE0EEEvSN_
    .private_segment_fixed_size: 0
    .sgpr_count:     0
    .sgpr_spill_count: 0
    .symbol:         _ZN7rocprim17ROCPRIM_400000_NS6detail17trampoline_kernelINS0_14default_configENS1_35radix_sort_onesweep_config_selectorIjN6thrust23THRUST_200600_302600_NS5tupleIffNS6_9null_typeES8_S8_S8_S8_S8_S8_S8_EEEEZZNS1_29radix_sort_onesweep_iterationIS3_Lb0ENS6_6detail15normal_iteratorINS6_10device_ptrIjEEEESG_NSD_INSE_IS9_EEEESI_jNS0_19identity_decomposerENS1_16block_id_wrapperIjLb0EEEEE10hipError_tT1_PNSt15iterator_traitsISN_E10value_typeET2_T3_PNSO_IST_E10value_typeET4_T5_PSY_SZ_PNS1_23onesweep_lookback_stateEbbT6_jjT7_P12ihipStream_tbENKUlT_T0_SN_SS_E_clISG_SG_SI_SI_EEDaS16_S17_SN_SS_EUlS16_E_NS1_11comp_targetILNS1_3genE6ELNS1_11target_archE950ELNS1_3gpuE13ELNS1_3repE0EEENS1_47radix_sort_onesweep_sort_config_static_selectorELNS0_4arch9wavefront6targetE0EEEvSN_.kd
    .uniform_work_group_size: 1
    .uses_dynamic_stack: false
    .vgpr_count:     0
    .vgpr_spill_count: 0
    .wavefront_size: 32
    .workgroup_processor_mode: 1
  - .args:
      - .offset:         0
        .size:           88
        .value_kind:     by_value
    .group_segment_fixed_size: 0
    .kernarg_segment_align: 8
    .kernarg_segment_size: 88
    .language:       OpenCL C
    .language_version:
      - 2
      - 0
    .max_flat_workgroup_size: 1024
    .name:           _ZN7rocprim17ROCPRIM_400000_NS6detail17trampoline_kernelINS0_14default_configENS1_35radix_sort_onesweep_config_selectorIjN6thrust23THRUST_200600_302600_NS5tupleIffNS6_9null_typeES8_S8_S8_S8_S8_S8_S8_EEEEZZNS1_29radix_sort_onesweep_iterationIS3_Lb0ENS6_6detail15normal_iteratorINS6_10device_ptrIjEEEESG_NSD_INSE_IS9_EEEESI_jNS0_19identity_decomposerENS1_16block_id_wrapperIjLb0EEEEE10hipError_tT1_PNSt15iterator_traitsISN_E10value_typeET2_T3_PNSO_IST_E10value_typeET4_T5_PSY_SZ_PNS1_23onesweep_lookback_stateEbbT6_jjT7_P12ihipStream_tbENKUlT_T0_SN_SS_E_clISG_SG_SI_SI_EEDaS16_S17_SN_SS_EUlS16_E_NS1_11comp_targetILNS1_3genE5ELNS1_11target_archE942ELNS1_3gpuE9ELNS1_3repE0EEENS1_47radix_sort_onesweep_sort_config_static_selectorELNS0_4arch9wavefront6targetE0EEEvSN_
    .private_segment_fixed_size: 0
    .sgpr_count:     0
    .sgpr_spill_count: 0
    .symbol:         _ZN7rocprim17ROCPRIM_400000_NS6detail17trampoline_kernelINS0_14default_configENS1_35radix_sort_onesweep_config_selectorIjN6thrust23THRUST_200600_302600_NS5tupleIffNS6_9null_typeES8_S8_S8_S8_S8_S8_S8_EEEEZZNS1_29radix_sort_onesweep_iterationIS3_Lb0ENS6_6detail15normal_iteratorINS6_10device_ptrIjEEEESG_NSD_INSE_IS9_EEEESI_jNS0_19identity_decomposerENS1_16block_id_wrapperIjLb0EEEEE10hipError_tT1_PNSt15iterator_traitsISN_E10value_typeET2_T3_PNSO_IST_E10value_typeET4_T5_PSY_SZ_PNS1_23onesweep_lookback_stateEbbT6_jjT7_P12ihipStream_tbENKUlT_T0_SN_SS_E_clISG_SG_SI_SI_EEDaS16_S17_SN_SS_EUlS16_E_NS1_11comp_targetILNS1_3genE5ELNS1_11target_archE942ELNS1_3gpuE9ELNS1_3repE0EEENS1_47radix_sort_onesweep_sort_config_static_selectorELNS0_4arch9wavefront6targetE0EEEvSN_.kd
    .uniform_work_group_size: 1
    .uses_dynamic_stack: false
    .vgpr_count:     0
    .vgpr_spill_count: 0
    .wavefront_size: 32
    .workgroup_processor_mode: 1
  - .args:
      - .offset:         0
        .size:           88
        .value_kind:     by_value
    .group_segment_fixed_size: 0
    .kernarg_segment_align: 8
    .kernarg_segment_size: 88
    .language:       OpenCL C
    .language_version:
      - 2
      - 0
    .max_flat_workgroup_size: 512
    .name:           _ZN7rocprim17ROCPRIM_400000_NS6detail17trampoline_kernelINS0_14default_configENS1_35radix_sort_onesweep_config_selectorIjN6thrust23THRUST_200600_302600_NS5tupleIffNS6_9null_typeES8_S8_S8_S8_S8_S8_S8_EEEEZZNS1_29radix_sort_onesweep_iterationIS3_Lb0ENS6_6detail15normal_iteratorINS6_10device_ptrIjEEEESG_NSD_INSE_IS9_EEEESI_jNS0_19identity_decomposerENS1_16block_id_wrapperIjLb0EEEEE10hipError_tT1_PNSt15iterator_traitsISN_E10value_typeET2_T3_PNSO_IST_E10value_typeET4_T5_PSY_SZ_PNS1_23onesweep_lookback_stateEbbT6_jjT7_P12ihipStream_tbENKUlT_T0_SN_SS_E_clISG_SG_SI_SI_EEDaS16_S17_SN_SS_EUlS16_E_NS1_11comp_targetILNS1_3genE2ELNS1_11target_archE906ELNS1_3gpuE6ELNS1_3repE0EEENS1_47radix_sort_onesweep_sort_config_static_selectorELNS0_4arch9wavefront6targetE0EEEvSN_
    .private_segment_fixed_size: 0
    .sgpr_count:     0
    .sgpr_spill_count: 0
    .symbol:         _ZN7rocprim17ROCPRIM_400000_NS6detail17trampoline_kernelINS0_14default_configENS1_35radix_sort_onesweep_config_selectorIjN6thrust23THRUST_200600_302600_NS5tupleIffNS6_9null_typeES8_S8_S8_S8_S8_S8_S8_EEEEZZNS1_29radix_sort_onesweep_iterationIS3_Lb0ENS6_6detail15normal_iteratorINS6_10device_ptrIjEEEESG_NSD_INSE_IS9_EEEESI_jNS0_19identity_decomposerENS1_16block_id_wrapperIjLb0EEEEE10hipError_tT1_PNSt15iterator_traitsISN_E10value_typeET2_T3_PNSO_IST_E10value_typeET4_T5_PSY_SZ_PNS1_23onesweep_lookback_stateEbbT6_jjT7_P12ihipStream_tbENKUlT_T0_SN_SS_E_clISG_SG_SI_SI_EEDaS16_S17_SN_SS_EUlS16_E_NS1_11comp_targetILNS1_3genE2ELNS1_11target_archE906ELNS1_3gpuE6ELNS1_3repE0EEENS1_47radix_sort_onesweep_sort_config_static_selectorELNS0_4arch9wavefront6targetE0EEEvSN_.kd
    .uniform_work_group_size: 1
    .uses_dynamic_stack: false
    .vgpr_count:     0
    .vgpr_spill_count: 0
    .wavefront_size: 32
    .workgroup_processor_mode: 1
  - .args:
      - .offset:         0
        .size:           88
        .value_kind:     by_value
    .group_segment_fixed_size: 0
    .kernarg_segment_align: 8
    .kernarg_segment_size: 88
    .language:       OpenCL C
    .language_version:
      - 2
      - 0
    .max_flat_workgroup_size: 512
    .name:           _ZN7rocprim17ROCPRIM_400000_NS6detail17trampoline_kernelINS0_14default_configENS1_35radix_sort_onesweep_config_selectorIjN6thrust23THRUST_200600_302600_NS5tupleIffNS6_9null_typeES8_S8_S8_S8_S8_S8_S8_EEEEZZNS1_29radix_sort_onesweep_iterationIS3_Lb0ENS6_6detail15normal_iteratorINS6_10device_ptrIjEEEESG_NSD_INSE_IS9_EEEESI_jNS0_19identity_decomposerENS1_16block_id_wrapperIjLb0EEEEE10hipError_tT1_PNSt15iterator_traitsISN_E10value_typeET2_T3_PNSO_IST_E10value_typeET4_T5_PSY_SZ_PNS1_23onesweep_lookback_stateEbbT6_jjT7_P12ihipStream_tbENKUlT_T0_SN_SS_E_clISG_SG_SI_SI_EEDaS16_S17_SN_SS_EUlS16_E_NS1_11comp_targetILNS1_3genE4ELNS1_11target_archE910ELNS1_3gpuE8ELNS1_3repE0EEENS1_47radix_sort_onesweep_sort_config_static_selectorELNS0_4arch9wavefront6targetE0EEEvSN_
    .private_segment_fixed_size: 0
    .sgpr_count:     0
    .sgpr_spill_count: 0
    .symbol:         _ZN7rocprim17ROCPRIM_400000_NS6detail17trampoline_kernelINS0_14default_configENS1_35radix_sort_onesweep_config_selectorIjN6thrust23THRUST_200600_302600_NS5tupleIffNS6_9null_typeES8_S8_S8_S8_S8_S8_S8_EEEEZZNS1_29radix_sort_onesweep_iterationIS3_Lb0ENS6_6detail15normal_iteratorINS6_10device_ptrIjEEEESG_NSD_INSE_IS9_EEEESI_jNS0_19identity_decomposerENS1_16block_id_wrapperIjLb0EEEEE10hipError_tT1_PNSt15iterator_traitsISN_E10value_typeET2_T3_PNSO_IST_E10value_typeET4_T5_PSY_SZ_PNS1_23onesweep_lookback_stateEbbT6_jjT7_P12ihipStream_tbENKUlT_T0_SN_SS_E_clISG_SG_SI_SI_EEDaS16_S17_SN_SS_EUlS16_E_NS1_11comp_targetILNS1_3genE4ELNS1_11target_archE910ELNS1_3gpuE8ELNS1_3repE0EEENS1_47radix_sort_onesweep_sort_config_static_selectorELNS0_4arch9wavefront6targetE0EEEvSN_.kd
    .uniform_work_group_size: 1
    .uses_dynamic_stack: false
    .vgpr_count:     0
    .vgpr_spill_count: 0
    .wavefront_size: 32
    .workgroup_processor_mode: 1
  - .args:
      - .offset:         0
        .size:           88
        .value_kind:     by_value
    .group_segment_fixed_size: 0
    .kernarg_segment_align: 8
    .kernarg_segment_size: 88
    .language:       OpenCL C
    .language_version:
      - 2
      - 0
    .max_flat_workgroup_size: 512
    .name:           _ZN7rocprim17ROCPRIM_400000_NS6detail17trampoline_kernelINS0_14default_configENS1_35radix_sort_onesweep_config_selectorIjN6thrust23THRUST_200600_302600_NS5tupleIffNS6_9null_typeES8_S8_S8_S8_S8_S8_S8_EEEEZZNS1_29radix_sort_onesweep_iterationIS3_Lb0ENS6_6detail15normal_iteratorINS6_10device_ptrIjEEEESG_NSD_INSE_IS9_EEEESI_jNS0_19identity_decomposerENS1_16block_id_wrapperIjLb0EEEEE10hipError_tT1_PNSt15iterator_traitsISN_E10value_typeET2_T3_PNSO_IST_E10value_typeET4_T5_PSY_SZ_PNS1_23onesweep_lookback_stateEbbT6_jjT7_P12ihipStream_tbENKUlT_T0_SN_SS_E_clISG_SG_SI_SI_EEDaS16_S17_SN_SS_EUlS16_E_NS1_11comp_targetILNS1_3genE3ELNS1_11target_archE908ELNS1_3gpuE7ELNS1_3repE0EEENS1_47radix_sort_onesweep_sort_config_static_selectorELNS0_4arch9wavefront6targetE0EEEvSN_
    .private_segment_fixed_size: 0
    .sgpr_count:     0
    .sgpr_spill_count: 0
    .symbol:         _ZN7rocprim17ROCPRIM_400000_NS6detail17trampoline_kernelINS0_14default_configENS1_35radix_sort_onesweep_config_selectorIjN6thrust23THRUST_200600_302600_NS5tupleIffNS6_9null_typeES8_S8_S8_S8_S8_S8_S8_EEEEZZNS1_29radix_sort_onesweep_iterationIS3_Lb0ENS6_6detail15normal_iteratorINS6_10device_ptrIjEEEESG_NSD_INSE_IS9_EEEESI_jNS0_19identity_decomposerENS1_16block_id_wrapperIjLb0EEEEE10hipError_tT1_PNSt15iterator_traitsISN_E10value_typeET2_T3_PNSO_IST_E10value_typeET4_T5_PSY_SZ_PNS1_23onesweep_lookback_stateEbbT6_jjT7_P12ihipStream_tbENKUlT_T0_SN_SS_E_clISG_SG_SI_SI_EEDaS16_S17_SN_SS_EUlS16_E_NS1_11comp_targetILNS1_3genE3ELNS1_11target_archE908ELNS1_3gpuE7ELNS1_3repE0EEENS1_47radix_sort_onesweep_sort_config_static_selectorELNS0_4arch9wavefront6targetE0EEEvSN_.kd
    .uniform_work_group_size: 1
    .uses_dynamic_stack: false
    .vgpr_count:     0
    .vgpr_spill_count: 0
    .wavefront_size: 32
    .workgroup_processor_mode: 1
  - .args:
      - .offset:         0
        .size:           88
        .value_kind:     by_value
    .group_segment_fixed_size: 0
    .kernarg_segment_align: 8
    .kernarg_segment_size: 88
    .language:       OpenCL C
    .language_version:
      - 2
      - 0
    .max_flat_workgroup_size: 1024
    .name:           _ZN7rocprim17ROCPRIM_400000_NS6detail17trampoline_kernelINS0_14default_configENS1_35radix_sort_onesweep_config_selectorIjN6thrust23THRUST_200600_302600_NS5tupleIffNS6_9null_typeES8_S8_S8_S8_S8_S8_S8_EEEEZZNS1_29radix_sort_onesweep_iterationIS3_Lb0ENS6_6detail15normal_iteratorINS6_10device_ptrIjEEEESG_NSD_INSE_IS9_EEEESI_jNS0_19identity_decomposerENS1_16block_id_wrapperIjLb0EEEEE10hipError_tT1_PNSt15iterator_traitsISN_E10value_typeET2_T3_PNSO_IST_E10value_typeET4_T5_PSY_SZ_PNS1_23onesweep_lookback_stateEbbT6_jjT7_P12ihipStream_tbENKUlT_T0_SN_SS_E_clISG_SG_SI_SI_EEDaS16_S17_SN_SS_EUlS16_E_NS1_11comp_targetILNS1_3genE10ELNS1_11target_archE1201ELNS1_3gpuE5ELNS1_3repE0EEENS1_47radix_sort_onesweep_sort_config_static_selectorELNS0_4arch9wavefront6targetE0EEEvSN_
    .private_segment_fixed_size: 0
    .sgpr_count:     0
    .sgpr_spill_count: 0
    .symbol:         _ZN7rocprim17ROCPRIM_400000_NS6detail17trampoline_kernelINS0_14default_configENS1_35radix_sort_onesweep_config_selectorIjN6thrust23THRUST_200600_302600_NS5tupleIffNS6_9null_typeES8_S8_S8_S8_S8_S8_S8_EEEEZZNS1_29radix_sort_onesweep_iterationIS3_Lb0ENS6_6detail15normal_iteratorINS6_10device_ptrIjEEEESG_NSD_INSE_IS9_EEEESI_jNS0_19identity_decomposerENS1_16block_id_wrapperIjLb0EEEEE10hipError_tT1_PNSt15iterator_traitsISN_E10value_typeET2_T3_PNSO_IST_E10value_typeET4_T5_PSY_SZ_PNS1_23onesweep_lookback_stateEbbT6_jjT7_P12ihipStream_tbENKUlT_T0_SN_SS_E_clISG_SG_SI_SI_EEDaS16_S17_SN_SS_EUlS16_E_NS1_11comp_targetILNS1_3genE10ELNS1_11target_archE1201ELNS1_3gpuE5ELNS1_3repE0EEENS1_47radix_sort_onesweep_sort_config_static_selectorELNS0_4arch9wavefront6targetE0EEEvSN_.kd
    .uniform_work_group_size: 1
    .uses_dynamic_stack: false
    .vgpr_count:     0
    .vgpr_spill_count: 0
    .wavefront_size: 32
    .workgroup_processor_mode: 1
  - .args:
      - .offset:         0
        .size:           88
        .value_kind:     by_value
    .group_segment_fixed_size: 0
    .kernarg_segment_align: 8
    .kernarg_segment_size: 88
    .language:       OpenCL C
    .language_version:
      - 2
      - 0
    .max_flat_workgroup_size: 1024
    .name:           _ZN7rocprim17ROCPRIM_400000_NS6detail17trampoline_kernelINS0_14default_configENS1_35radix_sort_onesweep_config_selectorIjN6thrust23THRUST_200600_302600_NS5tupleIffNS6_9null_typeES8_S8_S8_S8_S8_S8_S8_EEEEZZNS1_29radix_sort_onesweep_iterationIS3_Lb0ENS6_6detail15normal_iteratorINS6_10device_ptrIjEEEESG_NSD_INSE_IS9_EEEESI_jNS0_19identity_decomposerENS1_16block_id_wrapperIjLb0EEEEE10hipError_tT1_PNSt15iterator_traitsISN_E10value_typeET2_T3_PNSO_IST_E10value_typeET4_T5_PSY_SZ_PNS1_23onesweep_lookback_stateEbbT6_jjT7_P12ihipStream_tbENKUlT_T0_SN_SS_E_clISG_SG_SI_SI_EEDaS16_S17_SN_SS_EUlS16_E_NS1_11comp_targetILNS1_3genE9ELNS1_11target_archE1100ELNS1_3gpuE3ELNS1_3repE0EEENS1_47radix_sort_onesweep_sort_config_static_selectorELNS0_4arch9wavefront6targetE0EEEvSN_
    .private_segment_fixed_size: 0
    .sgpr_count:     0
    .sgpr_spill_count: 0
    .symbol:         _ZN7rocprim17ROCPRIM_400000_NS6detail17trampoline_kernelINS0_14default_configENS1_35radix_sort_onesweep_config_selectorIjN6thrust23THRUST_200600_302600_NS5tupleIffNS6_9null_typeES8_S8_S8_S8_S8_S8_S8_EEEEZZNS1_29radix_sort_onesweep_iterationIS3_Lb0ENS6_6detail15normal_iteratorINS6_10device_ptrIjEEEESG_NSD_INSE_IS9_EEEESI_jNS0_19identity_decomposerENS1_16block_id_wrapperIjLb0EEEEE10hipError_tT1_PNSt15iterator_traitsISN_E10value_typeET2_T3_PNSO_IST_E10value_typeET4_T5_PSY_SZ_PNS1_23onesweep_lookback_stateEbbT6_jjT7_P12ihipStream_tbENKUlT_T0_SN_SS_E_clISG_SG_SI_SI_EEDaS16_S17_SN_SS_EUlS16_E_NS1_11comp_targetILNS1_3genE9ELNS1_11target_archE1100ELNS1_3gpuE3ELNS1_3repE0EEENS1_47radix_sort_onesweep_sort_config_static_selectorELNS0_4arch9wavefront6targetE0EEEvSN_.kd
    .uniform_work_group_size: 1
    .uses_dynamic_stack: false
    .vgpr_count:     0
    .vgpr_spill_count: 0
    .wavefront_size: 32
    .workgroup_processor_mode: 1
  - .args:
      - .offset:         0
        .size:           88
        .value_kind:     by_value
      - .offset:         88
        .size:           4
        .value_kind:     hidden_block_count_x
      - .offset:         92
        .size:           4
        .value_kind:     hidden_block_count_y
      - .offset:         96
        .size:           4
        .value_kind:     hidden_block_count_z
      - .offset:         100
        .size:           2
        .value_kind:     hidden_group_size_x
      - .offset:         102
        .size:           2
        .value_kind:     hidden_group_size_y
      - .offset:         104
        .size:           2
        .value_kind:     hidden_group_size_z
      - .offset:         106
        .size:           2
        .value_kind:     hidden_remainder_x
      - .offset:         108
        .size:           2
        .value_kind:     hidden_remainder_y
      - .offset:         110
        .size:           2
        .value_kind:     hidden_remainder_z
      - .offset:         128
        .size:           8
        .value_kind:     hidden_global_offset_x
      - .offset:         136
        .size:           8
        .value_kind:     hidden_global_offset_y
      - .offset:         144
        .size:           8
        .value_kind:     hidden_global_offset_z
      - .offset:         152
        .size:           2
        .value_kind:     hidden_grid_dims
    .group_segment_fixed_size: 37000
    .kernarg_segment_align: 8
    .kernarg_segment_size: 344
    .language:       OpenCL C
    .language_version:
      - 2
      - 0
    .max_flat_workgroup_size: 1024
    .name:           _ZN7rocprim17ROCPRIM_400000_NS6detail17trampoline_kernelINS0_14default_configENS1_35radix_sort_onesweep_config_selectorIjN6thrust23THRUST_200600_302600_NS5tupleIffNS6_9null_typeES8_S8_S8_S8_S8_S8_S8_EEEEZZNS1_29radix_sort_onesweep_iterationIS3_Lb0ENS6_6detail15normal_iteratorINS6_10device_ptrIjEEEESG_NSD_INSE_IS9_EEEESI_jNS0_19identity_decomposerENS1_16block_id_wrapperIjLb0EEEEE10hipError_tT1_PNSt15iterator_traitsISN_E10value_typeET2_T3_PNSO_IST_E10value_typeET4_T5_PSY_SZ_PNS1_23onesweep_lookback_stateEbbT6_jjT7_P12ihipStream_tbENKUlT_T0_SN_SS_E_clISG_SG_SI_SI_EEDaS16_S17_SN_SS_EUlS16_E_NS1_11comp_targetILNS1_3genE8ELNS1_11target_archE1030ELNS1_3gpuE2ELNS1_3repE0EEENS1_47radix_sort_onesweep_sort_config_static_selectorELNS0_4arch9wavefront6targetE0EEEvSN_
    .private_segment_fixed_size: 0
    .sgpr_count:     38
    .sgpr_spill_count: 0
    .symbol:         _ZN7rocprim17ROCPRIM_400000_NS6detail17trampoline_kernelINS0_14default_configENS1_35radix_sort_onesweep_config_selectorIjN6thrust23THRUST_200600_302600_NS5tupleIffNS6_9null_typeES8_S8_S8_S8_S8_S8_S8_EEEEZZNS1_29radix_sort_onesweep_iterationIS3_Lb0ENS6_6detail15normal_iteratorINS6_10device_ptrIjEEEESG_NSD_INSE_IS9_EEEESI_jNS0_19identity_decomposerENS1_16block_id_wrapperIjLb0EEEEE10hipError_tT1_PNSt15iterator_traitsISN_E10value_typeET2_T3_PNSO_IST_E10value_typeET4_T5_PSY_SZ_PNS1_23onesweep_lookback_stateEbbT6_jjT7_P12ihipStream_tbENKUlT_T0_SN_SS_E_clISG_SG_SI_SI_EEDaS16_S17_SN_SS_EUlS16_E_NS1_11comp_targetILNS1_3genE8ELNS1_11target_archE1030ELNS1_3gpuE2ELNS1_3repE0EEENS1_47radix_sort_onesweep_sort_config_static_selectorELNS0_4arch9wavefront6targetE0EEEvSN_.kd
    .uniform_work_group_size: 1
    .uses_dynamic_stack: false
    .vgpr_count:     35
    .vgpr_spill_count: 0
    .wavefront_size: 32
    .workgroup_processor_mode: 1
  - .args:
      - .offset:         0
        .size:           88
        .value_kind:     by_value
    .group_segment_fixed_size: 0
    .kernarg_segment_align: 8
    .kernarg_segment_size: 88
    .language:       OpenCL C
    .language_version:
      - 2
      - 0
    .max_flat_workgroup_size: 512
    .name:           _ZN7rocprim17ROCPRIM_400000_NS6detail17trampoline_kernelINS0_14default_configENS1_35radix_sort_onesweep_config_selectorIjN6thrust23THRUST_200600_302600_NS5tupleIffNS6_9null_typeES8_S8_S8_S8_S8_S8_S8_EEEEZZNS1_29radix_sort_onesweep_iterationIS3_Lb0ENS6_6detail15normal_iteratorINS6_10device_ptrIjEEEESG_NSD_INSE_IS9_EEEESI_jNS0_19identity_decomposerENS1_16block_id_wrapperIjLb0EEEEE10hipError_tT1_PNSt15iterator_traitsISN_E10value_typeET2_T3_PNSO_IST_E10value_typeET4_T5_PSY_SZ_PNS1_23onesweep_lookback_stateEbbT6_jjT7_P12ihipStream_tbENKUlT_T0_SN_SS_E_clISG_PjSI_PS9_EEDaS16_S17_SN_SS_EUlS16_E_NS1_11comp_targetILNS1_3genE0ELNS1_11target_archE4294967295ELNS1_3gpuE0ELNS1_3repE0EEENS1_47radix_sort_onesweep_sort_config_static_selectorELNS0_4arch9wavefront6targetE0EEEvSN_
    .private_segment_fixed_size: 0
    .sgpr_count:     0
    .sgpr_spill_count: 0
    .symbol:         _ZN7rocprim17ROCPRIM_400000_NS6detail17trampoline_kernelINS0_14default_configENS1_35radix_sort_onesweep_config_selectorIjN6thrust23THRUST_200600_302600_NS5tupleIffNS6_9null_typeES8_S8_S8_S8_S8_S8_S8_EEEEZZNS1_29radix_sort_onesweep_iterationIS3_Lb0ENS6_6detail15normal_iteratorINS6_10device_ptrIjEEEESG_NSD_INSE_IS9_EEEESI_jNS0_19identity_decomposerENS1_16block_id_wrapperIjLb0EEEEE10hipError_tT1_PNSt15iterator_traitsISN_E10value_typeET2_T3_PNSO_IST_E10value_typeET4_T5_PSY_SZ_PNS1_23onesweep_lookback_stateEbbT6_jjT7_P12ihipStream_tbENKUlT_T0_SN_SS_E_clISG_PjSI_PS9_EEDaS16_S17_SN_SS_EUlS16_E_NS1_11comp_targetILNS1_3genE0ELNS1_11target_archE4294967295ELNS1_3gpuE0ELNS1_3repE0EEENS1_47radix_sort_onesweep_sort_config_static_selectorELNS0_4arch9wavefront6targetE0EEEvSN_.kd
    .uniform_work_group_size: 1
    .uses_dynamic_stack: false
    .vgpr_count:     0
    .vgpr_spill_count: 0
    .wavefront_size: 32
    .workgroup_processor_mode: 1
  - .args:
      - .offset:         0
        .size:           88
        .value_kind:     by_value
    .group_segment_fixed_size: 0
    .kernarg_segment_align: 8
    .kernarg_segment_size: 88
    .language:       OpenCL C
    .language_version:
      - 2
      - 0
    .max_flat_workgroup_size: 1024
    .name:           _ZN7rocprim17ROCPRIM_400000_NS6detail17trampoline_kernelINS0_14default_configENS1_35radix_sort_onesweep_config_selectorIjN6thrust23THRUST_200600_302600_NS5tupleIffNS6_9null_typeES8_S8_S8_S8_S8_S8_S8_EEEEZZNS1_29radix_sort_onesweep_iterationIS3_Lb0ENS6_6detail15normal_iteratorINS6_10device_ptrIjEEEESG_NSD_INSE_IS9_EEEESI_jNS0_19identity_decomposerENS1_16block_id_wrapperIjLb0EEEEE10hipError_tT1_PNSt15iterator_traitsISN_E10value_typeET2_T3_PNSO_IST_E10value_typeET4_T5_PSY_SZ_PNS1_23onesweep_lookback_stateEbbT6_jjT7_P12ihipStream_tbENKUlT_T0_SN_SS_E_clISG_PjSI_PS9_EEDaS16_S17_SN_SS_EUlS16_E_NS1_11comp_targetILNS1_3genE6ELNS1_11target_archE950ELNS1_3gpuE13ELNS1_3repE0EEENS1_47radix_sort_onesweep_sort_config_static_selectorELNS0_4arch9wavefront6targetE0EEEvSN_
    .private_segment_fixed_size: 0
    .sgpr_count:     0
    .sgpr_spill_count: 0
    .symbol:         _ZN7rocprim17ROCPRIM_400000_NS6detail17trampoline_kernelINS0_14default_configENS1_35radix_sort_onesweep_config_selectorIjN6thrust23THRUST_200600_302600_NS5tupleIffNS6_9null_typeES8_S8_S8_S8_S8_S8_S8_EEEEZZNS1_29radix_sort_onesweep_iterationIS3_Lb0ENS6_6detail15normal_iteratorINS6_10device_ptrIjEEEESG_NSD_INSE_IS9_EEEESI_jNS0_19identity_decomposerENS1_16block_id_wrapperIjLb0EEEEE10hipError_tT1_PNSt15iterator_traitsISN_E10value_typeET2_T3_PNSO_IST_E10value_typeET4_T5_PSY_SZ_PNS1_23onesweep_lookback_stateEbbT6_jjT7_P12ihipStream_tbENKUlT_T0_SN_SS_E_clISG_PjSI_PS9_EEDaS16_S17_SN_SS_EUlS16_E_NS1_11comp_targetILNS1_3genE6ELNS1_11target_archE950ELNS1_3gpuE13ELNS1_3repE0EEENS1_47radix_sort_onesweep_sort_config_static_selectorELNS0_4arch9wavefront6targetE0EEEvSN_.kd
    .uniform_work_group_size: 1
    .uses_dynamic_stack: false
    .vgpr_count:     0
    .vgpr_spill_count: 0
    .wavefront_size: 32
    .workgroup_processor_mode: 1
  - .args:
      - .offset:         0
        .size:           88
        .value_kind:     by_value
    .group_segment_fixed_size: 0
    .kernarg_segment_align: 8
    .kernarg_segment_size: 88
    .language:       OpenCL C
    .language_version:
      - 2
      - 0
    .max_flat_workgroup_size: 1024
    .name:           _ZN7rocprim17ROCPRIM_400000_NS6detail17trampoline_kernelINS0_14default_configENS1_35radix_sort_onesweep_config_selectorIjN6thrust23THRUST_200600_302600_NS5tupleIffNS6_9null_typeES8_S8_S8_S8_S8_S8_S8_EEEEZZNS1_29radix_sort_onesweep_iterationIS3_Lb0ENS6_6detail15normal_iteratorINS6_10device_ptrIjEEEESG_NSD_INSE_IS9_EEEESI_jNS0_19identity_decomposerENS1_16block_id_wrapperIjLb0EEEEE10hipError_tT1_PNSt15iterator_traitsISN_E10value_typeET2_T3_PNSO_IST_E10value_typeET4_T5_PSY_SZ_PNS1_23onesweep_lookback_stateEbbT6_jjT7_P12ihipStream_tbENKUlT_T0_SN_SS_E_clISG_PjSI_PS9_EEDaS16_S17_SN_SS_EUlS16_E_NS1_11comp_targetILNS1_3genE5ELNS1_11target_archE942ELNS1_3gpuE9ELNS1_3repE0EEENS1_47radix_sort_onesweep_sort_config_static_selectorELNS0_4arch9wavefront6targetE0EEEvSN_
    .private_segment_fixed_size: 0
    .sgpr_count:     0
    .sgpr_spill_count: 0
    .symbol:         _ZN7rocprim17ROCPRIM_400000_NS6detail17trampoline_kernelINS0_14default_configENS1_35radix_sort_onesweep_config_selectorIjN6thrust23THRUST_200600_302600_NS5tupleIffNS6_9null_typeES8_S8_S8_S8_S8_S8_S8_EEEEZZNS1_29radix_sort_onesweep_iterationIS3_Lb0ENS6_6detail15normal_iteratorINS6_10device_ptrIjEEEESG_NSD_INSE_IS9_EEEESI_jNS0_19identity_decomposerENS1_16block_id_wrapperIjLb0EEEEE10hipError_tT1_PNSt15iterator_traitsISN_E10value_typeET2_T3_PNSO_IST_E10value_typeET4_T5_PSY_SZ_PNS1_23onesweep_lookback_stateEbbT6_jjT7_P12ihipStream_tbENKUlT_T0_SN_SS_E_clISG_PjSI_PS9_EEDaS16_S17_SN_SS_EUlS16_E_NS1_11comp_targetILNS1_3genE5ELNS1_11target_archE942ELNS1_3gpuE9ELNS1_3repE0EEENS1_47radix_sort_onesweep_sort_config_static_selectorELNS0_4arch9wavefront6targetE0EEEvSN_.kd
    .uniform_work_group_size: 1
    .uses_dynamic_stack: false
    .vgpr_count:     0
    .vgpr_spill_count: 0
    .wavefront_size: 32
    .workgroup_processor_mode: 1
  - .args:
      - .offset:         0
        .size:           88
        .value_kind:     by_value
    .group_segment_fixed_size: 0
    .kernarg_segment_align: 8
    .kernarg_segment_size: 88
    .language:       OpenCL C
    .language_version:
      - 2
      - 0
    .max_flat_workgroup_size: 512
    .name:           _ZN7rocprim17ROCPRIM_400000_NS6detail17trampoline_kernelINS0_14default_configENS1_35radix_sort_onesweep_config_selectorIjN6thrust23THRUST_200600_302600_NS5tupleIffNS6_9null_typeES8_S8_S8_S8_S8_S8_S8_EEEEZZNS1_29radix_sort_onesweep_iterationIS3_Lb0ENS6_6detail15normal_iteratorINS6_10device_ptrIjEEEESG_NSD_INSE_IS9_EEEESI_jNS0_19identity_decomposerENS1_16block_id_wrapperIjLb0EEEEE10hipError_tT1_PNSt15iterator_traitsISN_E10value_typeET2_T3_PNSO_IST_E10value_typeET4_T5_PSY_SZ_PNS1_23onesweep_lookback_stateEbbT6_jjT7_P12ihipStream_tbENKUlT_T0_SN_SS_E_clISG_PjSI_PS9_EEDaS16_S17_SN_SS_EUlS16_E_NS1_11comp_targetILNS1_3genE2ELNS1_11target_archE906ELNS1_3gpuE6ELNS1_3repE0EEENS1_47radix_sort_onesweep_sort_config_static_selectorELNS0_4arch9wavefront6targetE0EEEvSN_
    .private_segment_fixed_size: 0
    .sgpr_count:     0
    .sgpr_spill_count: 0
    .symbol:         _ZN7rocprim17ROCPRIM_400000_NS6detail17trampoline_kernelINS0_14default_configENS1_35radix_sort_onesweep_config_selectorIjN6thrust23THRUST_200600_302600_NS5tupleIffNS6_9null_typeES8_S8_S8_S8_S8_S8_S8_EEEEZZNS1_29radix_sort_onesweep_iterationIS3_Lb0ENS6_6detail15normal_iteratorINS6_10device_ptrIjEEEESG_NSD_INSE_IS9_EEEESI_jNS0_19identity_decomposerENS1_16block_id_wrapperIjLb0EEEEE10hipError_tT1_PNSt15iterator_traitsISN_E10value_typeET2_T3_PNSO_IST_E10value_typeET4_T5_PSY_SZ_PNS1_23onesweep_lookback_stateEbbT6_jjT7_P12ihipStream_tbENKUlT_T0_SN_SS_E_clISG_PjSI_PS9_EEDaS16_S17_SN_SS_EUlS16_E_NS1_11comp_targetILNS1_3genE2ELNS1_11target_archE906ELNS1_3gpuE6ELNS1_3repE0EEENS1_47radix_sort_onesweep_sort_config_static_selectorELNS0_4arch9wavefront6targetE0EEEvSN_.kd
    .uniform_work_group_size: 1
    .uses_dynamic_stack: false
    .vgpr_count:     0
    .vgpr_spill_count: 0
    .wavefront_size: 32
    .workgroup_processor_mode: 1
  - .args:
      - .offset:         0
        .size:           88
        .value_kind:     by_value
    .group_segment_fixed_size: 0
    .kernarg_segment_align: 8
    .kernarg_segment_size: 88
    .language:       OpenCL C
    .language_version:
      - 2
      - 0
    .max_flat_workgroup_size: 512
    .name:           _ZN7rocprim17ROCPRIM_400000_NS6detail17trampoline_kernelINS0_14default_configENS1_35radix_sort_onesweep_config_selectorIjN6thrust23THRUST_200600_302600_NS5tupleIffNS6_9null_typeES8_S8_S8_S8_S8_S8_S8_EEEEZZNS1_29radix_sort_onesweep_iterationIS3_Lb0ENS6_6detail15normal_iteratorINS6_10device_ptrIjEEEESG_NSD_INSE_IS9_EEEESI_jNS0_19identity_decomposerENS1_16block_id_wrapperIjLb0EEEEE10hipError_tT1_PNSt15iterator_traitsISN_E10value_typeET2_T3_PNSO_IST_E10value_typeET4_T5_PSY_SZ_PNS1_23onesweep_lookback_stateEbbT6_jjT7_P12ihipStream_tbENKUlT_T0_SN_SS_E_clISG_PjSI_PS9_EEDaS16_S17_SN_SS_EUlS16_E_NS1_11comp_targetILNS1_3genE4ELNS1_11target_archE910ELNS1_3gpuE8ELNS1_3repE0EEENS1_47radix_sort_onesweep_sort_config_static_selectorELNS0_4arch9wavefront6targetE0EEEvSN_
    .private_segment_fixed_size: 0
    .sgpr_count:     0
    .sgpr_spill_count: 0
    .symbol:         _ZN7rocprim17ROCPRIM_400000_NS6detail17trampoline_kernelINS0_14default_configENS1_35radix_sort_onesweep_config_selectorIjN6thrust23THRUST_200600_302600_NS5tupleIffNS6_9null_typeES8_S8_S8_S8_S8_S8_S8_EEEEZZNS1_29radix_sort_onesweep_iterationIS3_Lb0ENS6_6detail15normal_iteratorINS6_10device_ptrIjEEEESG_NSD_INSE_IS9_EEEESI_jNS0_19identity_decomposerENS1_16block_id_wrapperIjLb0EEEEE10hipError_tT1_PNSt15iterator_traitsISN_E10value_typeET2_T3_PNSO_IST_E10value_typeET4_T5_PSY_SZ_PNS1_23onesweep_lookback_stateEbbT6_jjT7_P12ihipStream_tbENKUlT_T0_SN_SS_E_clISG_PjSI_PS9_EEDaS16_S17_SN_SS_EUlS16_E_NS1_11comp_targetILNS1_3genE4ELNS1_11target_archE910ELNS1_3gpuE8ELNS1_3repE0EEENS1_47radix_sort_onesweep_sort_config_static_selectorELNS0_4arch9wavefront6targetE0EEEvSN_.kd
    .uniform_work_group_size: 1
    .uses_dynamic_stack: false
    .vgpr_count:     0
    .vgpr_spill_count: 0
    .wavefront_size: 32
    .workgroup_processor_mode: 1
  - .args:
      - .offset:         0
        .size:           88
        .value_kind:     by_value
    .group_segment_fixed_size: 0
    .kernarg_segment_align: 8
    .kernarg_segment_size: 88
    .language:       OpenCL C
    .language_version:
      - 2
      - 0
    .max_flat_workgroup_size: 512
    .name:           _ZN7rocprim17ROCPRIM_400000_NS6detail17trampoline_kernelINS0_14default_configENS1_35radix_sort_onesweep_config_selectorIjN6thrust23THRUST_200600_302600_NS5tupleIffNS6_9null_typeES8_S8_S8_S8_S8_S8_S8_EEEEZZNS1_29radix_sort_onesweep_iterationIS3_Lb0ENS6_6detail15normal_iteratorINS6_10device_ptrIjEEEESG_NSD_INSE_IS9_EEEESI_jNS0_19identity_decomposerENS1_16block_id_wrapperIjLb0EEEEE10hipError_tT1_PNSt15iterator_traitsISN_E10value_typeET2_T3_PNSO_IST_E10value_typeET4_T5_PSY_SZ_PNS1_23onesweep_lookback_stateEbbT6_jjT7_P12ihipStream_tbENKUlT_T0_SN_SS_E_clISG_PjSI_PS9_EEDaS16_S17_SN_SS_EUlS16_E_NS1_11comp_targetILNS1_3genE3ELNS1_11target_archE908ELNS1_3gpuE7ELNS1_3repE0EEENS1_47radix_sort_onesweep_sort_config_static_selectorELNS0_4arch9wavefront6targetE0EEEvSN_
    .private_segment_fixed_size: 0
    .sgpr_count:     0
    .sgpr_spill_count: 0
    .symbol:         _ZN7rocprim17ROCPRIM_400000_NS6detail17trampoline_kernelINS0_14default_configENS1_35radix_sort_onesweep_config_selectorIjN6thrust23THRUST_200600_302600_NS5tupleIffNS6_9null_typeES8_S8_S8_S8_S8_S8_S8_EEEEZZNS1_29radix_sort_onesweep_iterationIS3_Lb0ENS6_6detail15normal_iteratorINS6_10device_ptrIjEEEESG_NSD_INSE_IS9_EEEESI_jNS0_19identity_decomposerENS1_16block_id_wrapperIjLb0EEEEE10hipError_tT1_PNSt15iterator_traitsISN_E10value_typeET2_T3_PNSO_IST_E10value_typeET4_T5_PSY_SZ_PNS1_23onesweep_lookback_stateEbbT6_jjT7_P12ihipStream_tbENKUlT_T0_SN_SS_E_clISG_PjSI_PS9_EEDaS16_S17_SN_SS_EUlS16_E_NS1_11comp_targetILNS1_3genE3ELNS1_11target_archE908ELNS1_3gpuE7ELNS1_3repE0EEENS1_47radix_sort_onesweep_sort_config_static_selectorELNS0_4arch9wavefront6targetE0EEEvSN_.kd
    .uniform_work_group_size: 1
    .uses_dynamic_stack: false
    .vgpr_count:     0
    .vgpr_spill_count: 0
    .wavefront_size: 32
    .workgroup_processor_mode: 1
  - .args:
      - .offset:         0
        .size:           88
        .value_kind:     by_value
    .group_segment_fixed_size: 0
    .kernarg_segment_align: 8
    .kernarg_segment_size: 88
    .language:       OpenCL C
    .language_version:
      - 2
      - 0
    .max_flat_workgroup_size: 1024
    .name:           _ZN7rocprim17ROCPRIM_400000_NS6detail17trampoline_kernelINS0_14default_configENS1_35radix_sort_onesweep_config_selectorIjN6thrust23THRUST_200600_302600_NS5tupleIffNS6_9null_typeES8_S8_S8_S8_S8_S8_S8_EEEEZZNS1_29radix_sort_onesweep_iterationIS3_Lb0ENS6_6detail15normal_iteratorINS6_10device_ptrIjEEEESG_NSD_INSE_IS9_EEEESI_jNS0_19identity_decomposerENS1_16block_id_wrapperIjLb0EEEEE10hipError_tT1_PNSt15iterator_traitsISN_E10value_typeET2_T3_PNSO_IST_E10value_typeET4_T5_PSY_SZ_PNS1_23onesweep_lookback_stateEbbT6_jjT7_P12ihipStream_tbENKUlT_T0_SN_SS_E_clISG_PjSI_PS9_EEDaS16_S17_SN_SS_EUlS16_E_NS1_11comp_targetILNS1_3genE10ELNS1_11target_archE1201ELNS1_3gpuE5ELNS1_3repE0EEENS1_47radix_sort_onesweep_sort_config_static_selectorELNS0_4arch9wavefront6targetE0EEEvSN_
    .private_segment_fixed_size: 0
    .sgpr_count:     0
    .sgpr_spill_count: 0
    .symbol:         _ZN7rocprim17ROCPRIM_400000_NS6detail17trampoline_kernelINS0_14default_configENS1_35radix_sort_onesweep_config_selectorIjN6thrust23THRUST_200600_302600_NS5tupleIffNS6_9null_typeES8_S8_S8_S8_S8_S8_S8_EEEEZZNS1_29radix_sort_onesweep_iterationIS3_Lb0ENS6_6detail15normal_iteratorINS6_10device_ptrIjEEEESG_NSD_INSE_IS9_EEEESI_jNS0_19identity_decomposerENS1_16block_id_wrapperIjLb0EEEEE10hipError_tT1_PNSt15iterator_traitsISN_E10value_typeET2_T3_PNSO_IST_E10value_typeET4_T5_PSY_SZ_PNS1_23onesweep_lookback_stateEbbT6_jjT7_P12ihipStream_tbENKUlT_T0_SN_SS_E_clISG_PjSI_PS9_EEDaS16_S17_SN_SS_EUlS16_E_NS1_11comp_targetILNS1_3genE10ELNS1_11target_archE1201ELNS1_3gpuE5ELNS1_3repE0EEENS1_47radix_sort_onesweep_sort_config_static_selectorELNS0_4arch9wavefront6targetE0EEEvSN_.kd
    .uniform_work_group_size: 1
    .uses_dynamic_stack: false
    .vgpr_count:     0
    .vgpr_spill_count: 0
    .wavefront_size: 32
    .workgroup_processor_mode: 1
  - .args:
      - .offset:         0
        .size:           88
        .value_kind:     by_value
    .group_segment_fixed_size: 0
    .kernarg_segment_align: 8
    .kernarg_segment_size: 88
    .language:       OpenCL C
    .language_version:
      - 2
      - 0
    .max_flat_workgroup_size: 1024
    .name:           _ZN7rocprim17ROCPRIM_400000_NS6detail17trampoline_kernelINS0_14default_configENS1_35radix_sort_onesweep_config_selectorIjN6thrust23THRUST_200600_302600_NS5tupleIffNS6_9null_typeES8_S8_S8_S8_S8_S8_S8_EEEEZZNS1_29radix_sort_onesweep_iterationIS3_Lb0ENS6_6detail15normal_iteratorINS6_10device_ptrIjEEEESG_NSD_INSE_IS9_EEEESI_jNS0_19identity_decomposerENS1_16block_id_wrapperIjLb0EEEEE10hipError_tT1_PNSt15iterator_traitsISN_E10value_typeET2_T3_PNSO_IST_E10value_typeET4_T5_PSY_SZ_PNS1_23onesweep_lookback_stateEbbT6_jjT7_P12ihipStream_tbENKUlT_T0_SN_SS_E_clISG_PjSI_PS9_EEDaS16_S17_SN_SS_EUlS16_E_NS1_11comp_targetILNS1_3genE9ELNS1_11target_archE1100ELNS1_3gpuE3ELNS1_3repE0EEENS1_47radix_sort_onesweep_sort_config_static_selectorELNS0_4arch9wavefront6targetE0EEEvSN_
    .private_segment_fixed_size: 0
    .sgpr_count:     0
    .sgpr_spill_count: 0
    .symbol:         _ZN7rocprim17ROCPRIM_400000_NS6detail17trampoline_kernelINS0_14default_configENS1_35radix_sort_onesweep_config_selectorIjN6thrust23THRUST_200600_302600_NS5tupleIffNS6_9null_typeES8_S8_S8_S8_S8_S8_S8_EEEEZZNS1_29radix_sort_onesweep_iterationIS3_Lb0ENS6_6detail15normal_iteratorINS6_10device_ptrIjEEEESG_NSD_INSE_IS9_EEEESI_jNS0_19identity_decomposerENS1_16block_id_wrapperIjLb0EEEEE10hipError_tT1_PNSt15iterator_traitsISN_E10value_typeET2_T3_PNSO_IST_E10value_typeET4_T5_PSY_SZ_PNS1_23onesweep_lookback_stateEbbT6_jjT7_P12ihipStream_tbENKUlT_T0_SN_SS_E_clISG_PjSI_PS9_EEDaS16_S17_SN_SS_EUlS16_E_NS1_11comp_targetILNS1_3genE9ELNS1_11target_archE1100ELNS1_3gpuE3ELNS1_3repE0EEENS1_47radix_sort_onesweep_sort_config_static_selectorELNS0_4arch9wavefront6targetE0EEEvSN_.kd
    .uniform_work_group_size: 1
    .uses_dynamic_stack: false
    .vgpr_count:     0
    .vgpr_spill_count: 0
    .wavefront_size: 32
    .workgroup_processor_mode: 1
  - .args:
      - .offset:         0
        .size:           88
        .value_kind:     by_value
      - .offset:         88
        .size:           4
        .value_kind:     hidden_block_count_x
      - .offset:         92
        .size:           4
        .value_kind:     hidden_block_count_y
      - .offset:         96
        .size:           4
        .value_kind:     hidden_block_count_z
      - .offset:         100
        .size:           2
        .value_kind:     hidden_group_size_x
      - .offset:         102
        .size:           2
        .value_kind:     hidden_group_size_y
      - .offset:         104
        .size:           2
        .value_kind:     hidden_group_size_z
      - .offset:         106
        .size:           2
        .value_kind:     hidden_remainder_x
      - .offset:         108
        .size:           2
        .value_kind:     hidden_remainder_y
      - .offset:         110
        .size:           2
        .value_kind:     hidden_remainder_z
      - .offset:         128
        .size:           8
        .value_kind:     hidden_global_offset_x
      - .offset:         136
        .size:           8
        .value_kind:     hidden_global_offset_y
      - .offset:         144
        .size:           8
        .value_kind:     hidden_global_offset_z
      - .offset:         152
        .size:           2
        .value_kind:     hidden_grid_dims
    .group_segment_fixed_size: 37000
    .kernarg_segment_align: 8
    .kernarg_segment_size: 344
    .language:       OpenCL C
    .language_version:
      - 2
      - 0
    .max_flat_workgroup_size: 1024
    .name:           _ZN7rocprim17ROCPRIM_400000_NS6detail17trampoline_kernelINS0_14default_configENS1_35radix_sort_onesweep_config_selectorIjN6thrust23THRUST_200600_302600_NS5tupleIffNS6_9null_typeES8_S8_S8_S8_S8_S8_S8_EEEEZZNS1_29radix_sort_onesweep_iterationIS3_Lb0ENS6_6detail15normal_iteratorINS6_10device_ptrIjEEEESG_NSD_INSE_IS9_EEEESI_jNS0_19identity_decomposerENS1_16block_id_wrapperIjLb0EEEEE10hipError_tT1_PNSt15iterator_traitsISN_E10value_typeET2_T3_PNSO_IST_E10value_typeET4_T5_PSY_SZ_PNS1_23onesweep_lookback_stateEbbT6_jjT7_P12ihipStream_tbENKUlT_T0_SN_SS_E_clISG_PjSI_PS9_EEDaS16_S17_SN_SS_EUlS16_E_NS1_11comp_targetILNS1_3genE8ELNS1_11target_archE1030ELNS1_3gpuE2ELNS1_3repE0EEENS1_47radix_sort_onesweep_sort_config_static_selectorELNS0_4arch9wavefront6targetE0EEEvSN_
    .private_segment_fixed_size: 0
    .sgpr_count:     38
    .sgpr_spill_count: 0
    .symbol:         _ZN7rocprim17ROCPRIM_400000_NS6detail17trampoline_kernelINS0_14default_configENS1_35radix_sort_onesweep_config_selectorIjN6thrust23THRUST_200600_302600_NS5tupleIffNS6_9null_typeES8_S8_S8_S8_S8_S8_S8_EEEEZZNS1_29radix_sort_onesweep_iterationIS3_Lb0ENS6_6detail15normal_iteratorINS6_10device_ptrIjEEEESG_NSD_INSE_IS9_EEEESI_jNS0_19identity_decomposerENS1_16block_id_wrapperIjLb0EEEEE10hipError_tT1_PNSt15iterator_traitsISN_E10value_typeET2_T3_PNSO_IST_E10value_typeET4_T5_PSY_SZ_PNS1_23onesweep_lookback_stateEbbT6_jjT7_P12ihipStream_tbENKUlT_T0_SN_SS_E_clISG_PjSI_PS9_EEDaS16_S17_SN_SS_EUlS16_E_NS1_11comp_targetILNS1_3genE8ELNS1_11target_archE1030ELNS1_3gpuE2ELNS1_3repE0EEENS1_47radix_sort_onesweep_sort_config_static_selectorELNS0_4arch9wavefront6targetE0EEEvSN_.kd
    .uniform_work_group_size: 1
    .uses_dynamic_stack: false
    .vgpr_count:     35
    .vgpr_spill_count: 0
    .wavefront_size: 32
    .workgroup_processor_mode: 1
  - .args:
      - .offset:         0
        .size:           88
        .value_kind:     by_value
    .group_segment_fixed_size: 0
    .kernarg_segment_align: 8
    .kernarg_segment_size: 88
    .language:       OpenCL C
    .language_version:
      - 2
      - 0
    .max_flat_workgroup_size: 512
    .name:           _ZN7rocprim17ROCPRIM_400000_NS6detail17trampoline_kernelINS0_14default_configENS1_35radix_sort_onesweep_config_selectorIjN6thrust23THRUST_200600_302600_NS5tupleIffNS6_9null_typeES8_S8_S8_S8_S8_S8_S8_EEEEZZNS1_29radix_sort_onesweep_iterationIS3_Lb0ENS6_6detail15normal_iteratorINS6_10device_ptrIjEEEESG_NSD_INSE_IS9_EEEESI_jNS0_19identity_decomposerENS1_16block_id_wrapperIjLb0EEEEE10hipError_tT1_PNSt15iterator_traitsISN_E10value_typeET2_T3_PNSO_IST_E10value_typeET4_T5_PSY_SZ_PNS1_23onesweep_lookback_stateEbbT6_jjT7_P12ihipStream_tbENKUlT_T0_SN_SS_E_clIPjSG_PS9_SI_EEDaS16_S17_SN_SS_EUlS16_E_NS1_11comp_targetILNS1_3genE0ELNS1_11target_archE4294967295ELNS1_3gpuE0ELNS1_3repE0EEENS1_47radix_sort_onesweep_sort_config_static_selectorELNS0_4arch9wavefront6targetE0EEEvSN_
    .private_segment_fixed_size: 0
    .sgpr_count:     0
    .sgpr_spill_count: 0
    .symbol:         _ZN7rocprim17ROCPRIM_400000_NS6detail17trampoline_kernelINS0_14default_configENS1_35radix_sort_onesweep_config_selectorIjN6thrust23THRUST_200600_302600_NS5tupleIffNS6_9null_typeES8_S8_S8_S8_S8_S8_S8_EEEEZZNS1_29radix_sort_onesweep_iterationIS3_Lb0ENS6_6detail15normal_iteratorINS6_10device_ptrIjEEEESG_NSD_INSE_IS9_EEEESI_jNS0_19identity_decomposerENS1_16block_id_wrapperIjLb0EEEEE10hipError_tT1_PNSt15iterator_traitsISN_E10value_typeET2_T3_PNSO_IST_E10value_typeET4_T5_PSY_SZ_PNS1_23onesweep_lookback_stateEbbT6_jjT7_P12ihipStream_tbENKUlT_T0_SN_SS_E_clIPjSG_PS9_SI_EEDaS16_S17_SN_SS_EUlS16_E_NS1_11comp_targetILNS1_3genE0ELNS1_11target_archE4294967295ELNS1_3gpuE0ELNS1_3repE0EEENS1_47radix_sort_onesweep_sort_config_static_selectorELNS0_4arch9wavefront6targetE0EEEvSN_.kd
    .uniform_work_group_size: 1
    .uses_dynamic_stack: false
    .vgpr_count:     0
    .vgpr_spill_count: 0
    .wavefront_size: 32
    .workgroup_processor_mode: 1
  - .args:
      - .offset:         0
        .size:           88
        .value_kind:     by_value
    .group_segment_fixed_size: 0
    .kernarg_segment_align: 8
    .kernarg_segment_size: 88
    .language:       OpenCL C
    .language_version:
      - 2
      - 0
    .max_flat_workgroup_size: 1024
    .name:           _ZN7rocprim17ROCPRIM_400000_NS6detail17trampoline_kernelINS0_14default_configENS1_35radix_sort_onesweep_config_selectorIjN6thrust23THRUST_200600_302600_NS5tupleIffNS6_9null_typeES8_S8_S8_S8_S8_S8_S8_EEEEZZNS1_29radix_sort_onesweep_iterationIS3_Lb0ENS6_6detail15normal_iteratorINS6_10device_ptrIjEEEESG_NSD_INSE_IS9_EEEESI_jNS0_19identity_decomposerENS1_16block_id_wrapperIjLb0EEEEE10hipError_tT1_PNSt15iterator_traitsISN_E10value_typeET2_T3_PNSO_IST_E10value_typeET4_T5_PSY_SZ_PNS1_23onesweep_lookback_stateEbbT6_jjT7_P12ihipStream_tbENKUlT_T0_SN_SS_E_clIPjSG_PS9_SI_EEDaS16_S17_SN_SS_EUlS16_E_NS1_11comp_targetILNS1_3genE6ELNS1_11target_archE950ELNS1_3gpuE13ELNS1_3repE0EEENS1_47radix_sort_onesweep_sort_config_static_selectorELNS0_4arch9wavefront6targetE0EEEvSN_
    .private_segment_fixed_size: 0
    .sgpr_count:     0
    .sgpr_spill_count: 0
    .symbol:         _ZN7rocprim17ROCPRIM_400000_NS6detail17trampoline_kernelINS0_14default_configENS1_35radix_sort_onesweep_config_selectorIjN6thrust23THRUST_200600_302600_NS5tupleIffNS6_9null_typeES8_S8_S8_S8_S8_S8_S8_EEEEZZNS1_29radix_sort_onesweep_iterationIS3_Lb0ENS6_6detail15normal_iteratorINS6_10device_ptrIjEEEESG_NSD_INSE_IS9_EEEESI_jNS0_19identity_decomposerENS1_16block_id_wrapperIjLb0EEEEE10hipError_tT1_PNSt15iterator_traitsISN_E10value_typeET2_T3_PNSO_IST_E10value_typeET4_T5_PSY_SZ_PNS1_23onesweep_lookback_stateEbbT6_jjT7_P12ihipStream_tbENKUlT_T0_SN_SS_E_clIPjSG_PS9_SI_EEDaS16_S17_SN_SS_EUlS16_E_NS1_11comp_targetILNS1_3genE6ELNS1_11target_archE950ELNS1_3gpuE13ELNS1_3repE0EEENS1_47radix_sort_onesweep_sort_config_static_selectorELNS0_4arch9wavefront6targetE0EEEvSN_.kd
    .uniform_work_group_size: 1
    .uses_dynamic_stack: false
    .vgpr_count:     0
    .vgpr_spill_count: 0
    .wavefront_size: 32
    .workgroup_processor_mode: 1
  - .args:
      - .offset:         0
        .size:           88
        .value_kind:     by_value
    .group_segment_fixed_size: 0
    .kernarg_segment_align: 8
    .kernarg_segment_size: 88
    .language:       OpenCL C
    .language_version:
      - 2
      - 0
    .max_flat_workgroup_size: 1024
    .name:           _ZN7rocprim17ROCPRIM_400000_NS6detail17trampoline_kernelINS0_14default_configENS1_35radix_sort_onesweep_config_selectorIjN6thrust23THRUST_200600_302600_NS5tupleIffNS6_9null_typeES8_S8_S8_S8_S8_S8_S8_EEEEZZNS1_29radix_sort_onesweep_iterationIS3_Lb0ENS6_6detail15normal_iteratorINS6_10device_ptrIjEEEESG_NSD_INSE_IS9_EEEESI_jNS0_19identity_decomposerENS1_16block_id_wrapperIjLb0EEEEE10hipError_tT1_PNSt15iterator_traitsISN_E10value_typeET2_T3_PNSO_IST_E10value_typeET4_T5_PSY_SZ_PNS1_23onesweep_lookback_stateEbbT6_jjT7_P12ihipStream_tbENKUlT_T0_SN_SS_E_clIPjSG_PS9_SI_EEDaS16_S17_SN_SS_EUlS16_E_NS1_11comp_targetILNS1_3genE5ELNS1_11target_archE942ELNS1_3gpuE9ELNS1_3repE0EEENS1_47radix_sort_onesweep_sort_config_static_selectorELNS0_4arch9wavefront6targetE0EEEvSN_
    .private_segment_fixed_size: 0
    .sgpr_count:     0
    .sgpr_spill_count: 0
    .symbol:         _ZN7rocprim17ROCPRIM_400000_NS6detail17trampoline_kernelINS0_14default_configENS1_35radix_sort_onesweep_config_selectorIjN6thrust23THRUST_200600_302600_NS5tupleIffNS6_9null_typeES8_S8_S8_S8_S8_S8_S8_EEEEZZNS1_29radix_sort_onesweep_iterationIS3_Lb0ENS6_6detail15normal_iteratorINS6_10device_ptrIjEEEESG_NSD_INSE_IS9_EEEESI_jNS0_19identity_decomposerENS1_16block_id_wrapperIjLb0EEEEE10hipError_tT1_PNSt15iterator_traitsISN_E10value_typeET2_T3_PNSO_IST_E10value_typeET4_T5_PSY_SZ_PNS1_23onesweep_lookback_stateEbbT6_jjT7_P12ihipStream_tbENKUlT_T0_SN_SS_E_clIPjSG_PS9_SI_EEDaS16_S17_SN_SS_EUlS16_E_NS1_11comp_targetILNS1_3genE5ELNS1_11target_archE942ELNS1_3gpuE9ELNS1_3repE0EEENS1_47radix_sort_onesweep_sort_config_static_selectorELNS0_4arch9wavefront6targetE0EEEvSN_.kd
    .uniform_work_group_size: 1
    .uses_dynamic_stack: false
    .vgpr_count:     0
    .vgpr_spill_count: 0
    .wavefront_size: 32
    .workgroup_processor_mode: 1
  - .args:
      - .offset:         0
        .size:           88
        .value_kind:     by_value
    .group_segment_fixed_size: 0
    .kernarg_segment_align: 8
    .kernarg_segment_size: 88
    .language:       OpenCL C
    .language_version:
      - 2
      - 0
    .max_flat_workgroup_size: 512
    .name:           _ZN7rocprim17ROCPRIM_400000_NS6detail17trampoline_kernelINS0_14default_configENS1_35radix_sort_onesweep_config_selectorIjN6thrust23THRUST_200600_302600_NS5tupleIffNS6_9null_typeES8_S8_S8_S8_S8_S8_S8_EEEEZZNS1_29radix_sort_onesweep_iterationIS3_Lb0ENS6_6detail15normal_iteratorINS6_10device_ptrIjEEEESG_NSD_INSE_IS9_EEEESI_jNS0_19identity_decomposerENS1_16block_id_wrapperIjLb0EEEEE10hipError_tT1_PNSt15iterator_traitsISN_E10value_typeET2_T3_PNSO_IST_E10value_typeET4_T5_PSY_SZ_PNS1_23onesweep_lookback_stateEbbT6_jjT7_P12ihipStream_tbENKUlT_T0_SN_SS_E_clIPjSG_PS9_SI_EEDaS16_S17_SN_SS_EUlS16_E_NS1_11comp_targetILNS1_3genE2ELNS1_11target_archE906ELNS1_3gpuE6ELNS1_3repE0EEENS1_47radix_sort_onesweep_sort_config_static_selectorELNS0_4arch9wavefront6targetE0EEEvSN_
    .private_segment_fixed_size: 0
    .sgpr_count:     0
    .sgpr_spill_count: 0
    .symbol:         _ZN7rocprim17ROCPRIM_400000_NS6detail17trampoline_kernelINS0_14default_configENS1_35radix_sort_onesweep_config_selectorIjN6thrust23THRUST_200600_302600_NS5tupleIffNS6_9null_typeES8_S8_S8_S8_S8_S8_S8_EEEEZZNS1_29radix_sort_onesweep_iterationIS3_Lb0ENS6_6detail15normal_iteratorINS6_10device_ptrIjEEEESG_NSD_INSE_IS9_EEEESI_jNS0_19identity_decomposerENS1_16block_id_wrapperIjLb0EEEEE10hipError_tT1_PNSt15iterator_traitsISN_E10value_typeET2_T3_PNSO_IST_E10value_typeET4_T5_PSY_SZ_PNS1_23onesweep_lookback_stateEbbT6_jjT7_P12ihipStream_tbENKUlT_T0_SN_SS_E_clIPjSG_PS9_SI_EEDaS16_S17_SN_SS_EUlS16_E_NS1_11comp_targetILNS1_3genE2ELNS1_11target_archE906ELNS1_3gpuE6ELNS1_3repE0EEENS1_47radix_sort_onesweep_sort_config_static_selectorELNS0_4arch9wavefront6targetE0EEEvSN_.kd
    .uniform_work_group_size: 1
    .uses_dynamic_stack: false
    .vgpr_count:     0
    .vgpr_spill_count: 0
    .wavefront_size: 32
    .workgroup_processor_mode: 1
  - .args:
      - .offset:         0
        .size:           88
        .value_kind:     by_value
    .group_segment_fixed_size: 0
    .kernarg_segment_align: 8
    .kernarg_segment_size: 88
    .language:       OpenCL C
    .language_version:
      - 2
      - 0
    .max_flat_workgroup_size: 512
    .name:           _ZN7rocprim17ROCPRIM_400000_NS6detail17trampoline_kernelINS0_14default_configENS1_35radix_sort_onesweep_config_selectorIjN6thrust23THRUST_200600_302600_NS5tupleIffNS6_9null_typeES8_S8_S8_S8_S8_S8_S8_EEEEZZNS1_29radix_sort_onesweep_iterationIS3_Lb0ENS6_6detail15normal_iteratorINS6_10device_ptrIjEEEESG_NSD_INSE_IS9_EEEESI_jNS0_19identity_decomposerENS1_16block_id_wrapperIjLb0EEEEE10hipError_tT1_PNSt15iterator_traitsISN_E10value_typeET2_T3_PNSO_IST_E10value_typeET4_T5_PSY_SZ_PNS1_23onesweep_lookback_stateEbbT6_jjT7_P12ihipStream_tbENKUlT_T0_SN_SS_E_clIPjSG_PS9_SI_EEDaS16_S17_SN_SS_EUlS16_E_NS1_11comp_targetILNS1_3genE4ELNS1_11target_archE910ELNS1_3gpuE8ELNS1_3repE0EEENS1_47radix_sort_onesweep_sort_config_static_selectorELNS0_4arch9wavefront6targetE0EEEvSN_
    .private_segment_fixed_size: 0
    .sgpr_count:     0
    .sgpr_spill_count: 0
    .symbol:         _ZN7rocprim17ROCPRIM_400000_NS6detail17trampoline_kernelINS0_14default_configENS1_35radix_sort_onesweep_config_selectorIjN6thrust23THRUST_200600_302600_NS5tupleIffNS6_9null_typeES8_S8_S8_S8_S8_S8_S8_EEEEZZNS1_29radix_sort_onesweep_iterationIS3_Lb0ENS6_6detail15normal_iteratorINS6_10device_ptrIjEEEESG_NSD_INSE_IS9_EEEESI_jNS0_19identity_decomposerENS1_16block_id_wrapperIjLb0EEEEE10hipError_tT1_PNSt15iterator_traitsISN_E10value_typeET2_T3_PNSO_IST_E10value_typeET4_T5_PSY_SZ_PNS1_23onesweep_lookback_stateEbbT6_jjT7_P12ihipStream_tbENKUlT_T0_SN_SS_E_clIPjSG_PS9_SI_EEDaS16_S17_SN_SS_EUlS16_E_NS1_11comp_targetILNS1_3genE4ELNS1_11target_archE910ELNS1_3gpuE8ELNS1_3repE0EEENS1_47radix_sort_onesweep_sort_config_static_selectorELNS0_4arch9wavefront6targetE0EEEvSN_.kd
    .uniform_work_group_size: 1
    .uses_dynamic_stack: false
    .vgpr_count:     0
    .vgpr_spill_count: 0
    .wavefront_size: 32
    .workgroup_processor_mode: 1
  - .args:
      - .offset:         0
        .size:           88
        .value_kind:     by_value
    .group_segment_fixed_size: 0
    .kernarg_segment_align: 8
    .kernarg_segment_size: 88
    .language:       OpenCL C
    .language_version:
      - 2
      - 0
    .max_flat_workgroup_size: 512
    .name:           _ZN7rocprim17ROCPRIM_400000_NS6detail17trampoline_kernelINS0_14default_configENS1_35radix_sort_onesweep_config_selectorIjN6thrust23THRUST_200600_302600_NS5tupleIffNS6_9null_typeES8_S8_S8_S8_S8_S8_S8_EEEEZZNS1_29radix_sort_onesweep_iterationIS3_Lb0ENS6_6detail15normal_iteratorINS6_10device_ptrIjEEEESG_NSD_INSE_IS9_EEEESI_jNS0_19identity_decomposerENS1_16block_id_wrapperIjLb0EEEEE10hipError_tT1_PNSt15iterator_traitsISN_E10value_typeET2_T3_PNSO_IST_E10value_typeET4_T5_PSY_SZ_PNS1_23onesweep_lookback_stateEbbT6_jjT7_P12ihipStream_tbENKUlT_T0_SN_SS_E_clIPjSG_PS9_SI_EEDaS16_S17_SN_SS_EUlS16_E_NS1_11comp_targetILNS1_3genE3ELNS1_11target_archE908ELNS1_3gpuE7ELNS1_3repE0EEENS1_47radix_sort_onesweep_sort_config_static_selectorELNS0_4arch9wavefront6targetE0EEEvSN_
    .private_segment_fixed_size: 0
    .sgpr_count:     0
    .sgpr_spill_count: 0
    .symbol:         _ZN7rocprim17ROCPRIM_400000_NS6detail17trampoline_kernelINS0_14default_configENS1_35radix_sort_onesweep_config_selectorIjN6thrust23THRUST_200600_302600_NS5tupleIffNS6_9null_typeES8_S8_S8_S8_S8_S8_S8_EEEEZZNS1_29radix_sort_onesweep_iterationIS3_Lb0ENS6_6detail15normal_iteratorINS6_10device_ptrIjEEEESG_NSD_INSE_IS9_EEEESI_jNS0_19identity_decomposerENS1_16block_id_wrapperIjLb0EEEEE10hipError_tT1_PNSt15iterator_traitsISN_E10value_typeET2_T3_PNSO_IST_E10value_typeET4_T5_PSY_SZ_PNS1_23onesweep_lookback_stateEbbT6_jjT7_P12ihipStream_tbENKUlT_T0_SN_SS_E_clIPjSG_PS9_SI_EEDaS16_S17_SN_SS_EUlS16_E_NS1_11comp_targetILNS1_3genE3ELNS1_11target_archE908ELNS1_3gpuE7ELNS1_3repE0EEENS1_47radix_sort_onesweep_sort_config_static_selectorELNS0_4arch9wavefront6targetE0EEEvSN_.kd
    .uniform_work_group_size: 1
    .uses_dynamic_stack: false
    .vgpr_count:     0
    .vgpr_spill_count: 0
    .wavefront_size: 32
    .workgroup_processor_mode: 1
  - .args:
      - .offset:         0
        .size:           88
        .value_kind:     by_value
    .group_segment_fixed_size: 0
    .kernarg_segment_align: 8
    .kernarg_segment_size: 88
    .language:       OpenCL C
    .language_version:
      - 2
      - 0
    .max_flat_workgroup_size: 1024
    .name:           _ZN7rocprim17ROCPRIM_400000_NS6detail17trampoline_kernelINS0_14default_configENS1_35radix_sort_onesweep_config_selectorIjN6thrust23THRUST_200600_302600_NS5tupleIffNS6_9null_typeES8_S8_S8_S8_S8_S8_S8_EEEEZZNS1_29radix_sort_onesweep_iterationIS3_Lb0ENS6_6detail15normal_iteratorINS6_10device_ptrIjEEEESG_NSD_INSE_IS9_EEEESI_jNS0_19identity_decomposerENS1_16block_id_wrapperIjLb0EEEEE10hipError_tT1_PNSt15iterator_traitsISN_E10value_typeET2_T3_PNSO_IST_E10value_typeET4_T5_PSY_SZ_PNS1_23onesweep_lookback_stateEbbT6_jjT7_P12ihipStream_tbENKUlT_T0_SN_SS_E_clIPjSG_PS9_SI_EEDaS16_S17_SN_SS_EUlS16_E_NS1_11comp_targetILNS1_3genE10ELNS1_11target_archE1201ELNS1_3gpuE5ELNS1_3repE0EEENS1_47radix_sort_onesweep_sort_config_static_selectorELNS0_4arch9wavefront6targetE0EEEvSN_
    .private_segment_fixed_size: 0
    .sgpr_count:     0
    .sgpr_spill_count: 0
    .symbol:         _ZN7rocprim17ROCPRIM_400000_NS6detail17trampoline_kernelINS0_14default_configENS1_35radix_sort_onesweep_config_selectorIjN6thrust23THRUST_200600_302600_NS5tupleIffNS6_9null_typeES8_S8_S8_S8_S8_S8_S8_EEEEZZNS1_29radix_sort_onesweep_iterationIS3_Lb0ENS6_6detail15normal_iteratorINS6_10device_ptrIjEEEESG_NSD_INSE_IS9_EEEESI_jNS0_19identity_decomposerENS1_16block_id_wrapperIjLb0EEEEE10hipError_tT1_PNSt15iterator_traitsISN_E10value_typeET2_T3_PNSO_IST_E10value_typeET4_T5_PSY_SZ_PNS1_23onesweep_lookback_stateEbbT6_jjT7_P12ihipStream_tbENKUlT_T0_SN_SS_E_clIPjSG_PS9_SI_EEDaS16_S17_SN_SS_EUlS16_E_NS1_11comp_targetILNS1_3genE10ELNS1_11target_archE1201ELNS1_3gpuE5ELNS1_3repE0EEENS1_47radix_sort_onesweep_sort_config_static_selectorELNS0_4arch9wavefront6targetE0EEEvSN_.kd
    .uniform_work_group_size: 1
    .uses_dynamic_stack: false
    .vgpr_count:     0
    .vgpr_spill_count: 0
    .wavefront_size: 32
    .workgroup_processor_mode: 1
  - .args:
      - .offset:         0
        .size:           88
        .value_kind:     by_value
    .group_segment_fixed_size: 0
    .kernarg_segment_align: 8
    .kernarg_segment_size: 88
    .language:       OpenCL C
    .language_version:
      - 2
      - 0
    .max_flat_workgroup_size: 1024
    .name:           _ZN7rocprim17ROCPRIM_400000_NS6detail17trampoline_kernelINS0_14default_configENS1_35radix_sort_onesweep_config_selectorIjN6thrust23THRUST_200600_302600_NS5tupleIffNS6_9null_typeES8_S8_S8_S8_S8_S8_S8_EEEEZZNS1_29radix_sort_onesweep_iterationIS3_Lb0ENS6_6detail15normal_iteratorINS6_10device_ptrIjEEEESG_NSD_INSE_IS9_EEEESI_jNS0_19identity_decomposerENS1_16block_id_wrapperIjLb0EEEEE10hipError_tT1_PNSt15iterator_traitsISN_E10value_typeET2_T3_PNSO_IST_E10value_typeET4_T5_PSY_SZ_PNS1_23onesweep_lookback_stateEbbT6_jjT7_P12ihipStream_tbENKUlT_T0_SN_SS_E_clIPjSG_PS9_SI_EEDaS16_S17_SN_SS_EUlS16_E_NS1_11comp_targetILNS1_3genE9ELNS1_11target_archE1100ELNS1_3gpuE3ELNS1_3repE0EEENS1_47radix_sort_onesweep_sort_config_static_selectorELNS0_4arch9wavefront6targetE0EEEvSN_
    .private_segment_fixed_size: 0
    .sgpr_count:     0
    .sgpr_spill_count: 0
    .symbol:         _ZN7rocprim17ROCPRIM_400000_NS6detail17trampoline_kernelINS0_14default_configENS1_35radix_sort_onesweep_config_selectorIjN6thrust23THRUST_200600_302600_NS5tupleIffNS6_9null_typeES8_S8_S8_S8_S8_S8_S8_EEEEZZNS1_29radix_sort_onesweep_iterationIS3_Lb0ENS6_6detail15normal_iteratorINS6_10device_ptrIjEEEESG_NSD_INSE_IS9_EEEESI_jNS0_19identity_decomposerENS1_16block_id_wrapperIjLb0EEEEE10hipError_tT1_PNSt15iterator_traitsISN_E10value_typeET2_T3_PNSO_IST_E10value_typeET4_T5_PSY_SZ_PNS1_23onesweep_lookback_stateEbbT6_jjT7_P12ihipStream_tbENKUlT_T0_SN_SS_E_clIPjSG_PS9_SI_EEDaS16_S17_SN_SS_EUlS16_E_NS1_11comp_targetILNS1_3genE9ELNS1_11target_archE1100ELNS1_3gpuE3ELNS1_3repE0EEENS1_47radix_sort_onesweep_sort_config_static_selectorELNS0_4arch9wavefront6targetE0EEEvSN_.kd
    .uniform_work_group_size: 1
    .uses_dynamic_stack: false
    .vgpr_count:     0
    .vgpr_spill_count: 0
    .wavefront_size: 32
    .workgroup_processor_mode: 1
  - .args:
      - .offset:         0
        .size:           88
        .value_kind:     by_value
      - .offset:         88
        .size:           4
        .value_kind:     hidden_block_count_x
      - .offset:         92
        .size:           4
        .value_kind:     hidden_block_count_y
      - .offset:         96
        .size:           4
        .value_kind:     hidden_block_count_z
      - .offset:         100
        .size:           2
        .value_kind:     hidden_group_size_x
      - .offset:         102
        .size:           2
        .value_kind:     hidden_group_size_y
      - .offset:         104
        .size:           2
        .value_kind:     hidden_group_size_z
      - .offset:         106
        .size:           2
        .value_kind:     hidden_remainder_x
      - .offset:         108
        .size:           2
        .value_kind:     hidden_remainder_y
      - .offset:         110
        .size:           2
        .value_kind:     hidden_remainder_z
      - .offset:         128
        .size:           8
        .value_kind:     hidden_global_offset_x
      - .offset:         136
        .size:           8
        .value_kind:     hidden_global_offset_y
      - .offset:         144
        .size:           8
        .value_kind:     hidden_global_offset_z
      - .offset:         152
        .size:           2
        .value_kind:     hidden_grid_dims
    .group_segment_fixed_size: 37000
    .kernarg_segment_align: 8
    .kernarg_segment_size: 344
    .language:       OpenCL C
    .language_version:
      - 2
      - 0
    .max_flat_workgroup_size: 1024
    .name:           _ZN7rocprim17ROCPRIM_400000_NS6detail17trampoline_kernelINS0_14default_configENS1_35radix_sort_onesweep_config_selectorIjN6thrust23THRUST_200600_302600_NS5tupleIffNS6_9null_typeES8_S8_S8_S8_S8_S8_S8_EEEEZZNS1_29radix_sort_onesweep_iterationIS3_Lb0ENS6_6detail15normal_iteratorINS6_10device_ptrIjEEEESG_NSD_INSE_IS9_EEEESI_jNS0_19identity_decomposerENS1_16block_id_wrapperIjLb0EEEEE10hipError_tT1_PNSt15iterator_traitsISN_E10value_typeET2_T3_PNSO_IST_E10value_typeET4_T5_PSY_SZ_PNS1_23onesweep_lookback_stateEbbT6_jjT7_P12ihipStream_tbENKUlT_T0_SN_SS_E_clIPjSG_PS9_SI_EEDaS16_S17_SN_SS_EUlS16_E_NS1_11comp_targetILNS1_3genE8ELNS1_11target_archE1030ELNS1_3gpuE2ELNS1_3repE0EEENS1_47radix_sort_onesweep_sort_config_static_selectorELNS0_4arch9wavefront6targetE0EEEvSN_
    .private_segment_fixed_size: 0
    .sgpr_count:     38
    .sgpr_spill_count: 0
    .symbol:         _ZN7rocprim17ROCPRIM_400000_NS6detail17trampoline_kernelINS0_14default_configENS1_35radix_sort_onesweep_config_selectorIjN6thrust23THRUST_200600_302600_NS5tupleIffNS6_9null_typeES8_S8_S8_S8_S8_S8_S8_EEEEZZNS1_29radix_sort_onesweep_iterationIS3_Lb0ENS6_6detail15normal_iteratorINS6_10device_ptrIjEEEESG_NSD_INSE_IS9_EEEESI_jNS0_19identity_decomposerENS1_16block_id_wrapperIjLb0EEEEE10hipError_tT1_PNSt15iterator_traitsISN_E10value_typeET2_T3_PNSO_IST_E10value_typeET4_T5_PSY_SZ_PNS1_23onesweep_lookback_stateEbbT6_jjT7_P12ihipStream_tbENKUlT_T0_SN_SS_E_clIPjSG_PS9_SI_EEDaS16_S17_SN_SS_EUlS16_E_NS1_11comp_targetILNS1_3genE8ELNS1_11target_archE1030ELNS1_3gpuE2ELNS1_3repE0EEENS1_47radix_sort_onesweep_sort_config_static_selectorELNS0_4arch9wavefront6targetE0EEEvSN_.kd
    .uniform_work_group_size: 1
    .uses_dynamic_stack: false
    .vgpr_count:     37
    .vgpr_spill_count: 0
    .wavefront_size: 32
    .workgroup_processor_mode: 1
  - .args:
      - .offset:         0
        .size:           24
        .value_kind:     by_value
      - .offset:         24
        .size:           8
        .value_kind:     by_value
      - .offset:         32
        .size:           8
        .value_kind:     by_value
    .group_segment_fixed_size: 0
    .kernarg_segment_align: 8
    .kernarg_segment_size: 40
    .language:       OpenCL C
    .language_version:
      - 2
      - 0
    .max_flat_workgroup_size: 256
    .name:           _ZN6thrust23THRUST_200600_302600_NS11hip_rocprim14__parallel_for6kernelILj256ENS1_11__transform17unary_transform_fINS0_10device_ptrINS0_5tupleIffNS0_9null_typeES8_S8_S8_S8_S8_S8_S8_EEEESA_NS4_14no_stencil_tagENS0_8identityIS9_EENS4_21always_true_predicateEEElLj1EEEvT0_T1_SH_
    .private_segment_fixed_size: 0
    .sgpr_count:     14
    .sgpr_spill_count: 0
    .symbol:         _ZN6thrust23THRUST_200600_302600_NS11hip_rocprim14__parallel_for6kernelILj256ENS1_11__transform17unary_transform_fINS0_10device_ptrINS0_5tupleIffNS0_9null_typeES8_S8_S8_S8_S8_S8_S8_EEEESA_NS4_14no_stencil_tagENS0_8identityIS9_EENS4_21always_true_predicateEEElLj1EEEvT0_T1_SH_.kd
    .uniform_work_group_size: 1
    .uses_dynamic_stack: false
    .vgpr_count:     5
    .vgpr_spill_count: 0
    .wavefront_size: 32
    .workgroup_processor_mode: 1
  - .args:
      - .offset:         0
        .size:           56
        .value_kind:     by_value
    .group_segment_fixed_size: 0
    .kernarg_segment_align: 8
    .kernarg_segment_size: 56
    .language:       OpenCL C
    .language_version:
      - 2
      - 0
    .max_flat_workgroup_size: 64
    .name:           _ZN7rocprim17ROCPRIM_400000_NS6detail17trampoline_kernelINS0_14default_configENS1_27lower_bound_config_selectorIjjEEZNS1_14transform_implILb0ES3_S5_N6thrust23THRUST_200600_302600_NS17counting_iteratorIjNS8_11use_defaultESA_SA_EENS8_6detail15normal_iteratorINS8_10device_ptrIjEEEEZNS1_13binary_searchIS3_S5_SG_SB_SG_NS1_21lower_bound_search_opENSC_16wrapped_functionINS0_4lessIvEEbEEEE10hipError_tPvRmT1_T2_T3_mmT4_T5_P12ihipStream_tbEUlRKjE_EESN_SR_SS_mST_SW_bEUlT_E_NS1_11comp_targetILNS1_3genE0ELNS1_11target_archE4294967295ELNS1_3gpuE0ELNS1_3repE0EEENS1_30default_config_static_selectorELNS0_4arch9wavefront6targetE0EEEvSQ_
    .private_segment_fixed_size: 0
    .sgpr_count:     0
    .sgpr_spill_count: 0
    .symbol:         _ZN7rocprim17ROCPRIM_400000_NS6detail17trampoline_kernelINS0_14default_configENS1_27lower_bound_config_selectorIjjEEZNS1_14transform_implILb0ES3_S5_N6thrust23THRUST_200600_302600_NS17counting_iteratorIjNS8_11use_defaultESA_SA_EENS8_6detail15normal_iteratorINS8_10device_ptrIjEEEEZNS1_13binary_searchIS3_S5_SG_SB_SG_NS1_21lower_bound_search_opENSC_16wrapped_functionINS0_4lessIvEEbEEEE10hipError_tPvRmT1_T2_T3_mmT4_T5_P12ihipStream_tbEUlRKjE_EESN_SR_SS_mST_SW_bEUlT_E_NS1_11comp_targetILNS1_3genE0ELNS1_11target_archE4294967295ELNS1_3gpuE0ELNS1_3repE0EEENS1_30default_config_static_selectorELNS0_4arch9wavefront6targetE0EEEvSQ_.kd
    .uniform_work_group_size: 1
    .uses_dynamic_stack: false
    .vgpr_count:     0
    .vgpr_spill_count: 0
    .wavefront_size: 32
    .workgroup_processor_mode: 1
  - .args:
      - .offset:         0
        .size:           56
        .value_kind:     by_value
    .group_segment_fixed_size: 0
    .kernarg_segment_align: 8
    .kernarg_segment_size: 56
    .language:       OpenCL C
    .language_version:
      - 2
      - 0
    .max_flat_workgroup_size: 256
    .name:           _ZN7rocprim17ROCPRIM_400000_NS6detail17trampoline_kernelINS0_14default_configENS1_27lower_bound_config_selectorIjjEEZNS1_14transform_implILb0ES3_S5_N6thrust23THRUST_200600_302600_NS17counting_iteratorIjNS8_11use_defaultESA_SA_EENS8_6detail15normal_iteratorINS8_10device_ptrIjEEEEZNS1_13binary_searchIS3_S5_SG_SB_SG_NS1_21lower_bound_search_opENSC_16wrapped_functionINS0_4lessIvEEbEEEE10hipError_tPvRmT1_T2_T3_mmT4_T5_P12ihipStream_tbEUlRKjE_EESN_SR_SS_mST_SW_bEUlT_E_NS1_11comp_targetILNS1_3genE5ELNS1_11target_archE942ELNS1_3gpuE9ELNS1_3repE0EEENS1_30default_config_static_selectorELNS0_4arch9wavefront6targetE0EEEvSQ_
    .private_segment_fixed_size: 0
    .sgpr_count:     0
    .sgpr_spill_count: 0
    .symbol:         _ZN7rocprim17ROCPRIM_400000_NS6detail17trampoline_kernelINS0_14default_configENS1_27lower_bound_config_selectorIjjEEZNS1_14transform_implILb0ES3_S5_N6thrust23THRUST_200600_302600_NS17counting_iteratorIjNS8_11use_defaultESA_SA_EENS8_6detail15normal_iteratorINS8_10device_ptrIjEEEEZNS1_13binary_searchIS3_S5_SG_SB_SG_NS1_21lower_bound_search_opENSC_16wrapped_functionINS0_4lessIvEEbEEEE10hipError_tPvRmT1_T2_T3_mmT4_T5_P12ihipStream_tbEUlRKjE_EESN_SR_SS_mST_SW_bEUlT_E_NS1_11comp_targetILNS1_3genE5ELNS1_11target_archE942ELNS1_3gpuE9ELNS1_3repE0EEENS1_30default_config_static_selectorELNS0_4arch9wavefront6targetE0EEEvSQ_.kd
    .uniform_work_group_size: 1
    .uses_dynamic_stack: false
    .vgpr_count:     0
    .vgpr_spill_count: 0
    .wavefront_size: 32
    .workgroup_processor_mode: 1
  - .args:
      - .offset:         0
        .size:           56
        .value_kind:     by_value
    .group_segment_fixed_size: 0
    .kernarg_segment_align: 8
    .kernarg_segment_size: 56
    .language:       OpenCL C
    .language_version:
      - 2
      - 0
    .max_flat_workgroup_size: 256
    .name:           _ZN7rocprim17ROCPRIM_400000_NS6detail17trampoline_kernelINS0_14default_configENS1_27lower_bound_config_selectorIjjEEZNS1_14transform_implILb0ES3_S5_N6thrust23THRUST_200600_302600_NS17counting_iteratorIjNS8_11use_defaultESA_SA_EENS8_6detail15normal_iteratorINS8_10device_ptrIjEEEEZNS1_13binary_searchIS3_S5_SG_SB_SG_NS1_21lower_bound_search_opENSC_16wrapped_functionINS0_4lessIvEEbEEEE10hipError_tPvRmT1_T2_T3_mmT4_T5_P12ihipStream_tbEUlRKjE_EESN_SR_SS_mST_SW_bEUlT_E_NS1_11comp_targetILNS1_3genE4ELNS1_11target_archE910ELNS1_3gpuE8ELNS1_3repE0EEENS1_30default_config_static_selectorELNS0_4arch9wavefront6targetE0EEEvSQ_
    .private_segment_fixed_size: 0
    .sgpr_count:     0
    .sgpr_spill_count: 0
    .symbol:         _ZN7rocprim17ROCPRIM_400000_NS6detail17trampoline_kernelINS0_14default_configENS1_27lower_bound_config_selectorIjjEEZNS1_14transform_implILb0ES3_S5_N6thrust23THRUST_200600_302600_NS17counting_iteratorIjNS8_11use_defaultESA_SA_EENS8_6detail15normal_iteratorINS8_10device_ptrIjEEEEZNS1_13binary_searchIS3_S5_SG_SB_SG_NS1_21lower_bound_search_opENSC_16wrapped_functionINS0_4lessIvEEbEEEE10hipError_tPvRmT1_T2_T3_mmT4_T5_P12ihipStream_tbEUlRKjE_EESN_SR_SS_mST_SW_bEUlT_E_NS1_11comp_targetILNS1_3genE4ELNS1_11target_archE910ELNS1_3gpuE8ELNS1_3repE0EEENS1_30default_config_static_selectorELNS0_4arch9wavefront6targetE0EEEvSQ_.kd
    .uniform_work_group_size: 1
    .uses_dynamic_stack: false
    .vgpr_count:     0
    .vgpr_spill_count: 0
    .wavefront_size: 32
    .workgroup_processor_mode: 1
  - .args:
      - .offset:         0
        .size:           56
        .value_kind:     by_value
    .group_segment_fixed_size: 0
    .kernarg_segment_align: 8
    .kernarg_segment_size: 56
    .language:       OpenCL C
    .language_version:
      - 2
      - 0
    .max_flat_workgroup_size: 64
    .name:           _ZN7rocprim17ROCPRIM_400000_NS6detail17trampoline_kernelINS0_14default_configENS1_27lower_bound_config_selectorIjjEEZNS1_14transform_implILb0ES3_S5_N6thrust23THRUST_200600_302600_NS17counting_iteratorIjNS8_11use_defaultESA_SA_EENS8_6detail15normal_iteratorINS8_10device_ptrIjEEEEZNS1_13binary_searchIS3_S5_SG_SB_SG_NS1_21lower_bound_search_opENSC_16wrapped_functionINS0_4lessIvEEbEEEE10hipError_tPvRmT1_T2_T3_mmT4_T5_P12ihipStream_tbEUlRKjE_EESN_SR_SS_mST_SW_bEUlT_E_NS1_11comp_targetILNS1_3genE3ELNS1_11target_archE908ELNS1_3gpuE7ELNS1_3repE0EEENS1_30default_config_static_selectorELNS0_4arch9wavefront6targetE0EEEvSQ_
    .private_segment_fixed_size: 0
    .sgpr_count:     0
    .sgpr_spill_count: 0
    .symbol:         _ZN7rocprim17ROCPRIM_400000_NS6detail17trampoline_kernelINS0_14default_configENS1_27lower_bound_config_selectorIjjEEZNS1_14transform_implILb0ES3_S5_N6thrust23THRUST_200600_302600_NS17counting_iteratorIjNS8_11use_defaultESA_SA_EENS8_6detail15normal_iteratorINS8_10device_ptrIjEEEEZNS1_13binary_searchIS3_S5_SG_SB_SG_NS1_21lower_bound_search_opENSC_16wrapped_functionINS0_4lessIvEEbEEEE10hipError_tPvRmT1_T2_T3_mmT4_T5_P12ihipStream_tbEUlRKjE_EESN_SR_SS_mST_SW_bEUlT_E_NS1_11comp_targetILNS1_3genE3ELNS1_11target_archE908ELNS1_3gpuE7ELNS1_3repE0EEENS1_30default_config_static_selectorELNS0_4arch9wavefront6targetE0EEEvSQ_.kd
    .uniform_work_group_size: 1
    .uses_dynamic_stack: false
    .vgpr_count:     0
    .vgpr_spill_count: 0
    .wavefront_size: 32
    .workgroup_processor_mode: 1
  - .args:
      - .offset:         0
        .size:           56
        .value_kind:     by_value
    .group_segment_fixed_size: 0
    .kernarg_segment_align: 8
    .kernarg_segment_size: 56
    .language:       OpenCL C
    .language_version:
      - 2
      - 0
    .max_flat_workgroup_size: 256
    .name:           _ZN7rocprim17ROCPRIM_400000_NS6detail17trampoline_kernelINS0_14default_configENS1_27lower_bound_config_selectorIjjEEZNS1_14transform_implILb0ES3_S5_N6thrust23THRUST_200600_302600_NS17counting_iteratorIjNS8_11use_defaultESA_SA_EENS8_6detail15normal_iteratorINS8_10device_ptrIjEEEEZNS1_13binary_searchIS3_S5_SG_SB_SG_NS1_21lower_bound_search_opENSC_16wrapped_functionINS0_4lessIvEEbEEEE10hipError_tPvRmT1_T2_T3_mmT4_T5_P12ihipStream_tbEUlRKjE_EESN_SR_SS_mST_SW_bEUlT_E_NS1_11comp_targetILNS1_3genE2ELNS1_11target_archE906ELNS1_3gpuE6ELNS1_3repE0EEENS1_30default_config_static_selectorELNS0_4arch9wavefront6targetE0EEEvSQ_
    .private_segment_fixed_size: 0
    .sgpr_count:     0
    .sgpr_spill_count: 0
    .symbol:         _ZN7rocprim17ROCPRIM_400000_NS6detail17trampoline_kernelINS0_14default_configENS1_27lower_bound_config_selectorIjjEEZNS1_14transform_implILb0ES3_S5_N6thrust23THRUST_200600_302600_NS17counting_iteratorIjNS8_11use_defaultESA_SA_EENS8_6detail15normal_iteratorINS8_10device_ptrIjEEEEZNS1_13binary_searchIS3_S5_SG_SB_SG_NS1_21lower_bound_search_opENSC_16wrapped_functionINS0_4lessIvEEbEEEE10hipError_tPvRmT1_T2_T3_mmT4_T5_P12ihipStream_tbEUlRKjE_EESN_SR_SS_mST_SW_bEUlT_E_NS1_11comp_targetILNS1_3genE2ELNS1_11target_archE906ELNS1_3gpuE6ELNS1_3repE0EEENS1_30default_config_static_selectorELNS0_4arch9wavefront6targetE0EEEvSQ_.kd
    .uniform_work_group_size: 1
    .uses_dynamic_stack: false
    .vgpr_count:     0
    .vgpr_spill_count: 0
    .wavefront_size: 32
    .workgroup_processor_mode: 1
  - .args:
      - .offset:         0
        .size:           56
        .value_kind:     by_value
    .group_segment_fixed_size: 0
    .kernarg_segment_align: 8
    .kernarg_segment_size: 56
    .language:       OpenCL C
    .language_version:
      - 2
      - 0
    .max_flat_workgroup_size: 128
    .name:           _ZN7rocprim17ROCPRIM_400000_NS6detail17trampoline_kernelINS0_14default_configENS1_27lower_bound_config_selectorIjjEEZNS1_14transform_implILb0ES3_S5_N6thrust23THRUST_200600_302600_NS17counting_iteratorIjNS8_11use_defaultESA_SA_EENS8_6detail15normal_iteratorINS8_10device_ptrIjEEEEZNS1_13binary_searchIS3_S5_SG_SB_SG_NS1_21lower_bound_search_opENSC_16wrapped_functionINS0_4lessIvEEbEEEE10hipError_tPvRmT1_T2_T3_mmT4_T5_P12ihipStream_tbEUlRKjE_EESN_SR_SS_mST_SW_bEUlT_E_NS1_11comp_targetILNS1_3genE10ELNS1_11target_archE1201ELNS1_3gpuE5ELNS1_3repE0EEENS1_30default_config_static_selectorELNS0_4arch9wavefront6targetE0EEEvSQ_
    .private_segment_fixed_size: 0
    .sgpr_count:     0
    .sgpr_spill_count: 0
    .symbol:         _ZN7rocprim17ROCPRIM_400000_NS6detail17trampoline_kernelINS0_14default_configENS1_27lower_bound_config_selectorIjjEEZNS1_14transform_implILb0ES3_S5_N6thrust23THRUST_200600_302600_NS17counting_iteratorIjNS8_11use_defaultESA_SA_EENS8_6detail15normal_iteratorINS8_10device_ptrIjEEEEZNS1_13binary_searchIS3_S5_SG_SB_SG_NS1_21lower_bound_search_opENSC_16wrapped_functionINS0_4lessIvEEbEEEE10hipError_tPvRmT1_T2_T3_mmT4_T5_P12ihipStream_tbEUlRKjE_EESN_SR_SS_mST_SW_bEUlT_E_NS1_11comp_targetILNS1_3genE10ELNS1_11target_archE1201ELNS1_3gpuE5ELNS1_3repE0EEENS1_30default_config_static_selectorELNS0_4arch9wavefront6targetE0EEEvSQ_.kd
    .uniform_work_group_size: 1
    .uses_dynamic_stack: false
    .vgpr_count:     0
    .vgpr_spill_count: 0
    .wavefront_size: 32
    .workgroup_processor_mode: 1
  - .args:
      - .offset:         0
        .size:           56
        .value_kind:     by_value
    .group_segment_fixed_size: 0
    .kernarg_segment_align: 8
    .kernarg_segment_size: 56
    .language:       OpenCL C
    .language_version:
      - 2
      - 0
    .max_flat_workgroup_size: 128
    .name:           _ZN7rocprim17ROCPRIM_400000_NS6detail17trampoline_kernelINS0_14default_configENS1_27lower_bound_config_selectorIjjEEZNS1_14transform_implILb0ES3_S5_N6thrust23THRUST_200600_302600_NS17counting_iteratorIjNS8_11use_defaultESA_SA_EENS8_6detail15normal_iteratorINS8_10device_ptrIjEEEEZNS1_13binary_searchIS3_S5_SG_SB_SG_NS1_21lower_bound_search_opENSC_16wrapped_functionINS0_4lessIvEEbEEEE10hipError_tPvRmT1_T2_T3_mmT4_T5_P12ihipStream_tbEUlRKjE_EESN_SR_SS_mST_SW_bEUlT_E_NS1_11comp_targetILNS1_3genE10ELNS1_11target_archE1200ELNS1_3gpuE4ELNS1_3repE0EEENS1_30default_config_static_selectorELNS0_4arch9wavefront6targetE0EEEvSQ_
    .private_segment_fixed_size: 0
    .sgpr_count:     0
    .sgpr_spill_count: 0
    .symbol:         _ZN7rocprim17ROCPRIM_400000_NS6detail17trampoline_kernelINS0_14default_configENS1_27lower_bound_config_selectorIjjEEZNS1_14transform_implILb0ES3_S5_N6thrust23THRUST_200600_302600_NS17counting_iteratorIjNS8_11use_defaultESA_SA_EENS8_6detail15normal_iteratorINS8_10device_ptrIjEEEEZNS1_13binary_searchIS3_S5_SG_SB_SG_NS1_21lower_bound_search_opENSC_16wrapped_functionINS0_4lessIvEEbEEEE10hipError_tPvRmT1_T2_T3_mmT4_T5_P12ihipStream_tbEUlRKjE_EESN_SR_SS_mST_SW_bEUlT_E_NS1_11comp_targetILNS1_3genE10ELNS1_11target_archE1200ELNS1_3gpuE4ELNS1_3repE0EEENS1_30default_config_static_selectorELNS0_4arch9wavefront6targetE0EEEvSQ_.kd
    .uniform_work_group_size: 1
    .uses_dynamic_stack: false
    .vgpr_count:     0
    .vgpr_spill_count: 0
    .wavefront_size: 32
    .workgroup_processor_mode: 1
  - .args:
      - .offset:         0
        .size:           56
        .value_kind:     by_value
    .group_segment_fixed_size: 0
    .kernarg_segment_align: 8
    .kernarg_segment_size: 56
    .language:       OpenCL C
    .language_version:
      - 2
      - 0
    .max_flat_workgroup_size: 128
    .name:           _ZN7rocprim17ROCPRIM_400000_NS6detail17trampoline_kernelINS0_14default_configENS1_27lower_bound_config_selectorIjjEEZNS1_14transform_implILb0ES3_S5_N6thrust23THRUST_200600_302600_NS17counting_iteratorIjNS8_11use_defaultESA_SA_EENS8_6detail15normal_iteratorINS8_10device_ptrIjEEEEZNS1_13binary_searchIS3_S5_SG_SB_SG_NS1_21lower_bound_search_opENSC_16wrapped_functionINS0_4lessIvEEbEEEE10hipError_tPvRmT1_T2_T3_mmT4_T5_P12ihipStream_tbEUlRKjE_EESN_SR_SS_mST_SW_bEUlT_E_NS1_11comp_targetILNS1_3genE9ELNS1_11target_archE1100ELNS1_3gpuE3ELNS1_3repE0EEENS1_30default_config_static_selectorELNS0_4arch9wavefront6targetE0EEEvSQ_
    .private_segment_fixed_size: 0
    .sgpr_count:     0
    .sgpr_spill_count: 0
    .symbol:         _ZN7rocprim17ROCPRIM_400000_NS6detail17trampoline_kernelINS0_14default_configENS1_27lower_bound_config_selectorIjjEEZNS1_14transform_implILb0ES3_S5_N6thrust23THRUST_200600_302600_NS17counting_iteratorIjNS8_11use_defaultESA_SA_EENS8_6detail15normal_iteratorINS8_10device_ptrIjEEEEZNS1_13binary_searchIS3_S5_SG_SB_SG_NS1_21lower_bound_search_opENSC_16wrapped_functionINS0_4lessIvEEbEEEE10hipError_tPvRmT1_T2_T3_mmT4_T5_P12ihipStream_tbEUlRKjE_EESN_SR_SS_mST_SW_bEUlT_E_NS1_11comp_targetILNS1_3genE9ELNS1_11target_archE1100ELNS1_3gpuE3ELNS1_3repE0EEENS1_30default_config_static_selectorELNS0_4arch9wavefront6targetE0EEEvSQ_.kd
    .uniform_work_group_size: 1
    .uses_dynamic_stack: false
    .vgpr_count:     0
    .vgpr_spill_count: 0
    .wavefront_size: 32
    .workgroup_processor_mode: 1
  - .args:
      - .offset:         0
        .size:           56
        .value_kind:     by_value
      - .offset:         56
        .size:           4
        .value_kind:     hidden_block_count_x
      - .offset:         60
        .size:           4
        .value_kind:     hidden_block_count_y
      - .offset:         64
        .size:           4
        .value_kind:     hidden_block_count_z
      - .offset:         68
        .size:           2
        .value_kind:     hidden_group_size_x
      - .offset:         70
        .size:           2
        .value_kind:     hidden_group_size_y
      - .offset:         72
        .size:           2
        .value_kind:     hidden_group_size_z
      - .offset:         74
        .size:           2
        .value_kind:     hidden_remainder_x
      - .offset:         76
        .size:           2
        .value_kind:     hidden_remainder_y
      - .offset:         78
        .size:           2
        .value_kind:     hidden_remainder_z
      - .offset:         96
        .size:           8
        .value_kind:     hidden_global_offset_x
      - .offset:         104
        .size:           8
        .value_kind:     hidden_global_offset_y
      - .offset:         112
        .size:           8
        .value_kind:     hidden_global_offset_z
      - .offset:         120
        .size:           2
        .value_kind:     hidden_grid_dims
    .group_segment_fixed_size: 0
    .kernarg_segment_align: 8
    .kernarg_segment_size: 312
    .language:       OpenCL C
    .language_version:
      - 2
      - 0
    .max_flat_workgroup_size: 256
    .name:           _ZN7rocprim17ROCPRIM_400000_NS6detail17trampoline_kernelINS0_14default_configENS1_27lower_bound_config_selectorIjjEEZNS1_14transform_implILb0ES3_S5_N6thrust23THRUST_200600_302600_NS17counting_iteratorIjNS8_11use_defaultESA_SA_EENS8_6detail15normal_iteratorINS8_10device_ptrIjEEEEZNS1_13binary_searchIS3_S5_SG_SB_SG_NS1_21lower_bound_search_opENSC_16wrapped_functionINS0_4lessIvEEbEEEE10hipError_tPvRmT1_T2_T3_mmT4_T5_P12ihipStream_tbEUlRKjE_EESN_SR_SS_mST_SW_bEUlT_E_NS1_11comp_targetILNS1_3genE8ELNS1_11target_archE1030ELNS1_3gpuE2ELNS1_3repE0EEENS1_30default_config_static_selectorELNS0_4arch9wavefront6targetE0EEEvSQ_
    .private_segment_fixed_size: 0
    .sgpr_count:     18
    .sgpr_spill_count: 0
    .symbol:         _ZN7rocprim17ROCPRIM_400000_NS6detail17trampoline_kernelINS0_14default_configENS1_27lower_bound_config_selectorIjjEEZNS1_14transform_implILb0ES3_S5_N6thrust23THRUST_200600_302600_NS17counting_iteratorIjNS8_11use_defaultESA_SA_EENS8_6detail15normal_iteratorINS8_10device_ptrIjEEEEZNS1_13binary_searchIS3_S5_SG_SB_SG_NS1_21lower_bound_search_opENSC_16wrapped_functionINS0_4lessIvEEbEEEE10hipError_tPvRmT1_T2_T3_mmT4_T5_P12ihipStream_tbEUlRKjE_EESN_SR_SS_mST_SW_bEUlT_E_NS1_11comp_targetILNS1_3genE8ELNS1_11target_archE1030ELNS1_3gpuE2ELNS1_3repE0EEENS1_30default_config_static_selectorELNS0_4arch9wavefront6targetE0EEEvSQ_.kd
    .uniform_work_group_size: 1
    .uses_dynamic_stack: false
    .vgpr_count:     11
    .vgpr_spill_count: 0
    .wavefront_size: 32
    .workgroup_processor_mode: 1
  - .args:
      - .offset:         0
        .size:           56
        .value_kind:     by_value
    .group_segment_fixed_size: 0
    .kernarg_segment_align: 8
    .kernarg_segment_size: 56
    .language:       OpenCL C
    .language_version:
      - 2
      - 0
    .max_flat_workgroup_size: 256
    .name:           _ZN7rocprim17ROCPRIM_400000_NS6detail17trampoline_kernelINS0_14default_configENS1_27upper_bound_config_selectorIjjEEZNS1_14transform_implILb0ES3_S5_N6thrust23THRUST_200600_302600_NS17counting_iteratorIjNS8_11use_defaultESA_SA_EENS8_6detail15normal_iteratorINS8_10device_ptrIjEEEEZNS1_13binary_searchIS3_S5_SG_SB_SG_NS1_21upper_bound_search_opENSC_16wrapped_functionINS0_4lessIvEEbEEEE10hipError_tPvRmT1_T2_T3_mmT4_T5_P12ihipStream_tbEUlRKjE_EESN_SR_SS_mST_SW_bEUlT_E_NS1_11comp_targetILNS1_3genE0ELNS1_11target_archE4294967295ELNS1_3gpuE0ELNS1_3repE0EEENS1_30default_config_static_selectorELNS0_4arch9wavefront6targetE0EEEvSQ_
    .private_segment_fixed_size: 0
    .sgpr_count:     0
    .sgpr_spill_count: 0
    .symbol:         _ZN7rocprim17ROCPRIM_400000_NS6detail17trampoline_kernelINS0_14default_configENS1_27upper_bound_config_selectorIjjEEZNS1_14transform_implILb0ES3_S5_N6thrust23THRUST_200600_302600_NS17counting_iteratorIjNS8_11use_defaultESA_SA_EENS8_6detail15normal_iteratorINS8_10device_ptrIjEEEEZNS1_13binary_searchIS3_S5_SG_SB_SG_NS1_21upper_bound_search_opENSC_16wrapped_functionINS0_4lessIvEEbEEEE10hipError_tPvRmT1_T2_T3_mmT4_T5_P12ihipStream_tbEUlRKjE_EESN_SR_SS_mST_SW_bEUlT_E_NS1_11comp_targetILNS1_3genE0ELNS1_11target_archE4294967295ELNS1_3gpuE0ELNS1_3repE0EEENS1_30default_config_static_selectorELNS0_4arch9wavefront6targetE0EEEvSQ_.kd
    .uniform_work_group_size: 1
    .uses_dynamic_stack: false
    .vgpr_count:     0
    .vgpr_spill_count: 0
    .wavefront_size: 32
    .workgroup_processor_mode: 1
  - .args:
      - .offset:         0
        .size:           56
        .value_kind:     by_value
    .group_segment_fixed_size: 0
    .kernarg_segment_align: 8
    .kernarg_segment_size: 56
    .language:       OpenCL C
    .language_version:
      - 2
      - 0
    .max_flat_workgroup_size: 256
    .name:           _ZN7rocprim17ROCPRIM_400000_NS6detail17trampoline_kernelINS0_14default_configENS1_27upper_bound_config_selectorIjjEEZNS1_14transform_implILb0ES3_S5_N6thrust23THRUST_200600_302600_NS17counting_iteratorIjNS8_11use_defaultESA_SA_EENS8_6detail15normal_iteratorINS8_10device_ptrIjEEEEZNS1_13binary_searchIS3_S5_SG_SB_SG_NS1_21upper_bound_search_opENSC_16wrapped_functionINS0_4lessIvEEbEEEE10hipError_tPvRmT1_T2_T3_mmT4_T5_P12ihipStream_tbEUlRKjE_EESN_SR_SS_mST_SW_bEUlT_E_NS1_11comp_targetILNS1_3genE5ELNS1_11target_archE942ELNS1_3gpuE9ELNS1_3repE0EEENS1_30default_config_static_selectorELNS0_4arch9wavefront6targetE0EEEvSQ_
    .private_segment_fixed_size: 0
    .sgpr_count:     0
    .sgpr_spill_count: 0
    .symbol:         _ZN7rocprim17ROCPRIM_400000_NS6detail17trampoline_kernelINS0_14default_configENS1_27upper_bound_config_selectorIjjEEZNS1_14transform_implILb0ES3_S5_N6thrust23THRUST_200600_302600_NS17counting_iteratorIjNS8_11use_defaultESA_SA_EENS8_6detail15normal_iteratorINS8_10device_ptrIjEEEEZNS1_13binary_searchIS3_S5_SG_SB_SG_NS1_21upper_bound_search_opENSC_16wrapped_functionINS0_4lessIvEEbEEEE10hipError_tPvRmT1_T2_T3_mmT4_T5_P12ihipStream_tbEUlRKjE_EESN_SR_SS_mST_SW_bEUlT_E_NS1_11comp_targetILNS1_3genE5ELNS1_11target_archE942ELNS1_3gpuE9ELNS1_3repE0EEENS1_30default_config_static_selectorELNS0_4arch9wavefront6targetE0EEEvSQ_.kd
    .uniform_work_group_size: 1
    .uses_dynamic_stack: false
    .vgpr_count:     0
    .vgpr_spill_count: 0
    .wavefront_size: 32
    .workgroup_processor_mode: 1
  - .args:
      - .offset:         0
        .size:           56
        .value_kind:     by_value
    .group_segment_fixed_size: 0
    .kernarg_segment_align: 8
    .kernarg_segment_size: 56
    .language:       OpenCL C
    .language_version:
      - 2
      - 0
    .max_flat_workgroup_size: 256
    .name:           _ZN7rocprim17ROCPRIM_400000_NS6detail17trampoline_kernelINS0_14default_configENS1_27upper_bound_config_selectorIjjEEZNS1_14transform_implILb0ES3_S5_N6thrust23THRUST_200600_302600_NS17counting_iteratorIjNS8_11use_defaultESA_SA_EENS8_6detail15normal_iteratorINS8_10device_ptrIjEEEEZNS1_13binary_searchIS3_S5_SG_SB_SG_NS1_21upper_bound_search_opENSC_16wrapped_functionINS0_4lessIvEEbEEEE10hipError_tPvRmT1_T2_T3_mmT4_T5_P12ihipStream_tbEUlRKjE_EESN_SR_SS_mST_SW_bEUlT_E_NS1_11comp_targetILNS1_3genE4ELNS1_11target_archE910ELNS1_3gpuE8ELNS1_3repE0EEENS1_30default_config_static_selectorELNS0_4arch9wavefront6targetE0EEEvSQ_
    .private_segment_fixed_size: 0
    .sgpr_count:     0
    .sgpr_spill_count: 0
    .symbol:         _ZN7rocprim17ROCPRIM_400000_NS6detail17trampoline_kernelINS0_14default_configENS1_27upper_bound_config_selectorIjjEEZNS1_14transform_implILb0ES3_S5_N6thrust23THRUST_200600_302600_NS17counting_iteratorIjNS8_11use_defaultESA_SA_EENS8_6detail15normal_iteratorINS8_10device_ptrIjEEEEZNS1_13binary_searchIS3_S5_SG_SB_SG_NS1_21upper_bound_search_opENSC_16wrapped_functionINS0_4lessIvEEbEEEE10hipError_tPvRmT1_T2_T3_mmT4_T5_P12ihipStream_tbEUlRKjE_EESN_SR_SS_mST_SW_bEUlT_E_NS1_11comp_targetILNS1_3genE4ELNS1_11target_archE910ELNS1_3gpuE8ELNS1_3repE0EEENS1_30default_config_static_selectorELNS0_4arch9wavefront6targetE0EEEvSQ_.kd
    .uniform_work_group_size: 1
    .uses_dynamic_stack: false
    .vgpr_count:     0
    .vgpr_spill_count: 0
    .wavefront_size: 32
    .workgroup_processor_mode: 1
  - .args:
      - .offset:         0
        .size:           56
        .value_kind:     by_value
    .group_segment_fixed_size: 0
    .kernarg_segment_align: 8
    .kernarg_segment_size: 56
    .language:       OpenCL C
    .language_version:
      - 2
      - 0
    .max_flat_workgroup_size: 256
    .name:           _ZN7rocprim17ROCPRIM_400000_NS6detail17trampoline_kernelINS0_14default_configENS1_27upper_bound_config_selectorIjjEEZNS1_14transform_implILb0ES3_S5_N6thrust23THRUST_200600_302600_NS17counting_iteratorIjNS8_11use_defaultESA_SA_EENS8_6detail15normal_iteratorINS8_10device_ptrIjEEEEZNS1_13binary_searchIS3_S5_SG_SB_SG_NS1_21upper_bound_search_opENSC_16wrapped_functionINS0_4lessIvEEbEEEE10hipError_tPvRmT1_T2_T3_mmT4_T5_P12ihipStream_tbEUlRKjE_EESN_SR_SS_mST_SW_bEUlT_E_NS1_11comp_targetILNS1_3genE3ELNS1_11target_archE908ELNS1_3gpuE7ELNS1_3repE0EEENS1_30default_config_static_selectorELNS0_4arch9wavefront6targetE0EEEvSQ_
    .private_segment_fixed_size: 0
    .sgpr_count:     0
    .sgpr_spill_count: 0
    .symbol:         _ZN7rocprim17ROCPRIM_400000_NS6detail17trampoline_kernelINS0_14default_configENS1_27upper_bound_config_selectorIjjEEZNS1_14transform_implILb0ES3_S5_N6thrust23THRUST_200600_302600_NS17counting_iteratorIjNS8_11use_defaultESA_SA_EENS8_6detail15normal_iteratorINS8_10device_ptrIjEEEEZNS1_13binary_searchIS3_S5_SG_SB_SG_NS1_21upper_bound_search_opENSC_16wrapped_functionINS0_4lessIvEEbEEEE10hipError_tPvRmT1_T2_T3_mmT4_T5_P12ihipStream_tbEUlRKjE_EESN_SR_SS_mST_SW_bEUlT_E_NS1_11comp_targetILNS1_3genE3ELNS1_11target_archE908ELNS1_3gpuE7ELNS1_3repE0EEENS1_30default_config_static_selectorELNS0_4arch9wavefront6targetE0EEEvSQ_.kd
    .uniform_work_group_size: 1
    .uses_dynamic_stack: false
    .vgpr_count:     0
    .vgpr_spill_count: 0
    .wavefront_size: 32
    .workgroup_processor_mode: 1
  - .args:
      - .offset:         0
        .size:           56
        .value_kind:     by_value
    .group_segment_fixed_size: 0
    .kernarg_segment_align: 8
    .kernarg_segment_size: 56
    .language:       OpenCL C
    .language_version:
      - 2
      - 0
    .max_flat_workgroup_size: 256
    .name:           _ZN7rocprim17ROCPRIM_400000_NS6detail17trampoline_kernelINS0_14default_configENS1_27upper_bound_config_selectorIjjEEZNS1_14transform_implILb0ES3_S5_N6thrust23THRUST_200600_302600_NS17counting_iteratorIjNS8_11use_defaultESA_SA_EENS8_6detail15normal_iteratorINS8_10device_ptrIjEEEEZNS1_13binary_searchIS3_S5_SG_SB_SG_NS1_21upper_bound_search_opENSC_16wrapped_functionINS0_4lessIvEEbEEEE10hipError_tPvRmT1_T2_T3_mmT4_T5_P12ihipStream_tbEUlRKjE_EESN_SR_SS_mST_SW_bEUlT_E_NS1_11comp_targetILNS1_3genE2ELNS1_11target_archE906ELNS1_3gpuE6ELNS1_3repE0EEENS1_30default_config_static_selectorELNS0_4arch9wavefront6targetE0EEEvSQ_
    .private_segment_fixed_size: 0
    .sgpr_count:     0
    .sgpr_spill_count: 0
    .symbol:         _ZN7rocprim17ROCPRIM_400000_NS6detail17trampoline_kernelINS0_14default_configENS1_27upper_bound_config_selectorIjjEEZNS1_14transform_implILb0ES3_S5_N6thrust23THRUST_200600_302600_NS17counting_iteratorIjNS8_11use_defaultESA_SA_EENS8_6detail15normal_iteratorINS8_10device_ptrIjEEEEZNS1_13binary_searchIS3_S5_SG_SB_SG_NS1_21upper_bound_search_opENSC_16wrapped_functionINS0_4lessIvEEbEEEE10hipError_tPvRmT1_T2_T3_mmT4_T5_P12ihipStream_tbEUlRKjE_EESN_SR_SS_mST_SW_bEUlT_E_NS1_11comp_targetILNS1_3genE2ELNS1_11target_archE906ELNS1_3gpuE6ELNS1_3repE0EEENS1_30default_config_static_selectorELNS0_4arch9wavefront6targetE0EEEvSQ_.kd
    .uniform_work_group_size: 1
    .uses_dynamic_stack: false
    .vgpr_count:     0
    .vgpr_spill_count: 0
    .wavefront_size: 32
    .workgroup_processor_mode: 1
  - .args:
      - .offset:         0
        .size:           56
        .value_kind:     by_value
    .group_segment_fixed_size: 0
    .kernarg_segment_align: 8
    .kernarg_segment_size: 56
    .language:       OpenCL C
    .language_version:
      - 2
      - 0
    .max_flat_workgroup_size: 128
    .name:           _ZN7rocprim17ROCPRIM_400000_NS6detail17trampoline_kernelINS0_14default_configENS1_27upper_bound_config_selectorIjjEEZNS1_14transform_implILb0ES3_S5_N6thrust23THRUST_200600_302600_NS17counting_iteratorIjNS8_11use_defaultESA_SA_EENS8_6detail15normal_iteratorINS8_10device_ptrIjEEEEZNS1_13binary_searchIS3_S5_SG_SB_SG_NS1_21upper_bound_search_opENSC_16wrapped_functionINS0_4lessIvEEbEEEE10hipError_tPvRmT1_T2_T3_mmT4_T5_P12ihipStream_tbEUlRKjE_EESN_SR_SS_mST_SW_bEUlT_E_NS1_11comp_targetILNS1_3genE10ELNS1_11target_archE1201ELNS1_3gpuE5ELNS1_3repE0EEENS1_30default_config_static_selectorELNS0_4arch9wavefront6targetE0EEEvSQ_
    .private_segment_fixed_size: 0
    .sgpr_count:     0
    .sgpr_spill_count: 0
    .symbol:         _ZN7rocprim17ROCPRIM_400000_NS6detail17trampoline_kernelINS0_14default_configENS1_27upper_bound_config_selectorIjjEEZNS1_14transform_implILb0ES3_S5_N6thrust23THRUST_200600_302600_NS17counting_iteratorIjNS8_11use_defaultESA_SA_EENS8_6detail15normal_iteratorINS8_10device_ptrIjEEEEZNS1_13binary_searchIS3_S5_SG_SB_SG_NS1_21upper_bound_search_opENSC_16wrapped_functionINS0_4lessIvEEbEEEE10hipError_tPvRmT1_T2_T3_mmT4_T5_P12ihipStream_tbEUlRKjE_EESN_SR_SS_mST_SW_bEUlT_E_NS1_11comp_targetILNS1_3genE10ELNS1_11target_archE1201ELNS1_3gpuE5ELNS1_3repE0EEENS1_30default_config_static_selectorELNS0_4arch9wavefront6targetE0EEEvSQ_.kd
    .uniform_work_group_size: 1
    .uses_dynamic_stack: false
    .vgpr_count:     0
    .vgpr_spill_count: 0
    .wavefront_size: 32
    .workgroup_processor_mode: 1
  - .args:
      - .offset:         0
        .size:           56
        .value_kind:     by_value
    .group_segment_fixed_size: 0
    .kernarg_segment_align: 8
    .kernarg_segment_size: 56
    .language:       OpenCL C
    .language_version:
      - 2
      - 0
    .max_flat_workgroup_size: 128
    .name:           _ZN7rocprim17ROCPRIM_400000_NS6detail17trampoline_kernelINS0_14default_configENS1_27upper_bound_config_selectorIjjEEZNS1_14transform_implILb0ES3_S5_N6thrust23THRUST_200600_302600_NS17counting_iteratorIjNS8_11use_defaultESA_SA_EENS8_6detail15normal_iteratorINS8_10device_ptrIjEEEEZNS1_13binary_searchIS3_S5_SG_SB_SG_NS1_21upper_bound_search_opENSC_16wrapped_functionINS0_4lessIvEEbEEEE10hipError_tPvRmT1_T2_T3_mmT4_T5_P12ihipStream_tbEUlRKjE_EESN_SR_SS_mST_SW_bEUlT_E_NS1_11comp_targetILNS1_3genE10ELNS1_11target_archE1200ELNS1_3gpuE4ELNS1_3repE0EEENS1_30default_config_static_selectorELNS0_4arch9wavefront6targetE0EEEvSQ_
    .private_segment_fixed_size: 0
    .sgpr_count:     0
    .sgpr_spill_count: 0
    .symbol:         _ZN7rocprim17ROCPRIM_400000_NS6detail17trampoline_kernelINS0_14default_configENS1_27upper_bound_config_selectorIjjEEZNS1_14transform_implILb0ES3_S5_N6thrust23THRUST_200600_302600_NS17counting_iteratorIjNS8_11use_defaultESA_SA_EENS8_6detail15normal_iteratorINS8_10device_ptrIjEEEEZNS1_13binary_searchIS3_S5_SG_SB_SG_NS1_21upper_bound_search_opENSC_16wrapped_functionINS0_4lessIvEEbEEEE10hipError_tPvRmT1_T2_T3_mmT4_T5_P12ihipStream_tbEUlRKjE_EESN_SR_SS_mST_SW_bEUlT_E_NS1_11comp_targetILNS1_3genE10ELNS1_11target_archE1200ELNS1_3gpuE4ELNS1_3repE0EEENS1_30default_config_static_selectorELNS0_4arch9wavefront6targetE0EEEvSQ_.kd
    .uniform_work_group_size: 1
    .uses_dynamic_stack: false
    .vgpr_count:     0
    .vgpr_spill_count: 0
    .wavefront_size: 32
    .workgroup_processor_mode: 1
  - .args:
      - .offset:         0
        .size:           56
        .value_kind:     by_value
    .group_segment_fixed_size: 0
    .kernarg_segment_align: 8
    .kernarg_segment_size: 56
    .language:       OpenCL C
    .language_version:
      - 2
      - 0
    .max_flat_workgroup_size: 256
    .name:           _ZN7rocprim17ROCPRIM_400000_NS6detail17trampoline_kernelINS0_14default_configENS1_27upper_bound_config_selectorIjjEEZNS1_14transform_implILb0ES3_S5_N6thrust23THRUST_200600_302600_NS17counting_iteratorIjNS8_11use_defaultESA_SA_EENS8_6detail15normal_iteratorINS8_10device_ptrIjEEEEZNS1_13binary_searchIS3_S5_SG_SB_SG_NS1_21upper_bound_search_opENSC_16wrapped_functionINS0_4lessIvEEbEEEE10hipError_tPvRmT1_T2_T3_mmT4_T5_P12ihipStream_tbEUlRKjE_EESN_SR_SS_mST_SW_bEUlT_E_NS1_11comp_targetILNS1_3genE9ELNS1_11target_archE1100ELNS1_3gpuE3ELNS1_3repE0EEENS1_30default_config_static_selectorELNS0_4arch9wavefront6targetE0EEEvSQ_
    .private_segment_fixed_size: 0
    .sgpr_count:     0
    .sgpr_spill_count: 0
    .symbol:         _ZN7rocprim17ROCPRIM_400000_NS6detail17trampoline_kernelINS0_14default_configENS1_27upper_bound_config_selectorIjjEEZNS1_14transform_implILb0ES3_S5_N6thrust23THRUST_200600_302600_NS17counting_iteratorIjNS8_11use_defaultESA_SA_EENS8_6detail15normal_iteratorINS8_10device_ptrIjEEEEZNS1_13binary_searchIS3_S5_SG_SB_SG_NS1_21upper_bound_search_opENSC_16wrapped_functionINS0_4lessIvEEbEEEE10hipError_tPvRmT1_T2_T3_mmT4_T5_P12ihipStream_tbEUlRKjE_EESN_SR_SS_mST_SW_bEUlT_E_NS1_11comp_targetILNS1_3genE9ELNS1_11target_archE1100ELNS1_3gpuE3ELNS1_3repE0EEENS1_30default_config_static_selectorELNS0_4arch9wavefront6targetE0EEEvSQ_.kd
    .uniform_work_group_size: 1
    .uses_dynamic_stack: false
    .vgpr_count:     0
    .vgpr_spill_count: 0
    .wavefront_size: 32
    .workgroup_processor_mode: 1
  - .args:
      - .offset:         0
        .size:           56
        .value_kind:     by_value
      - .offset:         56
        .size:           4
        .value_kind:     hidden_block_count_x
      - .offset:         60
        .size:           4
        .value_kind:     hidden_block_count_y
      - .offset:         64
        .size:           4
        .value_kind:     hidden_block_count_z
      - .offset:         68
        .size:           2
        .value_kind:     hidden_group_size_x
      - .offset:         70
        .size:           2
        .value_kind:     hidden_group_size_y
      - .offset:         72
        .size:           2
        .value_kind:     hidden_group_size_z
      - .offset:         74
        .size:           2
        .value_kind:     hidden_remainder_x
      - .offset:         76
        .size:           2
        .value_kind:     hidden_remainder_y
      - .offset:         78
        .size:           2
        .value_kind:     hidden_remainder_z
      - .offset:         96
        .size:           8
        .value_kind:     hidden_global_offset_x
      - .offset:         104
        .size:           8
        .value_kind:     hidden_global_offset_y
      - .offset:         112
        .size:           8
        .value_kind:     hidden_global_offset_z
      - .offset:         120
        .size:           2
        .value_kind:     hidden_grid_dims
    .group_segment_fixed_size: 0
    .kernarg_segment_align: 8
    .kernarg_segment_size: 312
    .language:       OpenCL C
    .language_version:
      - 2
      - 0
    .max_flat_workgroup_size: 256
    .name:           _ZN7rocprim17ROCPRIM_400000_NS6detail17trampoline_kernelINS0_14default_configENS1_27upper_bound_config_selectorIjjEEZNS1_14transform_implILb0ES3_S5_N6thrust23THRUST_200600_302600_NS17counting_iteratorIjNS8_11use_defaultESA_SA_EENS8_6detail15normal_iteratorINS8_10device_ptrIjEEEEZNS1_13binary_searchIS3_S5_SG_SB_SG_NS1_21upper_bound_search_opENSC_16wrapped_functionINS0_4lessIvEEbEEEE10hipError_tPvRmT1_T2_T3_mmT4_T5_P12ihipStream_tbEUlRKjE_EESN_SR_SS_mST_SW_bEUlT_E_NS1_11comp_targetILNS1_3genE8ELNS1_11target_archE1030ELNS1_3gpuE2ELNS1_3repE0EEENS1_30default_config_static_selectorELNS0_4arch9wavefront6targetE0EEEvSQ_
    .private_segment_fixed_size: 0
    .sgpr_count:     18
    .sgpr_spill_count: 0
    .symbol:         _ZN7rocprim17ROCPRIM_400000_NS6detail17trampoline_kernelINS0_14default_configENS1_27upper_bound_config_selectorIjjEEZNS1_14transform_implILb0ES3_S5_N6thrust23THRUST_200600_302600_NS17counting_iteratorIjNS8_11use_defaultESA_SA_EENS8_6detail15normal_iteratorINS8_10device_ptrIjEEEEZNS1_13binary_searchIS3_S5_SG_SB_SG_NS1_21upper_bound_search_opENSC_16wrapped_functionINS0_4lessIvEEbEEEE10hipError_tPvRmT1_T2_T3_mmT4_T5_P12ihipStream_tbEUlRKjE_EESN_SR_SS_mST_SW_bEUlT_E_NS1_11comp_targetILNS1_3genE8ELNS1_11target_archE1030ELNS1_3gpuE2ELNS1_3repE0EEENS1_30default_config_static_selectorELNS0_4arch9wavefront6targetE0EEEvSQ_.kd
    .uniform_work_group_size: 1
    .uses_dynamic_stack: false
    .vgpr_count:     11
    .vgpr_spill_count: 0
    .wavefront_size: 32
    .workgroup_processor_mode: 1
  - .args:
      - .offset:         0
        .size:           16
        .value_kind:     by_value
      - .offset:         16
        .size:           8
        .value_kind:     by_value
      - .offset:         24
        .size:           8
        .value_kind:     by_value
    .group_segment_fixed_size: 0
    .kernarg_segment_align: 8
    .kernarg_segment_size: 32
    .language:       OpenCL C
    .language_version:
      - 2
      - 0
    .max_flat_workgroup_size: 256
    .name:           _ZN6thrust23THRUST_200600_302600_NS11hip_rocprim14__parallel_for6kernelILj256ENS1_20__uninitialized_copy7functorINS0_10device_ptrINS0_5tupleIffNS0_9null_typeES8_S8_S8_S8_S8_S8_S8_EEEENS0_7pointerIS9_NS1_3tagENS0_11use_defaultESD_EEEEmLj1EEEvT0_T1_SH_
    .private_segment_fixed_size: 0
    .sgpr_count:     18
    .sgpr_spill_count: 0
    .symbol:         _ZN6thrust23THRUST_200600_302600_NS11hip_rocprim14__parallel_for6kernelILj256ENS1_20__uninitialized_copy7functorINS0_10device_ptrINS0_5tupleIffNS0_9null_typeES8_S8_S8_S8_S8_S8_S8_EEEENS0_7pointerIS9_NS1_3tagENS0_11use_defaultESD_EEEEmLj1EEEvT0_T1_SH_.kd
    .uniform_work_group_size: 1
    .uses_dynamic_stack: false
    .vgpr_count:     5
    .vgpr_spill_count: 0
    .wavefront_size: 32
    .workgroup_processor_mode: 1
amdhsa.target:   amdgcn-amd-amdhsa--gfx1030
amdhsa.version:
  - 1
  - 2
...

	.end_amdgpu_metadata
